;; amdgpu-corpus repo=zjin-lcf/HeCBench kind=compiled arch=gfx1100 opt=O3
	.text
	.amdgcn_target "amdgcn-amd-amdhsa--gfx1100"
	.amdhsa_code_object_version 6
	.section	.text._ZN7rocprim17ROCPRIM_400000_NS6detail17trampoline_kernelINS0_14default_configENS1_22reduce_config_selectorIlEEZNS1_11reduce_implILb1ES3_PlS7_lN6hipcub16HIPCUB_304000_NS6detail34convert_binary_result_type_wrapperINS9_3SumENS9_22TransformInputIteratorIb7NonZeroIaEPalEElEEEE10hipError_tPvRmT1_T2_T3_mT4_P12ihipStream_tbEUlT_E0_NS1_11comp_targetILNS1_3genE0ELNS1_11target_archE4294967295ELNS1_3gpuE0ELNS1_3repE0EEENS1_30default_config_static_selectorELNS0_4arch9wavefront6targetE0EEEvSM_,"axG",@progbits,_ZN7rocprim17ROCPRIM_400000_NS6detail17trampoline_kernelINS0_14default_configENS1_22reduce_config_selectorIlEEZNS1_11reduce_implILb1ES3_PlS7_lN6hipcub16HIPCUB_304000_NS6detail34convert_binary_result_type_wrapperINS9_3SumENS9_22TransformInputIteratorIb7NonZeroIaEPalEElEEEE10hipError_tPvRmT1_T2_T3_mT4_P12ihipStream_tbEUlT_E0_NS1_11comp_targetILNS1_3genE0ELNS1_11target_archE4294967295ELNS1_3gpuE0ELNS1_3repE0EEENS1_30default_config_static_selectorELNS0_4arch9wavefront6targetE0EEEvSM_,comdat
	.protected	_ZN7rocprim17ROCPRIM_400000_NS6detail17trampoline_kernelINS0_14default_configENS1_22reduce_config_selectorIlEEZNS1_11reduce_implILb1ES3_PlS7_lN6hipcub16HIPCUB_304000_NS6detail34convert_binary_result_type_wrapperINS9_3SumENS9_22TransformInputIteratorIb7NonZeroIaEPalEElEEEE10hipError_tPvRmT1_T2_T3_mT4_P12ihipStream_tbEUlT_E0_NS1_11comp_targetILNS1_3genE0ELNS1_11target_archE4294967295ELNS1_3gpuE0ELNS1_3repE0EEENS1_30default_config_static_selectorELNS0_4arch9wavefront6targetE0EEEvSM_ ; -- Begin function _ZN7rocprim17ROCPRIM_400000_NS6detail17trampoline_kernelINS0_14default_configENS1_22reduce_config_selectorIlEEZNS1_11reduce_implILb1ES3_PlS7_lN6hipcub16HIPCUB_304000_NS6detail34convert_binary_result_type_wrapperINS9_3SumENS9_22TransformInputIteratorIb7NonZeroIaEPalEElEEEE10hipError_tPvRmT1_T2_T3_mT4_P12ihipStream_tbEUlT_E0_NS1_11comp_targetILNS1_3genE0ELNS1_11target_archE4294967295ELNS1_3gpuE0ELNS1_3repE0EEENS1_30default_config_static_selectorELNS0_4arch9wavefront6targetE0EEEvSM_
	.globl	_ZN7rocprim17ROCPRIM_400000_NS6detail17trampoline_kernelINS0_14default_configENS1_22reduce_config_selectorIlEEZNS1_11reduce_implILb1ES3_PlS7_lN6hipcub16HIPCUB_304000_NS6detail34convert_binary_result_type_wrapperINS9_3SumENS9_22TransformInputIteratorIb7NonZeroIaEPalEElEEEE10hipError_tPvRmT1_T2_T3_mT4_P12ihipStream_tbEUlT_E0_NS1_11comp_targetILNS1_3genE0ELNS1_11target_archE4294967295ELNS1_3gpuE0ELNS1_3repE0EEENS1_30default_config_static_selectorELNS0_4arch9wavefront6targetE0EEEvSM_
	.p2align	8
	.type	_ZN7rocprim17ROCPRIM_400000_NS6detail17trampoline_kernelINS0_14default_configENS1_22reduce_config_selectorIlEEZNS1_11reduce_implILb1ES3_PlS7_lN6hipcub16HIPCUB_304000_NS6detail34convert_binary_result_type_wrapperINS9_3SumENS9_22TransformInputIteratorIb7NonZeroIaEPalEElEEEE10hipError_tPvRmT1_T2_T3_mT4_P12ihipStream_tbEUlT_E0_NS1_11comp_targetILNS1_3genE0ELNS1_11target_archE4294967295ELNS1_3gpuE0ELNS1_3repE0EEENS1_30default_config_static_selectorELNS0_4arch9wavefront6targetE0EEEvSM_,@function
_ZN7rocprim17ROCPRIM_400000_NS6detail17trampoline_kernelINS0_14default_configENS1_22reduce_config_selectorIlEEZNS1_11reduce_implILb1ES3_PlS7_lN6hipcub16HIPCUB_304000_NS6detail34convert_binary_result_type_wrapperINS9_3SumENS9_22TransformInputIteratorIb7NonZeroIaEPalEElEEEE10hipError_tPvRmT1_T2_T3_mT4_P12ihipStream_tbEUlT_E0_NS1_11comp_targetILNS1_3genE0ELNS1_11target_archE4294967295ELNS1_3gpuE0ELNS1_3repE0EEENS1_30default_config_static_selectorELNS0_4arch9wavefront6targetE0EEEvSM_: ; @_ZN7rocprim17ROCPRIM_400000_NS6detail17trampoline_kernelINS0_14default_configENS1_22reduce_config_selectorIlEEZNS1_11reduce_implILb1ES3_PlS7_lN6hipcub16HIPCUB_304000_NS6detail34convert_binary_result_type_wrapperINS9_3SumENS9_22TransformInputIteratorIb7NonZeroIaEPalEElEEEE10hipError_tPvRmT1_T2_T3_mT4_P12ihipStream_tbEUlT_E0_NS1_11comp_targetILNS1_3genE0ELNS1_11target_archE4294967295ELNS1_3gpuE0ELNS1_3repE0EEENS1_30default_config_static_selectorELNS0_4arch9wavefront6targetE0EEEvSM_
; %bb.0:
	.section	.rodata,"a",@progbits
	.p2align	6, 0x0
	.amdhsa_kernel _ZN7rocprim17ROCPRIM_400000_NS6detail17trampoline_kernelINS0_14default_configENS1_22reduce_config_selectorIlEEZNS1_11reduce_implILb1ES3_PlS7_lN6hipcub16HIPCUB_304000_NS6detail34convert_binary_result_type_wrapperINS9_3SumENS9_22TransformInputIteratorIb7NonZeroIaEPalEElEEEE10hipError_tPvRmT1_T2_T3_mT4_P12ihipStream_tbEUlT_E0_NS1_11comp_targetILNS1_3genE0ELNS1_11target_archE4294967295ELNS1_3gpuE0ELNS1_3repE0EEENS1_30default_config_static_selectorELNS0_4arch9wavefront6targetE0EEEvSM_
		.amdhsa_group_segment_fixed_size 0
		.amdhsa_private_segment_fixed_size 0
		.amdhsa_kernarg_size 64
		.amdhsa_user_sgpr_count 15
		.amdhsa_user_sgpr_dispatch_ptr 0
		.amdhsa_user_sgpr_queue_ptr 0
		.amdhsa_user_sgpr_kernarg_segment_ptr 1
		.amdhsa_user_sgpr_dispatch_id 0
		.amdhsa_user_sgpr_private_segment_size 0
		.amdhsa_wavefront_size32 1
		.amdhsa_uses_dynamic_stack 0
		.amdhsa_enable_private_segment 0
		.amdhsa_system_sgpr_workgroup_id_x 1
		.amdhsa_system_sgpr_workgroup_id_y 0
		.amdhsa_system_sgpr_workgroup_id_z 0
		.amdhsa_system_sgpr_workgroup_info 0
		.amdhsa_system_vgpr_workitem_id 0
		.amdhsa_next_free_vgpr 1
		.amdhsa_next_free_sgpr 1
		.amdhsa_reserve_vcc 0
		.amdhsa_float_round_mode_32 0
		.amdhsa_float_round_mode_16_64 0
		.amdhsa_float_denorm_mode_32 3
		.amdhsa_float_denorm_mode_16_64 3
		.amdhsa_dx10_clamp 1
		.amdhsa_ieee_mode 1
		.amdhsa_fp16_overflow 0
		.amdhsa_workgroup_processor_mode 1
		.amdhsa_memory_ordered 1
		.amdhsa_forward_progress 0
		.amdhsa_shared_vgpr_count 0
		.amdhsa_exception_fp_ieee_invalid_op 0
		.amdhsa_exception_fp_denorm_src 0
		.amdhsa_exception_fp_ieee_div_zero 0
		.amdhsa_exception_fp_ieee_overflow 0
		.amdhsa_exception_fp_ieee_underflow 0
		.amdhsa_exception_fp_ieee_inexact 0
		.amdhsa_exception_int_div_zero 0
	.end_amdhsa_kernel
	.section	.text._ZN7rocprim17ROCPRIM_400000_NS6detail17trampoline_kernelINS0_14default_configENS1_22reduce_config_selectorIlEEZNS1_11reduce_implILb1ES3_PlS7_lN6hipcub16HIPCUB_304000_NS6detail34convert_binary_result_type_wrapperINS9_3SumENS9_22TransformInputIteratorIb7NonZeroIaEPalEElEEEE10hipError_tPvRmT1_T2_T3_mT4_P12ihipStream_tbEUlT_E0_NS1_11comp_targetILNS1_3genE0ELNS1_11target_archE4294967295ELNS1_3gpuE0ELNS1_3repE0EEENS1_30default_config_static_selectorELNS0_4arch9wavefront6targetE0EEEvSM_,"axG",@progbits,_ZN7rocprim17ROCPRIM_400000_NS6detail17trampoline_kernelINS0_14default_configENS1_22reduce_config_selectorIlEEZNS1_11reduce_implILb1ES3_PlS7_lN6hipcub16HIPCUB_304000_NS6detail34convert_binary_result_type_wrapperINS9_3SumENS9_22TransformInputIteratorIb7NonZeroIaEPalEElEEEE10hipError_tPvRmT1_T2_T3_mT4_P12ihipStream_tbEUlT_E0_NS1_11comp_targetILNS1_3genE0ELNS1_11target_archE4294967295ELNS1_3gpuE0ELNS1_3repE0EEENS1_30default_config_static_selectorELNS0_4arch9wavefront6targetE0EEEvSM_,comdat
.Lfunc_end0:
	.size	_ZN7rocprim17ROCPRIM_400000_NS6detail17trampoline_kernelINS0_14default_configENS1_22reduce_config_selectorIlEEZNS1_11reduce_implILb1ES3_PlS7_lN6hipcub16HIPCUB_304000_NS6detail34convert_binary_result_type_wrapperINS9_3SumENS9_22TransformInputIteratorIb7NonZeroIaEPalEElEEEE10hipError_tPvRmT1_T2_T3_mT4_P12ihipStream_tbEUlT_E0_NS1_11comp_targetILNS1_3genE0ELNS1_11target_archE4294967295ELNS1_3gpuE0ELNS1_3repE0EEENS1_30default_config_static_selectorELNS0_4arch9wavefront6targetE0EEEvSM_, .Lfunc_end0-_ZN7rocprim17ROCPRIM_400000_NS6detail17trampoline_kernelINS0_14default_configENS1_22reduce_config_selectorIlEEZNS1_11reduce_implILb1ES3_PlS7_lN6hipcub16HIPCUB_304000_NS6detail34convert_binary_result_type_wrapperINS9_3SumENS9_22TransformInputIteratorIb7NonZeroIaEPalEElEEEE10hipError_tPvRmT1_T2_T3_mT4_P12ihipStream_tbEUlT_E0_NS1_11comp_targetILNS1_3genE0ELNS1_11target_archE4294967295ELNS1_3gpuE0ELNS1_3repE0EEENS1_30default_config_static_selectorELNS0_4arch9wavefront6targetE0EEEvSM_
                                        ; -- End function
	.section	.AMDGPU.csdata,"",@progbits
; Kernel info:
; codeLenInByte = 0
; NumSgprs: 0
; NumVgprs: 0
; ScratchSize: 0
; MemoryBound: 0
; FloatMode: 240
; IeeeMode: 1
; LDSByteSize: 0 bytes/workgroup (compile time only)
; SGPRBlocks: 0
; VGPRBlocks: 0
; NumSGPRsForWavesPerEU: 1
; NumVGPRsForWavesPerEU: 1
; Occupancy: 16
; WaveLimiterHint : 0
; COMPUTE_PGM_RSRC2:SCRATCH_EN: 0
; COMPUTE_PGM_RSRC2:USER_SGPR: 15
; COMPUTE_PGM_RSRC2:TRAP_HANDLER: 0
; COMPUTE_PGM_RSRC2:TGID_X_EN: 1
; COMPUTE_PGM_RSRC2:TGID_Y_EN: 0
; COMPUTE_PGM_RSRC2:TGID_Z_EN: 0
; COMPUTE_PGM_RSRC2:TIDIG_COMP_CNT: 0
	.section	.text._ZN7rocprim17ROCPRIM_400000_NS6detail17trampoline_kernelINS0_14default_configENS1_22reduce_config_selectorIlEEZNS1_11reduce_implILb1ES3_PlS7_lN6hipcub16HIPCUB_304000_NS6detail34convert_binary_result_type_wrapperINS9_3SumENS9_22TransformInputIteratorIb7NonZeroIaEPalEElEEEE10hipError_tPvRmT1_T2_T3_mT4_P12ihipStream_tbEUlT_E0_NS1_11comp_targetILNS1_3genE5ELNS1_11target_archE942ELNS1_3gpuE9ELNS1_3repE0EEENS1_30default_config_static_selectorELNS0_4arch9wavefront6targetE0EEEvSM_,"axG",@progbits,_ZN7rocprim17ROCPRIM_400000_NS6detail17trampoline_kernelINS0_14default_configENS1_22reduce_config_selectorIlEEZNS1_11reduce_implILb1ES3_PlS7_lN6hipcub16HIPCUB_304000_NS6detail34convert_binary_result_type_wrapperINS9_3SumENS9_22TransformInputIteratorIb7NonZeroIaEPalEElEEEE10hipError_tPvRmT1_T2_T3_mT4_P12ihipStream_tbEUlT_E0_NS1_11comp_targetILNS1_3genE5ELNS1_11target_archE942ELNS1_3gpuE9ELNS1_3repE0EEENS1_30default_config_static_selectorELNS0_4arch9wavefront6targetE0EEEvSM_,comdat
	.protected	_ZN7rocprim17ROCPRIM_400000_NS6detail17trampoline_kernelINS0_14default_configENS1_22reduce_config_selectorIlEEZNS1_11reduce_implILb1ES3_PlS7_lN6hipcub16HIPCUB_304000_NS6detail34convert_binary_result_type_wrapperINS9_3SumENS9_22TransformInputIteratorIb7NonZeroIaEPalEElEEEE10hipError_tPvRmT1_T2_T3_mT4_P12ihipStream_tbEUlT_E0_NS1_11comp_targetILNS1_3genE5ELNS1_11target_archE942ELNS1_3gpuE9ELNS1_3repE0EEENS1_30default_config_static_selectorELNS0_4arch9wavefront6targetE0EEEvSM_ ; -- Begin function _ZN7rocprim17ROCPRIM_400000_NS6detail17trampoline_kernelINS0_14default_configENS1_22reduce_config_selectorIlEEZNS1_11reduce_implILb1ES3_PlS7_lN6hipcub16HIPCUB_304000_NS6detail34convert_binary_result_type_wrapperINS9_3SumENS9_22TransformInputIteratorIb7NonZeroIaEPalEElEEEE10hipError_tPvRmT1_T2_T3_mT4_P12ihipStream_tbEUlT_E0_NS1_11comp_targetILNS1_3genE5ELNS1_11target_archE942ELNS1_3gpuE9ELNS1_3repE0EEENS1_30default_config_static_selectorELNS0_4arch9wavefront6targetE0EEEvSM_
	.globl	_ZN7rocprim17ROCPRIM_400000_NS6detail17trampoline_kernelINS0_14default_configENS1_22reduce_config_selectorIlEEZNS1_11reduce_implILb1ES3_PlS7_lN6hipcub16HIPCUB_304000_NS6detail34convert_binary_result_type_wrapperINS9_3SumENS9_22TransformInputIteratorIb7NonZeroIaEPalEElEEEE10hipError_tPvRmT1_T2_T3_mT4_P12ihipStream_tbEUlT_E0_NS1_11comp_targetILNS1_3genE5ELNS1_11target_archE942ELNS1_3gpuE9ELNS1_3repE0EEENS1_30default_config_static_selectorELNS0_4arch9wavefront6targetE0EEEvSM_
	.p2align	8
	.type	_ZN7rocprim17ROCPRIM_400000_NS6detail17trampoline_kernelINS0_14default_configENS1_22reduce_config_selectorIlEEZNS1_11reduce_implILb1ES3_PlS7_lN6hipcub16HIPCUB_304000_NS6detail34convert_binary_result_type_wrapperINS9_3SumENS9_22TransformInputIteratorIb7NonZeroIaEPalEElEEEE10hipError_tPvRmT1_T2_T3_mT4_P12ihipStream_tbEUlT_E0_NS1_11comp_targetILNS1_3genE5ELNS1_11target_archE942ELNS1_3gpuE9ELNS1_3repE0EEENS1_30default_config_static_selectorELNS0_4arch9wavefront6targetE0EEEvSM_,@function
_ZN7rocprim17ROCPRIM_400000_NS6detail17trampoline_kernelINS0_14default_configENS1_22reduce_config_selectorIlEEZNS1_11reduce_implILb1ES3_PlS7_lN6hipcub16HIPCUB_304000_NS6detail34convert_binary_result_type_wrapperINS9_3SumENS9_22TransformInputIteratorIb7NonZeroIaEPalEElEEEE10hipError_tPvRmT1_T2_T3_mT4_P12ihipStream_tbEUlT_E0_NS1_11comp_targetILNS1_3genE5ELNS1_11target_archE942ELNS1_3gpuE9ELNS1_3repE0EEENS1_30default_config_static_selectorELNS0_4arch9wavefront6targetE0EEEvSM_: ; @_ZN7rocprim17ROCPRIM_400000_NS6detail17trampoline_kernelINS0_14default_configENS1_22reduce_config_selectorIlEEZNS1_11reduce_implILb1ES3_PlS7_lN6hipcub16HIPCUB_304000_NS6detail34convert_binary_result_type_wrapperINS9_3SumENS9_22TransformInputIteratorIb7NonZeroIaEPalEElEEEE10hipError_tPvRmT1_T2_T3_mT4_P12ihipStream_tbEUlT_E0_NS1_11comp_targetILNS1_3genE5ELNS1_11target_archE942ELNS1_3gpuE9ELNS1_3repE0EEENS1_30default_config_static_selectorELNS0_4arch9wavefront6targetE0EEEvSM_
; %bb.0:
	.section	.rodata,"a",@progbits
	.p2align	6, 0x0
	.amdhsa_kernel _ZN7rocprim17ROCPRIM_400000_NS6detail17trampoline_kernelINS0_14default_configENS1_22reduce_config_selectorIlEEZNS1_11reduce_implILb1ES3_PlS7_lN6hipcub16HIPCUB_304000_NS6detail34convert_binary_result_type_wrapperINS9_3SumENS9_22TransformInputIteratorIb7NonZeroIaEPalEElEEEE10hipError_tPvRmT1_T2_T3_mT4_P12ihipStream_tbEUlT_E0_NS1_11comp_targetILNS1_3genE5ELNS1_11target_archE942ELNS1_3gpuE9ELNS1_3repE0EEENS1_30default_config_static_selectorELNS0_4arch9wavefront6targetE0EEEvSM_
		.amdhsa_group_segment_fixed_size 0
		.amdhsa_private_segment_fixed_size 0
		.amdhsa_kernarg_size 64
		.amdhsa_user_sgpr_count 15
		.amdhsa_user_sgpr_dispatch_ptr 0
		.amdhsa_user_sgpr_queue_ptr 0
		.amdhsa_user_sgpr_kernarg_segment_ptr 1
		.amdhsa_user_sgpr_dispatch_id 0
		.amdhsa_user_sgpr_private_segment_size 0
		.amdhsa_wavefront_size32 1
		.amdhsa_uses_dynamic_stack 0
		.amdhsa_enable_private_segment 0
		.amdhsa_system_sgpr_workgroup_id_x 1
		.amdhsa_system_sgpr_workgroup_id_y 0
		.amdhsa_system_sgpr_workgroup_id_z 0
		.amdhsa_system_sgpr_workgroup_info 0
		.amdhsa_system_vgpr_workitem_id 0
		.amdhsa_next_free_vgpr 1
		.amdhsa_next_free_sgpr 1
		.amdhsa_reserve_vcc 0
		.amdhsa_float_round_mode_32 0
		.amdhsa_float_round_mode_16_64 0
		.amdhsa_float_denorm_mode_32 3
		.amdhsa_float_denorm_mode_16_64 3
		.amdhsa_dx10_clamp 1
		.amdhsa_ieee_mode 1
		.amdhsa_fp16_overflow 0
		.amdhsa_workgroup_processor_mode 1
		.amdhsa_memory_ordered 1
		.amdhsa_forward_progress 0
		.amdhsa_shared_vgpr_count 0
		.amdhsa_exception_fp_ieee_invalid_op 0
		.amdhsa_exception_fp_denorm_src 0
		.amdhsa_exception_fp_ieee_div_zero 0
		.amdhsa_exception_fp_ieee_overflow 0
		.amdhsa_exception_fp_ieee_underflow 0
		.amdhsa_exception_fp_ieee_inexact 0
		.amdhsa_exception_int_div_zero 0
	.end_amdhsa_kernel
	.section	.text._ZN7rocprim17ROCPRIM_400000_NS6detail17trampoline_kernelINS0_14default_configENS1_22reduce_config_selectorIlEEZNS1_11reduce_implILb1ES3_PlS7_lN6hipcub16HIPCUB_304000_NS6detail34convert_binary_result_type_wrapperINS9_3SumENS9_22TransformInputIteratorIb7NonZeroIaEPalEElEEEE10hipError_tPvRmT1_T2_T3_mT4_P12ihipStream_tbEUlT_E0_NS1_11comp_targetILNS1_3genE5ELNS1_11target_archE942ELNS1_3gpuE9ELNS1_3repE0EEENS1_30default_config_static_selectorELNS0_4arch9wavefront6targetE0EEEvSM_,"axG",@progbits,_ZN7rocprim17ROCPRIM_400000_NS6detail17trampoline_kernelINS0_14default_configENS1_22reduce_config_selectorIlEEZNS1_11reduce_implILb1ES3_PlS7_lN6hipcub16HIPCUB_304000_NS6detail34convert_binary_result_type_wrapperINS9_3SumENS9_22TransformInputIteratorIb7NonZeroIaEPalEElEEEE10hipError_tPvRmT1_T2_T3_mT4_P12ihipStream_tbEUlT_E0_NS1_11comp_targetILNS1_3genE5ELNS1_11target_archE942ELNS1_3gpuE9ELNS1_3repE0EEENS1_30default_config_static_selectorELNS0_4arch9wavefront6targetE0EEEvSM_,comdat
.Lfunc_end1:
	.size	_ZN7rocprim17ROCPRIM_400000_NS6detail17trampoline_kernelINS0_14default_configENS1_22reduce_config_selectorIlEEZNS1_11reduce_implILb1ES3_PlS7_lN6hipcub16HIPCUB_304000_NS6detail34convert_binary_result_type_wrapperINS9_3SumENS9_22TransformInputIteratorIb7NonZeroIaEPalEElEEEE10hipError_tPvRmT1_T2_T3_mT4_P12ihipStream_tbEUlT_E0_NS1_11comp_targetILNS1_3genE5ELNS1_11target_archE942ELNS1_3gpuE9ELNS1_3repE0EEENS1_30default_config_static_selectorELNS0_4arch9wavefront6targetE0EEEvSM_, .Lfunc_end1-_ZN7rocprim17ROCPRIM_400000_NS6detail17trampoline_kernelINS0_14default_configENS1_22reduce_config_selectorIlEEZNS1_11reduce_implILb1ES3_PlS7_lN6hipcub16HIPCUB_304000_NS6detail34convert_binary_result_type_wrapperINS9_3SumENS9_22TransformInputIteratorIb7NonZeroIaEPalEElEEEE10hipError_tPvRmT1_T2_T3_mT4_P12ihipStream_tbEUlT_E0_NS1_11comp_targetILNS1_3genE5ELNS1_11target_archE942ELNS1_3gpuE9ELNS1_3repE0EEENS1_30default_config_static_selectorELNS0_4arch9wavefront6targetE0EEEvSM_
                                        ; -- End function
	.section	.AMDGPU.csdata,"",@progbits
; Kernel info:
; codeLenInByte = 0
; NumSgprs: 0
; NumVgprs: 0
; ScratchSize: 0
; MemoryBound: 0
; FloatMode: 240
; IeeeMode: 1
; LDSByteSize: 0 bytes/workgroup (compile time only)
; SGPRBlocks: 0
; VGPRBlocks: 0
; NumSGPRsForWavesPerEU: 1
; NumVGPRsForWavesPerEU: 1
; Occupancy: 16
; WaveLimiterHint : 0
; COMPUTE_PGM_RSRC2:SCRATCH_EN: 0
; COMPUTE_PGM_RSRC2:USER_SGPR: 15
; COMPUTE_PGM_RSRC2:TRAP_HANDLER: 0
; COMPUTE_PGM_RSRC2:TGID_X_EN: 1
; COMPUTE_PGM_RSRC2:TGID_Y_EN: 0
; COMPUTE_PGM_RSRC2:TGID_Z_EN: 0
; COMPUTE_PGM_RSRC2:TIDIG_COMP_CNT: 0
	.section	.text._ZN7rocprim17ROCPRIM_400000_NS6detail17trampoline_kernelINS0_14default_configENS1_22reduce_config_selectorIlEEZNS1_11reduce_implILb1ES3_PlS7_lN6hipcub16HIPCUB_304000_NS6detail34convert_binary_result_type_wrapperINS9_3SumENS9_22TransformInputIteratorIb7NonZeroIaEPalEElEEEE10hipError_tPvRmT1_T2_T3_mT4_P12ihipStream_tbEUlT_E0_NS1_11comp_targetILNS1_3genE4ELNS1_11target_archE910ELNS1_3gpuE8ELNS1_3repE0EEENS1_30default_config_static_selectorELNS0_4arch9wavefront6targetE0EEEvSM_,"axG",@progbits,_ZN7rocprim17ROCPRIM_400000_NS6detail17trampoline_kernelINS0_14default_configENS1_22reduce_config_selectorIlEEZNS1_11reduce_implILb1ES3_PlS7_lN6hipcub16HIPCUB_304000_NS6detail34convert_binary_result_type_wrapperINS9_3SumENS9_22TransformInputIteratorIb7NonZeroIaEPalEElEEEE10hipError_tPvRmT1_T2_T3_mT4_P12ihipStream_tbEUlT_E0_NS1_11comp_targetILNS1_3genE4ELNS1_11target_archE910ELNS1_3gpuE8ELNS1_3repE0EEENS1_30default_config_static_selectorELNS0_4arch9wavefront6targetE0EEEvSM_,comdat
	.protected	_ZN7rocprim17ROCPRIM_400000_NS6detail17trampoline_kernelINS0_14default_configENS1_22reduce_config_selectorIlEEZNS1_11reduce_implILb1ES3_PlS7_lN6hipcub16HIPCUB_304000_NS6detail34convert_binary_result_type_wrapperINS9_3SumENS9_22TransformInputIteratorIb7NonZeroIaEPalEElEEEE10hipError_tPvRmT1_T2_T3_mT4_P12ihipStream_tbEUlT_E0_NS1_11comp_targetILNS1_3genE4ELNS1_11target_archE910ELNS1_3gpuE8ELNS1_3repE0EEENS1_30default_config_static_selectorELNS0_4arch9wavefront6targetE0EEEvSM_ ; -- Begin function _ZN7rocprim17ROCPRIM_400000_NS6detail17trampoline_kernelINS0_14default_configENS1_22reduce_config_selectorIlEEZNS1_11reduce_implILb1ES3_PlS7_lN6hipcub16HIPCUB_304000_NS6detail34convert_binary_result_type_wrapperINS9_3SumENS9_22TransformInputIteratorIb7NonZeroIaEPalEElEEEE10hipError_tPvRmT1_T2_T3_mT4_P12ihipStream_tbEUlT_E0_NS1_11comp_targetILNS1_3genE4ELNS1_11target_archE910ELNS1_3gpuE8ELNS1_3repE0EEENS1_30default_config_static_selectorELNS0_4arch9wavefront6targetE0EEEvSM_
	.globl	_ZN7rocprim17ROCPRIM_400000_NS6detail17trampoline_kernelINS0_14default_configENS1_22reduce_config_selectorIlEEZNS1_11reduce_implILb1ES3_PlS7_lN6hipcub16HIPCUB_304000_NS6detail34convert_binary_result_type_wrapperINS9_3SumENS9_22TransformInputIteratorIb7NonZeroIaEPalEElEEEE10hipError_tPvRmT1_T2_T3_mT4_P12ihipStream_tbEUlT_E0_NS1_11comp_targetILNS1_3genE4ELNS1_11target_archE910ELNS1_3gpuE8ELNS1_3repE0EEENS1_30default_config_static_selectorELNS0_4arch9wavefront6targetE0EEEvSM_
	.p2align	8
	.type	_ZN7rocprim17ROCPRIM_400000_NS6detail17trampoline_kernelINS0_14default_configENS1_22reduce_config_selectorIlEEZNS1_11reduce_implILb1ES3_PlS7_lN6hipcub16HIPCUB_304000_NS6detail34convert_binary_result_type_wrapperINS9_3SumENS9_22TransformInputIteratorIb7NonZeroIaEPalEElEEEE10hipError_tPvRmT1_T2_T3_mT4_P12ihipStream_tbEUlT_E0_NS1_11comp_targetILNS1_3genE4ELNS1_11target_archE910ELNS1_3gpuE8ELNS1_3repE0EEENS1_30default_config_static_selectorELNS0_4arch9wavefront6targetE0EEEvSM_,@function
_ZN7rocprim17ROCPRIM_400000_NS6detail17trampoline_kernelINS0_14default_configENS1_22reduce_config_selectorIlEEZNS1_11reduce_implILb1ES3_PlS7_lN6hipcub16HIPCUB_304000_NS6detail34convert_binary_result_type_wrapperINS9_3SumENS9_22TransformInputIteratorIb7NonZeroIaEPalEElEEEE10hipError_tPvRmT1_T2_T3_mT4_P12ihipStream_tbEUlT_E0_NS1_11comp_targetILNS1_3genE4ELNS1_11target_archE910ELNS1_3gpuE8ELNS1_3repE0EEENS1_30default_config_static_selectorELNS0_4arch9wavefront6targetE0EEEvSM_: ; @_ZN7rocprim17ROCPRIM_400000_NS6detail17trampoline_kernelINS0_14default_configENS1_22reduce_config_selectorIlEEZNS1_11reduce_implILb1ES3_PlS7_lN6hipcub16HIPCUB_304000_NS6detail34convert_binary_result_type_wrapperINS9_3SumENS9_22TransformInputIteratorIb7NonZeroIaEPalEElEEEE10hipError_tPvRmT1_T2_T3_mT4_P12ihipStream_tbEUlT_E0_NS1_11comp_targetILNS1_3genE4ELNS1_11target_archE910ELNS1_3gpuE8ELNS1_3repE0EEENS1_30default_config_static_selectorELNS0_4arch9wavefront6targetE0EEEvSM_
; %bb.0:
	.section	.rodata,"a",@progbits
	.p2align	6, 0x0
	.amdhsa_kernel _ZN7rocprim17ROCPRIM_400000_NS6detail17trampoline_kernelINS0_14default_configENS1_22reduce_config_selectorIlEEZNS1_11reduce_implILb1ES3_PlS7_lN6hipcub16HIPCUB_304000_NS6detail34convert_binary_result_type_wrapperINS9_3SumENS9_22TransformInputIteratorIb7NonZeroIaEPalEElEEEE10hipError_tPvRmT1_T2_T3_mT4_P12ihipStream_tbEUlT_E0_NS1_11comp_targetILNS1_3genE4ELNS1_11target_archE910ELNS1_3gpuE8ELNS1_3repE0EEENS1_30default_config_static_selectorELNS0_4arch9wavefront6targetE0EEEvSM_
		.amdhsa_group_segment_fixed_size 0
		.amdhsa_private_segment_fixed_size 0
		.amdhsa_kernarg_size 64
		.amdhsa_user_sgpr_count 15
		.amdhsa_user_sgpr_dispatch_ptr 0
		.amdhsa_user_sgpr_queue_ptr 0
		.amdhsa_user_sgpr_kernarg_segment_ptr 1
		.amdhsa_user_sgpr_dispatch_id 0
		.amdhsa_user_sgpr_private_segment_size 0
		.amdhsa_wavefront_size32 1
		.amdhsa_uses_dynamic_stack 0
		.amdhsa_enable_private_segment 0
		.amdhsa_system_sgpr_workgroup_id_x 1
		.amdhsa_system_sgpr_workgroup_id_y 0
		.amdhsa_system_sgpr_workgroup_id_z 0
		.amdhsa_system_sgpr_workgroup_info 0
		.amdhsa_system_vgpr_workitem_id 0
		.amdhsa_next_free_vgpr 1
		.amdhsa_next_free_sgpr 1
		.amdhsa_reserve_vcc 0
		.amdhsa_float_round_mode_32 0
		.amdhsa_float_round_mode_16_64 0
		.amdhsa_float_denorm_mode_32 3
		.amdhsa_float_denorm_mode_16_64 3
		.amdhsa_dx10_clamp 1
		.amdhsa_ieee_mode 1
		.amdhsa_fp16_overflow 0
		.amdhsa_workgroup_processor_mode 1
		.amdhsa_memory_ordered 1
		.amdhsa_forward_progress 0
		.amdhsa_shared_vgpr_count 0
		.amdhsa_exception_fp_ieee_invalid_op 0
		.amdhsa_exception_fp_denorm_src 0
		.amdhsa_exception_fp_ieee_div_zero 0
		.amdhsa_exception_fp_ieee_overflow 0
		.amdhsa_exception_fp_ieee_underflow 0
		.amdhsa_exception_fp_ieee_inexact 0
		.amdhsa_exception_int_div_zero 0
	.end_amdhsa_kernel
	.section	.text._ZN7rocprim17ROCPRIM_400000_NS6detail17trampoline_kernelINS0_14default_configENS1_22reduce_config_selectorIlEEZNS1_11reduce_implILb1ES3_PlS7_lN6hipcub16HIPCUB_304000_NS6detail34convert_binary_result_type_wrapperINS9_3SumENS9_22TransformInputIteratorIb7NonZeroIaEPalEElEEEE10hipError_tPvRmT1_T2_T3_mT4_P12ihipStream_tbEUlT_E0_NS1_11comp_targetILNS1_3genE4ELNS1_11target_archE910ELNS1_3gpuE8ELNS1_3repE0EEENS1_30default_config_static_selectorELNS0_4arch9wavefront6targetE0EEEvSM_,"axG",@progbits,_ZN7rocprim17ROCPRIM_400000_NS6detail17trampoline_kernelINS0_14default_configENS1_22reduce_config_selectorIlEEZNS1_11reduce_implILb1ES3_PlS7_lN6hipcub16HIPCUB_304000_NS6detail34convert_binary_result_type_wrapperINS9_3SumENS9_22TransformInputIteratorIb7NonZeroIaEPalEElEEEE10hipError_tPvRmT1_T2_T3_mT4_P12ihipStream_tbEUlT_E0_NS1_11comp_targetILNS1_3genE4ELNS1_11target_archE910ELNS1_3gpuE8ELNS1_3repE0EEENS1_30default_config_static_selectorELNS0_4arch9wavefront6targetE0EEEvSM_,comdat
.Lfunc_end2:
	.size	_ZN7rocprim17ROCPRIM_400000_NS6detail17trampoline_kernelINS0_14default_configENS1_22reduce_config_selectorIlEEZNS1_11reduce_implILb1ES3_PlS7_lN6hipcub16HIPCUB_304000_NS6detail34convert_binary_result_type_wrapperINS9_3SumENS9_22TransformInputIteratorIb7NonZeroIaEPalEElEEEE10hipError_tPvRmT1_T2_T3_mT4_P12ihipStream_tbEUlT_E0_NS1_11comp_targetILNS1_3genE4ELNS1_11target_archE910ELNS1_3gpuE8ELNS1_3repE0EEENS1_30default_config_static_selectorELNS0_4arch9wavefront6targetE0EEEvSM_, .Lfunc_end2-_ZN7rocprim17ROCPRIM_400000_NS6detail17trampoline_kernelINS0_14default_configENS1_22reduce_config_selectorIlEEZNS1_11reduce_implILb1ES3_PlS7_lN6hipcub16HIPCUB_304000_NS6detail34convert_binary_result_type_wrapperINS9_3SumENS9_22TransformInputIteratorIb7NonZeroIaEPalEElEEEE10hipError_tPvRmT1_T2_T3_mT4_P12ihipStream_tbEUlT_E0_NS1_11comp_targetILNS1_3genE4ELNS1_11target_archE910ELNS1_3gpuE8ELNS1_3repE0EEENS1_30default_config_static_selectorELNS0_4arch9wavefront6targetE0EEEvSM_
                                        ; -- End function
	.section	.AMDGPU.csdata,"",@progbits
; Kernel info:
; codeLenInByte = 0
; NumSgprs: 0
; NumVgprs: 0
; ScratchSize: 0
; MemoryBound: 0
; FloatMode: 240
; IeeeMode: 1
; LDSByteSize: 0 bytes/workgroup (compile time only)
; SGPRBlocks: 0
; VGPRBlocks: 0
; NumSGPRsForWavesPerEU: 1
; NumVGPRsForWavesPerEU: 1
; Occupancy: 16
; WaveLimiterHint : 0
; COMPUTE_PGM_RSRC2:SCRATCH_EN: 0
; COMPUTE_PGM_RSRC2:USER_SGPR: 15
; COMPUTE_PGM_RSRC2:TRAP_HANDLER: 0
; COMPUTE_PGM_RSRC2:TGID_X_EN: 1
; COMPUTE_PGM_RSRC2:TGID_Y_EN: 0
; COMPUTE_PGM_RSRC2:TGID_Z_EN: 0
; COMPUTE_PGM_RSRC2:TIDIG_COMP_CNT: 0
	.section	.text._ZN7rocprim17ROCPRIM_400000_NS6detail17trampoline_kernelINS0_14default_configENS1_22reduce_config_selectorIlEEZNS1_11reduce_implILb1ES3_PlS7_lN6hipcub16HIPCUB_304000_NS6detail34convert_binary_result_type_wrapperINS9_3SumENS9_22TransformInputIteratorIb7NonZeroIaEPalEElEEEE10hipError_tPvRmT1_T2_T3_mT4_P12ihipStream_tbEUlT_E0_NS1_11comp_targetILNS1_3genE3ELNS1_11target_archE908ELNS1_3gpuE7ELNS1_3repE0EEENS1_30default_config_static_selectorELNS0_4arch9wavefront6targetE0EEEvSM_,"axG",@progbits,_ZN7rocprim17ROCPRIM_400000_NS6detail17trampoline_kernelINS0_14default_configENS1_22reduce_config_selectorIlEEZNS1_11reduce_implILb1ES3_PlS7_lN6hipcub16HIPCUB_304000_NS6detail34convert_binary_result_type_wrapperINS9_3SumENS9_22TransformInputIteratorIb7NonZeroIaEPalEElEEEE10hipError_tPvRmT1_T2_T3_mT4_P12ihipStream_tbEUlT_E0_NS1_11comp_targetILNS1_3genE3ELNS1_11target_archE908ELNS1_3gpuE7ELNS1_3repE0EEENS1_30default_config_static_selectorELNS0_4arch9wavefront6targetE0EEEvSM_,comdat
	.protected	_ZN7rocprim17ROCPRIM_400000_NS6detail17trampoline_kernelINS0_14default_configENS1_22reduce_config_selectorIlEEZNS1_11reduce_implILb1ES3_PlS7_lN6hipcub16HIPCUB_304000_NS6detail34convert_binary_result_type_wrapperINS9_3SumENS9_22TransformInputIteratorIb7NonZeroIaEPalEElEEEE10hipError_tPvRmT1_T2_T3_mT4_P12ihipStream_tbEUlT_E0_NS1_11comp_targetILNS1_3genE3ELNS1_11target_archE908ELNS1_3gpuE7ELNS1_3repE0EEENS1_30default_config_static_selectorELNS0_4arch9wavefront6targetE0EEEvSM_ ; -- Begin function _ZN7rocprim17ROCPRIM_400000_NS6detail17trampoline_kernelINS0_14default_configENS1_22reduce_config_selectorIlEEZNS1_11reduce_implILb1ES3_PlS7_lN6hipcub16HIPCUB_304000_NS6detail34convert_binary_result_type_wrapperINS9_3SumENS9_22TransformInputIteratorIb7NonZeroIaEPalEElEEEE10hipError_tPvRmT1_T2_T3_mT4_P12ihipStream_tbEUlT_E0_NS1_11comp_targetILNS1_3genE3ELNS1_11target_archE908ELNS1_3gpuE7ELNS1_3repE0EEENS1_30default_config_static_selectorELNS0_4arch9wavefront6targetE0EEEvSM_
	.globl	_ZN7rocprim17ROCPRIM_400000_NS6detail17trampoline_kernelINS0_14default_configENS1_22reduce_config_selectorIlEEZNS1_11reduce_implILb1ES3_PlS7_lN6hipcub16HIPCUB_304000_NS6detail34convert_binary_result_type_wrapperINS9_3SumENS9_22TransformInputIteratorIb7NonZeroIaEPalEElEEEE10hipError_tPvRmT1_T2_T3_mT4_P12ihipStream_tbEUlT_E0_NS1_11comp_targetILNS1_3genE3ELNS1_11target_archE908ELNS1_3gpuE7ELNS1_3repE0EEENS1_30default_config_static_selectorELNS0_4arch9wavefront6targetE0EEEvSM_
	.p2align	8
	.type	_ZN7rocprim17ROCPRIM_400000_NS6detail17trampoline_kernelINS0_14default_configENS1_22reduce_config_selectorIlEEZNS1_11reduce_implILb1ES3_PlS7_lN6hipcub16HIPCUB_304000_NS6detail34convert_binary_result_type_wrapperINS9_3SumENS9_22TransformInputIteratorIb7NonZeroIaEPalEElEEEE10hipError_tPvRmT1_T2_T3_mT4_P12ihipStream_tbEUlT_E0_NS1_11comp_targetILNS1_3genE3ELNS1_11target_archE908ELNS1_3gpuE7ELNS1_3repE0EEENS1_30default_config_static_selectorELNS0_4arch9wavefront6targetE0EEEvSM_,@function
_ZN7rocprim17ROCPRIM_400000_NS6detail17trampoline_kernelINS0_14default_configENS1_22reduce_config_selectorIlEEZNS1_11reduce_implILb1ES3_PlS7_lN6hipcub16HIPCUB_304000_NS6detail34convert_binary_result_type_wrapperINS9_3SumENS9_22TransformInputIteratorIb7NonZeroIaEPalEElEEEE10hipError_tPvRmT1_T2_T3_mT4_P12ihipStream_tbEUlT_E0_NS1_11comp_targetILNS1_3genE3ELNS1_11target_archE908ELNS1_3gpuE7ELNS1_3repE0EEENS1_30default_config_static_selectorELNS0_4arch9wavefront6targetE0EEEvSM_: ; @_ZN7rocprim17ROCPRIM_400000_NS6detail17trampoline_kernelINS0_14default_configENS1_22reduce_config_selectorIlEEZNS1_11reduce_implILb1ES3_PlS7_lN6hipcub16HIPCUB_304000_NS6detail34convert_binary_result_type_wrapperINS9_3SumENS9_22TransformInputIteratorIb7NonZeroIaEPalEElEEEE10hipError_tPvRmT1_T2_T3_mT4_P12ihipStream_tbEUlT_E0_NS1_11comp_targetILNS1_3genE3ELNS1_11target_archE908ELNS1_3gpuE7ELNS1_3repE0EEENS1_30default_config_static_selectorELNS0_4arch9wavefront6targetE0EEEvSM_
; %bb.0:
	.section	.rodata,"a",@progbits
	.p2align	6, 0x0
	.amdhsa_kernel _ZN7rocprim17ROCPRIM_400000_NS6detail17trampoline_kernelINS0_14default_configENS1_22reduce_config_selectorIlEEZNS1_11reduce_implILb1ES3_PlS7_lN6hipcub16HIPCUB_304000_NS6detail34convert_binary_result_type_wrapperINS9_3SumENS9_22TransformInputIteratorIb7NonZeroIaEPalEElEEEE10hipError_tPvRmT1_T2_T3_mT4_P12ihipStream_tbEUlT_E0_NS1_11comp_targetILNS1_3genE3ELNS1_11target_archE908ELNS1_3gpuE7ELNS1_3repE0EEENS1_30default_config_static_selectorELNS0_4arch9wavefront6targetE0EEEvSM_
		.amdhsa_group_segment_fixed_size 0
		.amdhsa_private_segment_fixed_size 0
		.amdhsa_kernarg_size 64
		.amdhsa_user_sgpr_count 15
		.amdhsa_user_sgpr_dispatch_ptr 0
		.amdhsa_user_sgpr_queue_ptr 0
		.amdhsa_user_sgpr_kernarg_segment_ptr 1
		.amdhsa_user_sgpr_dispatch_id 0
		.amdhsa_user_sgpr_private_segment_size 0
		.amdhsa_wavefront_size32 1
		.amdhsa_uses_dynamic_stack 0
		.amdhsa_enable_private_segment 0
		.amdhsa_system_sgpr_workgroup_id_x 1
		.amdhsa_system_sgpr_workgroup_id_y 0
		.amdhsa_system_sgpr_workgroup_id_z 0
		.amdhsa_system_sgpr_workgroup_info 0
		.amdhsa_system_vgpr_workitem_id 0
		.amdhsa_next_free_vgpr 1
		.amdhsa_next_free_sgpr 1
		.amdhsa_reserve_vcc 0
		.amdhsa_float_round_mode_32 0
		.amdhsa_float_round_mode_16_64 0
		.amdhsa_float_denorm_mode_32 3
		.amdhsa_float_denorm_mode_16_64 3
		.amdhsa_dx10_clamp 1
		.amdhsa_ieee_mode 1
		.amdhsa_fp16_overflow 0
		.amdhsa_workgroup_processor_mode 1
		.amdhsa_memory_ordered 1
		.amdhsa_forward_progress 0
		.amdhsa_shared_vgpr_count 0
		.amdhsa_exception_fp_ieee_invalid_op 0
		.amdhsa_exception_fp_denorm_src 0
		.amdhsa_exception_fp_ieee_div_zero 0
		.amdhsa_exception_fp_ieee_overflow 0
		.amdhsa_exception_fp_ieee_underflow 0
		.amdhsa_exception_fp_ieee_inexact 0
		.amdhsa_exception_int_div_zero 0
	.end_amdhsa_kernel
	.section	.text._ZN7rocprim17ROCPRIM_400000_NS6detail17trampoline_kernelINS0_14default_configENS1_22reduce_config_selectorIlEEZNS1_11reduce_implILb1ES3_PlS7_lN6hipcub16HIPCUB_304000_NS6detail34convert_binary_result_type_wrapperINS9_3SumENS9_22TransformInputIteratorIb7NonZeroIaEPalEElEEEE10hipError_tPvRmT1_T2_T3_mT4_P12ihipStream_tbEUlT_E0_NS1_11comp_targetILNS1_3genE3ELNS1_11target_archE908ELNS1_3gpuE7ELNS1_3repE0EEENS1_30default_config_static_selectorELNS0_4arch9wavefront6targetE0EEEvSM_,"axG",@progbits,_ZN7rocprim17ROCPRIM_400000_NS6detail17trampoline_kernelINS0_14default_configENS1_22reduce_config_selectorIlEEZNS1_11reduce_implILb1ES3_PlS7_lN6hipcub16HIPCUB_304000_NS6detail34convert_binary_result_type_wrapperINS9_3SumENS9_22TransformInputIteratorIb7NonZeroIaEPalEElEEEE10hipError_tPvRmT1_T2_T3_mT4_P12ihipStream_tbEUlT_E0_NS1_11comp_targetILNS1_3genE3ELNS1_11target_archE908ELNS1_3gpuE7ELNS1_3repE0EEENS1_30default_config_static_selectorELNS0_4arch9wavefront6targetE0EEEvSM_,comdat
.Lfunc_end3:
	.size	_ZN7rocprim17ROCPRIM_400000_NS6detail17trampoline_kernelINS0_14default_configENS1_22reduce_config_selectorIlEEZNS1_11reduce_implILb1ES3_PlS7_lN6hipcub16HIPCUB_304000_NS6detail34convert_binary_result_type_wrapperINS9_3SumENS9_22TransformInputIteratorIb7NonZeroIaEPalEElEEEE10hipError_tPvRmT1_T2_T3_mT4_P12ihipStream_tbEUlT_E0_NS1_11comp_targetILNS1_3genE3ELNS1_11target_archE908ELNS1_3gpuE7ELNS1_3repE0EEENS1_30default_config_static_selectorELNS0_4arch9wavefront6targetE0EEEvSM_, .Lfunc_end3-_ZN7rocprim17ROCPRIM_400000_NS6detail17trampoline_kernelINS0_14default_configENS1_22reduce_config_selectorIlEEZNS1_11reduce_implILb1ES3_PlS7_lN6hipcub16HIPCUB_304000_NS6detail34convert_binary_result_type_wrapperINS9_3SumENS9_22TransformInputIteratorIb7NonZeroIaEPalEElEEEE10hipError_tPvRmT1_T2_T3_mT4_P12ihipStream_tbEUlT_E0_NS1_11comp_targetILNS1_3genE3ELNS1_11target_archE908ELNS1_3gpuE7ELNS1_3repE0EEENS1_30default_config_static_selectorELNS0_4arch9wavefront6targetE0EEEvSM_
                                        ; -- End function
	.section	.AMDGPU.csdata,"",@progbits
; Kernel info:
; codeLenInByte = 0
; NumSgprs: 0
; NumVgprs: 0
; ScratchSize: 0
; MemoryBound: 0
; FloatMode: 240
; IeeeMode: 1
; LDSByteSize: 0 bytes/workgroup (compile time only)
; SGPRBlocks: 0
; VGPRBlocks: 0
; NumSGPRsForWavesPerEU: 1
; NumVGPRsForWavesPerEU: 1
; Occupancy: 16
; WaveLimiterHint : 0
; COMPUTE_PGM_RSRC2:SCRATCH_EN: 0
; COMPUTE_PGM_RSRC2:USER_SGPR: 15
; COMPUTE_PGM_RSRC2:TRAP_HANDLER: 0
; COMPUTE_PGM_RSRC2:TGID_X_EN: 1
; COMPUTE_PGM_RSRC2:TGID_Y_EN: 0
; COMPUTE_PGM_RSRC2:TGID_Z_EN: 0
; COMPUTE_PGM_RSRC2:TIDIG_COMP_CNT: 0
	.section	.text._ZN7rocprim17ROCPRIM_400000_NS6detail17trampoline_kernelINS0_14default_configENS1_22reduce_config_selectorIlEEZNS1_11reduce_implILb1ES3_PlS7_lN6hipcub16HIPCUB_304000_NS6detail34convert_binary_result_type_wrapperINS9_3SumENS9_22TransformInputIteratorIb7NonZeroIaEPalEElEEEE10hipError_tPvRmT1_T2_T3_mT4_P12ihipStream_tbEUlT_E0_NS1_11comp_targetILNS1_3genE2ELNS1_11target_archE906ELNS1_3gpuE6ELNS1_3repE0EEENS1_30default_config_static_selectorELNS0_4arch9wavefront6targetE0EEEvSM_,"axG",@progbits,_ZN7rocprim17ROCPRIM_400000_NS6detail17trampoline_kernelINS0_14default_configENS1_22reduce_config_selectorIlEEZNS1_11reduce_implILb1ES3_PlS7_lN6hipcub16HIPCUB_304000_NS6detail34convert_binary_result_type_wrapperINS9_3SumENS9_22TransformInputIteratorIb7NonZeroIaEPalEElEEEE10hipError_tPvRmT1_T2_T3_mT4_P12ihipStream_tbEUlT_E0_NS1_11comp_targetILNS1_3genE2ELNS1_11target_archE906ELNS1_3gpuE6ELNS1_3repE0EEENS1_30default_config_static_selectorELNS0_4arch9wavefront6targetE0EEEvSM_,comdat
	.protected	_ZN7rocprim17ROCPRIM_400000_NS6detail17trampoline_kernelINS0_14default_configENS1_22reduce_config_selectorIlEEZNS1_11reduce_implILb1ES3_PlS7_lN6hipcub16HIPCUB_304000_NS6detail34convert_binary_result_type_wrapperINS9_3SumENS9_22TransformInputIteratorIb7NonZeroIaEPalEElEEEE10hipError_tPvRmT1_T2_T3_mT4_P12ihipStream_tbEUlT_E0_NS1_11comp_targetILNS1_3genE2ELNS1_11target_archE906ELNS1_3gpuE6ELNS1_3repE0EEENS1_30default_config_static_selectorELNS0_4arch9wavefront6targetE0EEEvSM_ ; -- Begin function _ZN7rocprim17ROCPRIM_400000_NS6detail17trampoline_kernelINS0_14default_configENS1_22reduce_config_selectorIlEEZNS1_11reduce_implILb1ES3_PlS7_lN6hipcub16HIPCUB_304000_NS6detail34convert_binary_result_type_wrapperINS9_3SumENS9_22TransformInputIteratorIb7NonZeroIaEPalEElEEEE10hipError_tPvRmT1_T2_T3_mT4_P12ihipStream_tbEUlT_E0_NS1_11comp_targetILNS1_3genE2ELNS1_11target_archE906ELNS1_3gpuE6ELNS1_3repE0EEENS1_30default_config_static_selectorELNS0_4arch9wavefront6targetE0EEEvSM_
	.globl	_ZN7rocprim17ROCPRIM_400000_NS6detail17trampoline_kernelINS0_14default_configENS1_22reduce_config_selectorIlEEZNS1_11reduce_implILb1ES3_PlS7_lN6hipcub16HIPCUB_304000_NS6detail34convert_binary_result_type_wrapperINS9_3SumENS9_22TransformInputIteratorIb7NonZeroIaEPalEElEEEE10hipError_tPvRmT1_T2_T3_mT4_P12ihipStream_tbEUlT_E0_NS1_11comp_targetILNS1_3genE2ELNS1_11target_archE906ELNS1_3gpuE6ELNS1_3repE0EEENS1_30default_config_static_selectorELNS0_4arch9wavefront6targetE0EEEvSM_
	.p2align	8
	.type	_ZN7rocprim17ROCPRIM_400000_NS6detail17trampoline_kernelINS0_14default_configENS1_22reduce_config_selectorIlEEZNS1_11reduce_implILb1ES3_PlS7_lN6hipcub16HIPCUB_304000_NS6detail34convert_binary_result_type_wrapperINS9_3SumENS9_22TransformInputIteratorIb7NonZeroIaEPalEElEEEE10hipError_tPvRmT1_T2_T3_mT4_P12ihipStream_tbEUlT_E0_NS1_11comp_targetILNS1_3genE2ELNS1_11target_archE906ELNS1_3gpuE6ELNS1_3repE0EEENS1_30default_config_static_selectorELNS0_4arch9wavefront6targetE0EEEvSM_,@function
_ZN7rocprim17ROCPRIM_400000_NS6detail17trampoline_kernelINS0_14default_configENS1_22reduce_config_selectorIlEEZNS1_11reduce_implILb1ES3_PlS7_lN6hipcub16HIPCUB_304000_NS6detail34convert_binary_result_type_wrapperINS9_3SumENS9_22TransformInputIteratorIb7NonZeroIaEPalEElEEEE10hipError_tPvRmT1_T2_T3_mT4_P12ihipStream_tbEUlT_E0_NS1_11comp_targetILNS1_3genE2ELNS1_11target_archE906ELNS1_3gpuE6ELNS1_3repE0EEENS1_30default_config_static_selectorELNS0_4arch9wavefront6targetE0EEEvSM_: ; @_ZN7rocprim17ROCPRIM_400000_NS6detail17trampoline_kernelINS0_14default_configENS1_22reduce_config_selectorIlEEZNS1_11reduce_implILb1ES3_PlS7_lN6hipcub16HIPCUB_304000_NS6detail34convert_binary_result_type_wrapperINS9_3SumENS9_22TransformInputIteratorIb7NonZeroIaEPalEElEEEE10hipError_tPvRmT1_T2_T3_mT4_P12ihipStream_tbEUlT_E0_NS1_11comp_targetILNS1_3genE2ELNS1_11target_archE906ELNS1_3gpuE6ELNS1_3repE0EEENS1_30default_config_static_selectorELNS0_4arch9wavefront6targetE0EEEvSM_
; %bb.0:
	.section	.rodata,"a",@progbits
	.p2align	6, 0x0
	.amdhsa_kernel _ZN7rocprim17ROCPRIM_400000_NS6detail17trampoline_kernelINS0_14default_configENS1_22reduce_config_selectorIlEEZNS1_11reduce_implILb1ES3_PlS7_lN6hipcub16HIPCUB_304000_NS6detail34convert_binary_result_type_wrapperINS9_3SumENS9_22TransformInputIteratorIb7NonZeroIaEPalEElEEEE10hipError_tPvRmT1_T2_T3_mT4_P12ihipStream_tbEUlT_E0_NS1_11comp_targetILNS1_3genE2ELNS1_11target_archE906ELNS1_3gpuE6ELNS1_3repE0EEENS1_30default_config_static_selectorELNS0_4arch9wavefront6targetE0EEEvSM_
		.amdhsa_group_segment_fixed_size 0
		.amdhsa_private_segment_fixed_size 0
		.amdhsa_kernarg_size 64
		.amdhsa_user_sgpr_count 15
		.amdhsa_user_sgpr_dispatch_ptr 0
		.amdhsa_user_sgpr_queue_ptr 0
		.amdhsa_user_sgpr_kernarg_segment_ptr 1
		.amdhsa_user_sgpr_dispatch_id 0
		.amdhsa_user_sgpr_private_segment_size 0
		.amdhsa_wavefront_size32 1
		.amdhsa_uses_dynamic_stack 0
		.amdhsa_enable_private_segment 0
		.amdhsa_system_sgpr_workgroup_id_x 1
		.amdhsa_system_sgpr_workgroup_id_y 0
		.amdhsa_system_sgpr_workgroup_id_z 0
		.amdhsa_system_sgpr_workgroup_info 0
		.amdhsa_system_vgpr_workitem_id 0
		.amdhsa_next_free_vgpr 1
		.amdhsa_next_free_sgpr 1
		.amdhsa_reserve_vcc 0
		.amdhsa_float_round_mode_32 0
		.amdhsa_float_round_mode_16_64 0
		.amdhsa_float_denorm_mode_32 3
		.amdhsa_float_denorm_mode_16_64 3
		.amdhsa_dx10_clamp 1
		.amdhsa_ieee_mode 1
		.amdhsa_fp16_overflow 0
		.amdhsa_workgroup_processor_mode 1
		.amdhsa_memory_ordered 1
		.amdhsa_forward_progress 0
		.amdhsa_shared_vgpr_count 0
		.amdhsa_exception_fp_ieee_invalid_op 0
		.amdhsa_exception_fp_denorm_src 0
		.amdhsa_exception_fp_ieee_div_zero 0
		.amdhsa_exception_fp_ieee_overflow 0
		.amdhsa_exception_fp_ieee_underflow 0
		.amdhsa_exception_fp_ieee_inexact 0
		.amdhsa_exception_int_div_zero 0
	.end_amdhsa_kernel
	.section	.text._ZN7rocprim17ROCPRIM_400000_NS6detail17trampoline_kernelINS0_14default_configENS1_22reduce_config_selectorIlEEZNS1_11reduce_implILb1ES3_PlS7_lN6hipcub16HIPCUB_304000_NS6detail34convert_binary_result_type_wrapperINS9_3SumENS9_22TransformInputIteratorIb7NonZeroIaEPalEElEEEE10hipError_tPvRmT1_T2_T3_mT4_P12ihipStream_tbEUlT_E0_NS1_11comp_targetILNS1_3genE2ELNS1_11target_archE906ELNS1_3gpuE6ELNS1_3repE0EEENS1_30default_config_static_selectorELNS0_4arch9wavefront6targetE0EEEvSM_,"axG",@progbits,_ZN7rocprim17ROCPRIM_400000_NS6detail17trampoline_kernelINS0_14default_configENS1_22reduce_config_selectorIlEEZNS1_11reduce_implILb1ES3_PlS7_lN6hipcub16HIPCUB_304000_NS6detail34convert_binary_result_type_wrapperINS9_3SumENS9_22TransformInputIteratorIb7NonZeroIaEPalEElEEEE10hipError_tPvRmT1_T2_T3_mT4_P12ihipStream_tbEUlT_E0_NS1_11comp_targetILNS1_3genE2ELNS1_11target_archE906ELNS1_3gpuE6ELNS1_3repE0EEENS1_30default_config_static_selectorELNS0_4arch9wavefront6targetE0EEEvSM_,comdat
.Lfunc_end4:
	.size	_ZN7rocprim17ROCPRIM_400000_NS6detail17trampoline_kernelINS0_14default_configENS1_22reduce_config_selectorIlEEZNS1_11reduce_implILb1ES3_PlS7_lN6hipcub16HIPCUB_304000_NS6detail34convert_binary_result_type_wrapperINS9_3SumENS9_22TransformInputIteratorIb7NonZeroIaEPalEElEEEE10hipError_tPvRmT1_T2_T3_mT4_P12ihipStream_tbEUlT_E0_NS1_11comp_targetILNS1_3genE2ELNS1_11target_archE906ELNS1_3gpuE6ELNS1_3repE0EEENS1_30default_config_static_selectorELNS0_4arch9wavefront6targetE0EEEvSM_, .Lfunc_end4-_ZN7rocprim17ROCPRIM_400000_NS6detail17trampoline_kernelINS0_14default_configENS1_22reduce_config_selectorIlEEZNS1_11reduce_implILb1ES3_PlS7_lN6hipcub16HIPCUB_304000_NS6detail34convert_binary_result_type_wrapperINS9_3SumENS9_22TransformInputIteratorIb7NonZeroIaEPalEElEEEE10hipError_tPvRmT1_T2_T3_mT4_P12ihipStream_tbEUlT_E0_NS1_11comp_targetILNS1_3genE2ELNS1_11target_archE906ELNS1_3gpuE6ELNS1_3repE0EEENS1_30default_config_static_selectorELNS0_4arch9wavefront6targetE0EEEvSM_
                                        ; -- End function
	.section	.AMDGPU.csdata,"",@progbits
; Kernel info:
; codeLenInByte = 0
; NumSgprs: 0
; NumVgprs: 0
; ScratchSize: 0
; MemoryBound: 0
; FloatMode: 240
; IeeeMode: 1
; LDSByteSize: 0 bytes/workgroup (compile time only)
; SGPRBlocks: 0
; VGPRBlocks: 0
; NumSGPRsForWavesPerEU: 1
; NumVGPRsForWavesPerEU: 1
; Occupancy: 16
; WaveLimiterHint : 0
; COMPUTE_PGM_RSRC2:SCRATCH_EN: 0
; COMPUTE_PGM_RSRC2:USER_SGPR: 15
; COMPUTE_PGM_RSRC2:TRAP_HANDLER: 0
; COMPUTE_PGM_RSRC2:TGID_X_EN: 1
; COMPUTE_PGM_RSRC2:TGID_Y_EN: 0
; COMPUTE_PGM_RSRC2:TGID_Z_EN: 0
; COMPUTE_PGM_RSRC2:TIDIG_COMP_CNT: 0
	.section	.text._ZN7rocprim17ROCPRIM_400000_NS6detail17trampoline_kernelINS0_14default_configENS1_22reduce_config_selectorIlEEZNS1_11reduce_implILb1ES3_PlS7_lN6hipcub16HIPCUB_304000_NS6detail34convert_binary_result_type_wrapperINS9_3SumENS9_22TransformInputIteratorIb7NonZeroIaEPalEElEEEE10hipError_tPvRmT1_T2_T3_mT4_P12ihipStream_tbEUlT_E0_NS1_11comp_targetILNS1_3genE10ELNS1_11target_archE1201ELNS1_3gpuE5ELNS1_3repE0EEENS1_30default_config_static_selectorELNS0_4arch9wavefront6targetE0EEEvSM_,"axG",@progbits,_ZN7rocprim17ROCPRIM_400000_NS6detail17trampoline_kernelINS0_14default_configENS1_22reduce_config_selectorIlEEZNS1_11reduce_implILb1ES3_PlS7_lN6hipcub16HIPCUB_304000_NS6detail34convert_binary_result_type_wrapperINS9_3SumENS9_22TransformInputIteratorIb7NonZeroIaEPalEElEEEE10hipError_tPvRmT1_T2_T3_mT4_P12ihipStream_tbEUlT_E0_NS1_11comp_targetILNS1_3genE10ELNS1_11target_archE1201ELNS1_3gpuE5ELNS1_3repE0EEENS1_30default_config_static_selectorELNS0_4arch9wavefront6targetE0EEEvSM_,comdat
	.protected	_ZN7rocprim17ROCPRIM_400000_NS6detail17trampoline_kernelINS0_14default_configENS1_22reduce_config_selectorIlEEZNS1_11reduce_implILb1ES3_PlS7_lN6hipcub16HIPCUB_304000_NS6detail34convert_binary_result_type_wrapperINS9_3SumENS9_22TransformInputIteratorIb7NonZeroIaEPalEElEEEE10hipError_tPvRmT1_T2_T3_mT4_P12ihipStream_tbEUlT_E0_NS1_11comp_targetILNS1_3genE10ELNS1_11target_archE1201ELNS1_3gpuE5ELNS1_3repE0EEENS1_30default_config_static_selectorELNS0_4arch9wavefront6targetE0EEEvSM_ ; -- Begin function _ZN7rocprim17ROCPRIM_400000_NS6detail17trampoline_kernelINS0_14default_configENS1_22reduce_config_selectorIlEEZNS1_11reduce_implILb1ES3_PlS7_lN6hipcub16HIPCUB_304000_NS6detail34convert_binary_result_type_wrapperINS9_3SumENS9_22TransformInputIteratorIb7NonZeroIaEPalEElEEEE10hipError_tPvRmT1_T2_T3_mT4_P12ihipStream_tbEUlT_E0_NS1_11comp_targetILNS1_3genE10ELNS1_11target_archE1201ELNS1_3gpuE5ELNS1_3repE0EEENS1_30default_config_static_selectorELNS0_4arch9wavefront6targetE0EEEvSM_
	.globl	_ZN7rocprim17ROCPRIM_400000_NS6detail17trampoline_kernelINS0_14default_configENS1_22reduce_config_selectorIlEEZNS1_11reduce_implILb1ES3_PlS7_lN6hipcub16HIPCUB_304000_NS6detail34convert_binary_result_type_wrapperINS9_3SumENS9_22TransformInputIteratorIb7NonZeroIaEPalEElEEEE10hipError_tPvRmT1_T2_T3_mT4_P12ihipStream_tbEUlT_E0_NS1_11comp_targetILNS1_3genE10ELNS1_11target_archE1201ELNS1_3gpuE5ELNS1_3repE0EEENS1_30default_config_static_selectorELNS0_4arch9wavefront6targetE0EEEvSM_
	.p2align	8
	.type	_ZN7rocprim17ROCPRIM_400000_NS6detail17trampoline_kernelINS0_14default_configENS1_22reduce_config_selectorIlEEZNS1_11reduce_implILb1ES3_PlS7_lN6hipcub16HIPCUB_304000_NS6detail34convert_binary_result_type_wrapperINS9_3SumENS9_22TransformInputIteratorIb7NonZeroIaEPalEElEEEE10hipError_tPvRmT1_T2_T3_mT4_P12ihipStream_tbEUlT_E0_NS1_11comp_targetILNS1_3genE10ELNS1_11target_archE1201ELNS1_3gpuE5ELNS1_3repE0EEENS1_30default_config_static_selectorELNS0_4arch9wavefront6targetE0EEEvSM_,@function
_ZN7rocprim17ROCPRIM_400000_NS6detail17trampoline_kernelINS0_14default_configENS1_22reduce_config_selectorIlEEZNS1_11reduce_implILb1ES3_PlS7_lN6hipcub16HIPCUB_304000_NS6detail34convert_binary_result_type_wrapperINS9_3SumENS9_22TransformInputIteratorIb7NonZeroIaEPalEElEEEE10hipError_tPvRmT1_T2_T3_mT4_P12ihipStream_tbEUlT_E0_NS1_11comp_targetILNS1_3genE10ELNS1_11target_archE1201ELNS1_3gpuE5ELNS1_3repE0EEENS1_30default_config_static_selectorELNS0_4arch9wavefront6targetE0EEEvSM_: ; @_ZN7rocprim17ROCPRIM_400000_NS6detail17trampoline_kernelINS0_14default_configENS1_22reduce_config_selectorIlEEZNS1_11reduce_implILb1ES3_PlS7_lN6hipcub16HIPCUB_304000_NS6detail34convert_binary_result_type_wrapperINS9_3SumENS9_22TransformInputIteratorIb7NonZeroIaEPalEElEEEE10hipError_tPvRmT1_T2_T3_mT4_P12ihipStream_tbEUlT_E0_NS1_11comp_targetILNS1_3genE10ELNS1_11target_archE1201ELNS1_3gpuE5ELNS1_3repE0EEENS1_30default_config_static_selectorELNS0_4arch9wavefront6targetE0EEEvSM_
; %bb.0:
	.section	.rodata,"a",@progbits
	.p2align	6, 0x0
	.amdhsa_kernel _ZN7rocprim17ROCPRIM_400000_NS6detail17trampoline_kernelINS0_14default_configENS1_22reduce_config_selectorIlEEZNS1_11reduce_implILb1ES3_PlS7_lN6hipcub16HIPCUB_304000_NS6detail34convert_binary_result_type_wrapperINS9_3SumENS9_22TransformInputIteratorIb7NonZeroIaEPalEElEEEE10hipError_tPvRmT1_T2_T3_mT4_P12ihipStream_tbEUlT_E0_NS1_11comp_targetILNS1_3genE10ELNS1_11target_archE1201ELNS1_3gpuE5ELNS1_3repE0EEENS1_30default_config_static_selectorELNS0_4arch9wavefront6targetE0EEEvSM_
		.amdhsa_group_segment_fixed_size 0
		.amdhsa_private_segment_fixed_size 0
		.amdhsa_kernarg_size 64
		.amdhsa_user_sgpr_count 15
		.amdhsa_user_sgpr_dispatch_ptr 0
		.amdhsa_user_sgpr_queue_ptr 0
		.amdhsa_user_sgpr_kernarg_segment_ptr 1
		.amdhsa_user_sgpr_dispatch_id 0
		.amdhsa_user_sgpr_private_segment_size 0
		.amdhsa_wavefront_size32 1
		.amdhsa_uses_dynamic_stack 0
		.amdhsa_enable_private_segment 0
		.amdhsa_system_sgpr_workgroup_id_x 1
		.amdhsa_system_sgpr_workgroup_id_y 0
		.amdhsa_system_sgpr_workgroup_id_z 0
		.amdhsa_system_sgpr_workgroup_info 0
		.amdhsa_system_vgpr_workitem_id 0
		.amdhsa_next_free_vgpr 1
		.amdhsa_next_free_sgpr 1
		.amdhsa_reserve_vcc 0
		.amdhsa_float_round_mode_32 0
		.amdhsa_float_round_mode_16_64 0
		.amdhsa_float_denorm_mode_32 3
		.amdhsa_float_denorm_mode_16_64 3
		.amdhsa_dx10_clamp 1
		.amdhsa_ieee_mode 1
		.amdhsa_fp16_overflow 0
		.amdhsa_workgroup_processor_mode 1
		.amdhsa_memory_ordered 1
		.amdhsa_forward_progress 0
		.amdhsa_shared_vgpr_count 0
		.amdhsa_exception_fp_ieee_invalid_op 0
		.amdhsa_exception_fp_denorm_src 0
		.amdhsa_exception_fp_ieee_div_zero 0
		.amdhsa_exception_fp_ieee_overflow 0
		.amdhsa_exception_fp_ieee_underflow 0
		.amdhsa_exception_fp_ieee_inexact 0
		.amdhsa_exception_int_div_zero 0
	.end_amdhsa_kernel
	.section	.text._ZN7rocprim17ROCPRIM_400000_NS6detail17trampoline_kernelINS0_14default_configENS1_22reduce_config_selectorIlEEZNS1_11reduce_implILb1ES3_PlS7_lN6hipcub16HIPCUB_304000_NS6detail34convert_binary_result_type_wrapperINS9_3SumENS9_22TransformInputIteratorIb7NonZeroIaEPalEElEEEE10hipError_tPvRmT1_T2_T3_mT4_P12ihipStream_tbEUlT_E0_NS1_11comp_targetILNS1_3genE10ELNS1_11target_archE1201ELNS1_3gpuE5ELNS1_3repE0EEENS1_30default_config_static_selectorELNS0_4arch9wavefront6targetE0EEEvSM_,"axG",@progbits,_ZN7rocprim17ROCPRIM_400000_NS6detail17trampoline_kernelINS0_14default_configENS1_22reduce_config_selectorIlEEZNS1_11reduce_implILb1ES3_PlS7_lN6hipcub16HIPCUB_304000_NS6detail34convert_binary_result_type_wrapperINS9_3SumENS9_22TransformInputIteratorIb7NonZeroIaEPalEElEEEE10hipError_tPvRmT1_T2_T3_mT4_P12ihipStream_tbEUlT_E0_NS1_11comp_targetILNS1_3genE10ELNS1_11target_archE1201ELNS1_3gpuE5ELNS1_3repE0EEENS1_30default_config_static_selectorELNS0_4arch9wavefront6targetE0EEEvSM_,comdat
.Lfunc_end5:
	.size	_ZN7rocprim17ROCPRIM_400000_NS6detail17trampoline_kernelINS0_14default_configENS1_22reduce_config_selectorIlEEZNS1_11reduce_implILb1ES3_PlS7_lN6hipcub16HIPCUB_304000_NS6detail34convert_binary_result_type_wrapperINS9_3SumENS9_22TransformInputIteratorIb7NonZeroIaEPalEElEEEE10hipError_tPvRmT1_T2_T3_mT4_P12ihipStream_tbEUlT_E0_NS1_11comp_targetILNS1_3genE10ELNS1_11target_archE1201ELNS1_3gpuE5ELNS1_3repE0EEENS1_30default_config_static_selectorELNS0_4arch9wavefront6targetE0EEEvSM_, .Lfunc_end5-_ZN7rocprim17ROCPRIM_400000_NS6detail17trampoline_kernelINS0_14default_configENS1_22reduce_config_selectorIlEEZNS1_11reduce_implILb1ES3_PlS7_lN6hipcub16HIPCUB_304000_NS6detail34convert_binary_result_type_wrapperINS9_3SumENS9_22TransformInputIteratorIb7NonZeroIaEPalEElEEEE10hipError_tPvRmT1_T2_T3_mT4_P12ihipStream_tbEUlT_E0_NS1_11comp_targetILNS1_3genE10ELNS1_11target_archE1201ELNS1_3gpuE5ELNS1_3repE0EEENS1_30default_config_static_selectorELNS0_4arch9wavefront6targetE0EEEvSM_
                                        ; -- End function
	.section	.AMDGPU.csdata,"",@progbits
; Kernel info:
; codeLenInByte = 0
; NumSgprs: 0
; NumVgprs: 0
; ScratchSize: 0
; MemoryBound: 0
; FloatMode: 240
; IeeeMode: 1
; LDSByteSize: 0 bytes/workgroup (compile time only)
; SGPRBlocks: 0
; VGPRBlocks: 0
; NumSGPRsForWavesPerEU: 1
; NumVGPRsForWavesPerEU: 1
; Occupancy: 16
; WaveLimiterHint : 0
; COMPUTE_PGM_RSRC2:SCRATCH_EN: 0
; COMPUTE_PGM_RSRC2:USER_SGPR: 15
; COMPUTE_PGM_RSRC2:TRAP_HANDLER: 0
; COMPUTE_PGM_RSRC2:TGID_X_EN: 1
; COMPUTE_PGM_RSRC2:TGID_Y_EN: 0
; COMPUTE_PGM_RSRC2:TGID_Z_EN: 0
; COMPUTE_PGM_RSRC2:TIDIG_COMP_CNT: 0
	.section	.text._ZN7rocprim17ROCPRIM_400000_NS6detail17trampoline_kernelINS0_14default_configENS1_22reduce_config_selectorIlEEZNS1_11reduce_implILb1ES3_PlS7_lN6hipcub16HIPCUB_304000_NS6detail34convert_binary_result_type_wrapperINS9_3SumENS9_22TransformInputIteratorIb7NonZeroIaEPalEElEEEE10hipError_tPvRmT1_T2_T3_mT4_P12ihipStream_tbEUlT_E0_NS1_11comp_targetILNS1_3genE10ELNS1_11target_archE1200ELNS1_3gpuE4ELNS1_3repE0EEENS1_30default_config_static_selectorELNS0_4arch9wavefront6targetE0EEEvSM_,"axG",@progbits,_ZN7rocprim17ROCPRIM_400000_NS6detail17trampoline_kernelINS0_14default_configENS1_22reduce_config_selectorIlEEZNS1_11reduce_implILb1ES3_PlS7_lN6hipcub16HIPCUB_304000_NS6detail34convert_binary_result_type_wrapperINS9_3SumENS9_22TransformInputIteratorIb7NonZeroIaEPalEElEEEE10hipError_tPvRmT1_T2_T3_mT4_P12ihipStream_tbEUlT_E0_NS1_11comp_targetILNS1_3genE10ELNS1_11target_archE1200ELNS1_3gpuE4ELNS1_3repE0EEENS1_30default_config_static_selectorELNS0_4arch9wavefront6targetE0EEEvSM_,comdat
	.protected	_ZN7rocprim17ROCPRIM_400000_NS6detail17trampoline_kernelINS0_14default_configENS1_22reduce_config_selectorIlEEZNS1_11reduce_implILb1ES3_PlS7_lN6hipcub16HIPCUB_304000_NS6detail34convert_binary_result_type_wrapperINS9_3SumENS9_22TransformInputIteratorIb7NonZeroIaEPalEElEEEE10hipError_tPvRmT1_T2_T3_mT4_P12ihipStream_tbEUlT_E0_NS1_11comp_targetILNS1_3genE10ELNS1_11target_archE1200ELNS1_3gpuE4ELNS1_3repE0EEENS1_30default_config_static_selectorELNS0_4arch9wavefront6targetE0EEEvSM_ ; -- Begin function _ZN7rocprim17ROCPRIM_400000_NS6detail17trampoline_kernelINS0_14default_configENS1_22reduce_config_selectorIlEEZNS1_11reduce_implILb1ES3_PlS7_lN6hipcub16HIPCUB_304000_NS6detail34convert_binary_result_type_wrapperINS9_3SumENS9_22TransformInputIteratorIb7NonZeroIaEPalEElEEEE10hipError_tPvRmT1_T2_T3_mT4_P12ihipStream_tbEUlT_E0_NS1_11comp_targetILNS1_3genE10ELNS1_11target_archE1200ELNS1_3gpuE4ELNS1_3repE0EEENS1_30default_config_static_selectorELNS0_4arch9wavefront6targetE0EEEvSM_
	.globl	_ZN7rocprim17ROCPRIM_400000_NS6detail17trampoline_kernelINS0_14default_configENS1_22reduce_config_selectorIlEEZNS1_11reduce_implILb1ES3_PlS7_lN6hipcub16HIPCUB_304000_NS6detail34convert_binary_result_type_wrapperINS9_3SumENS9_22TransformInputIteratorIb7NonZeroIaEPalEElEEEE10hipError_tPvRmT1_T2_T3_mT4_P12ihipStream_tbEUlT_E0_NS1_11comp_targetILNS1_3genE10ELNS1_11target_archE1200ELNS1_3gpuE4ELNS1_3repE0EEENS1_30default_config_static_selectorELNS0_4arch9wavefront6targetE0EEEvSM_
	.p2align	8
	.type	_ZN7rocprim17ROCPRIM_400000_NS6detail17trampoline_kernelINS0_14default_configENS1_22reduce_config_selectorIlEEZNS1_11reduce_implILb1ES3_PlS7_lN6hipcub16HIPCUB_304000_NS6detail34convert_binary_result_type_wrapperINS9_3SumENS9_22TransformInputIteratorIb7NonZeroIaEPalEElEEEE10hipError_tPvRmT1_T2_T3_mT4_P12ihipStream_tbEUlT_E0_NS1_11comp_targetILNS1_3genE10ELNS1_11target_archE1200ELNS1_3gpuE4ELNS1_3repE0EEENS1_30default_config_static_selectorELNS0_4arch9wavefront6targetE0EEEvSM_,@function
_ZN7rocprim17ROCPRIM_400000_NS6detail17trampoline_kernelINS0_14default_configENS1_22reduce_config_selectorIlEEZNS1_11reduce_implILb1ES3_PlS7_lN6hipcub16HIPCUB_304000_NS6detail34convert_binary_result_type_wrapperINS9_3SumENS9_22TransformInputIteratorIb7NonZeroIaEPalEElEEEE10hipError_tPvRmT1_T2_T3_mT4_P12ihipStream_tbEUlT_E0_NS1_11comp_targetILNS1_3genE10ELNS1_11target_archE1200ELNS1_3gpuE4ELNS1_3repE0EEENS1_30default_config_static_selectorELNS0_4arch9wavefront6targetE0EEEvSM_: ; @_ZN7rocprim17ROCPRIM_400000_NS6detail17trampoline_kernelINS0_14default_configENS1_22reduce_config_selectorIlEEZNS1_11reduce_implILb1ES3_PlS7_lN6hipcub16HIPCUB_304000_NS6detail34convert_binary_result_type_wrapperINS9_3SumENS9_22TransformInputIteratorIb7NonZeroIaEPalEElEEEE10hipError_tPvRmT1_T2_T3_mT4_P12ihipStream_tbEUlT_E0_NS1_11comp_targetILNS1_3genE10ELNS1_11target_archE1200ELNS1_3gpuE4ELNS1_3repE0EEENS1_30default_config_static_selectorELNS0_4arch9wavefront6targetE0EEEvSM_
; %bb.0:
	.section	.rodata,"a",@progbits
	.p2align	6, 0x0
	.amdhsa_kernel _ZN7rocprim17ROCPRIM_400000_NS6detail17trampoline_kernelINS0_14default_configENS1_22reduce_config_selectorIlEEZNS1_11reduce_implILb1ES3_PlS7_lN6hipcub16HIPCUB_304000_NS6detail34convert_binary_result_type_wrapperINS9_3SumENS9_22TransformInputIteratorIb7NonZeroIaEPalEElEEEE10hipError_tPvRmT1_T2_T3_mT4_P12ihipStream_tbEUlT_E0_NS1_11comp_targetILNS1_3genE10ELNS1_11target_archE1200ELNS1_3gpuE4ELNS1_3repE0EEENS1_30default_config_static_selectorELNS0_4arch9wavefront6targetE0EEEvSM_
		.amdhsa_group_segment_fixed_size 0
		.amdhsa_private_segment_fixed_size 0
		.amdhsa_kernarg_size 64
		.amdhsa_user_sgpr_count 15
		.amdhsa_user_sgpr_dispatch_ptr 0
		.amdhsa_user_sgpr_queue_ptr 0
		.amdhsa_user_sgpr_kernarg_segment_ptr 1
		.amdhsa_user_sgpr_dispatch_id 0
		.amdhsa_user_sgpr_private_segment_size 0
		.amdhsa_wavefront_size32 1
		.amdhsa_uses_dynamic_stack 0
		.amdhsa_enable_private_segment 0
		.amdhsa_system_sgpr_workgroup_id_x 1
		.amdhsa_system_sgpr_workgroup_id_y 0
		.amdhsa_system_sgpr_workgroup_id_z 0
		.amdhsa_system_sgpr_workgroup_info 0
		.amdhsa_system_vgpr_workitem_id 0
		.amdhsa_next_free_vgpr 1
		.amdhsa_next_free_sgpr 1
		.amdhsa_reserve_vcc 0
		.amdhsa_float_round_mode_32 0
		.amdhsa_float_round_mode_16_64 0
		.amdhsa_float_denorm_mode_32 3
		.amdhsa_float_denorm_mode_16_64 3
		.amdhsa_dx10_clamp 1
		.amdhsa_ieee_mode 1
		.amdhsa_fp16_overflow 0
		.amdhsa_workgroup_processor_mode 1
		.amdhsa_memory_ordered 1
		.amdhsa_forward_progress 0
		.amdhsa_shared_vgpr_count 0
		.amdhsa_exception_fp_ieee_invalid_op 0
		.amdhsa_exception_fp_denorm_src 0
		.amdhsa_exception_fp_ieee_div_zero 0
		.amdhsa_exception_fp_ieee_overflow 0
		.amdhsa_exception_fp_ieee_underflow 0
		.amdhsa_exception_fp_ieee_inexact 0
		.amdhsa_exception_int_div_zero 0
	.end_amdhsa_kernel
	.section	.text._ZN7rocprim17ROCPRIM_400000_NS6detail17trampoline_kernelINS0_14default_configENS1_22reduce_config_selectorIlEEZNS1_11reduce_implILb1ES3_PlS7_lN6hipcub16HIPCUB_304000_NS6detail34convert_binary_result_type_wrapperINS9_3SumENS9_22TransformInputIteratorIb7NonZeroIaEPalEElEEEE10hipError_tPvRmT1_T2_T3_mT4_P12ihipStream_tbEUlT_E0_NS1_11comp_targetILNS1_3genE10ELNS1_11target_archE1200ELNS1_3gpuE4ELNS1_3repE0EEENS1_30default_config_static_selectorELNS0_4arch9wavefront6targetE0EEEvSM_,"axG",@progbits,_ZN7rocprim17ROCPRIM_400000_NS6detail17trampoline_kernelINS0_14default_configENS1_22reduce_config_selectorIlEEZNS1_11reduce_implILb1ES3_PlS7_lN6hipcub16HIPCUB_304000_NS6detail34convert_binary_result_type_wrapperINS9_3SumENS9_22TransformInputIteratorIb7NonZeroIaEPalEElEEEE10hipError_tPvRmT1_T2_T3_mT4_P12ihipStream_tbEUlT_E0_NS1_11comp_targetILNS1_3genE10ELNS1_11target_archE1200ELNS1_3gpuE4ELNS1_3repE0EEENS1_30default_config_static_selectorELNS0_4arch9wavefront6targetE0EEEvSM_,comdat
.Lfunc_end6:
	.size	_ZN7rocprim17ROCPRIM_400000_NS6detail17trampoline_kernelINS0_14default_configENS1_22reduce_config_selectorIlEEZNS1_11reduce_implILb1ES3_PlS7_lN6hipcub16HIPCUB_304000_NS6detail34convert_binary_result_type_wrapperINS9_3SumENS9_22TransformInputIteratorIb7NonZeroIaEPalEElEEEE10hipError_tPvRmT1_T2_T3_mT4_P12ihipStream_tbEUlT_E0_NS1_11comp_targetILNS1_3genE10ELNS1_11target_archE1200ELNS1_3gpuE4ELNS1_3repE0EEENS1_30default_config_static_selectorELNS0_4arch9wavefront6targetE0EEEvSM_, .Lfunc_end6-_ZN7rocprim17ROCPRIM_400000_NS6detail17trampoline_kernelINS0_14default_configENS1_22reduce_config_selectorIlEEZNS1_11reduce_implILb1ES3_PlS7_lN6hipcub16HIPCUB_304000_NS6detail34convert_binary_result_type_wrapperINS9_3SumENS9_22TransformInputIteratorIb7NonZeroIaEPalEElEEEE10hipError_tPvRmT1_T2_T3_mT4_P12ihipStream_tbEUlT_E0_NS1_11comp_targetILNS1_3genE10ELNS1_11target_archE1200ELNS1_3gpuE4ELNS1_3repE0EEENS1_30default_config_static_selectorELNS0_4arch9wavefront6targetE0EEEvSM_
                                        ; -- End function
	.section	.AMDGPU.csdata,"",@progbits
; Kernel info:
; codeLenInByte = 0
; NumSgprs: 0
; NumVgprs: 0
; ScratchSize: 0
; MemoryBound: 0
; FloatMode: 240
; IeeeMode: 1
; LDSByteSize: 0 bytes/workgroup (compile time only)
; SGPRBlocks: 0
; VGPRBlocks: 0
; NumSGPRsForWavesPerEU: 1
; NumVGPRsForWavesPerEU: 1
; Occupancy: 16
; WaveLimiterHint : 0
; COMPUTE_PGM_RSRC2:SCRATCH_EN: 0
; COMPUTE_PGM_RSRC2:USER_SGPR: 15
; COMPUTE_PGM_RSRC2:TRAP_HANDLER: 0
; COMPUTE_PGM_RSRC2:TGID_X_EN: 1
; COMPUTE_PGM_RSRC2:TGID_Y_EN: 0
; COMPUTE_PGM_RSRC2:TGID_Z_EN: 0
; COMPUTE_PGM_RSRC2:TIDIG_COMP_CNT: 0
	.section	.text._ZN7rocprim17ROCPRIM_400000_NS6detail17trampoline_kernelINS0_14default_configENS1_22reduce_config_selectorIlEEZNS1_11reduce_implILb1ES3_PlS7_lN6hipcub16HIPCUB_304000_NS6detail34convert_binary_result_type_wrapperINS9_3SumENS9_22TransformInputIteratorIb7NonZeroIaEPalEElEEEE10hipError_tPvRmT1_T2_T3_mT4_P12ihipStream_tbEUlT_E0_NS1_11comp_targetILNS1_3genE9ELNS1_11target_archE1100ELNS1_3gpuE3ELNS1_3repE0EEENS1_30default_config_static_selectorELNS0_4arch9wavefront6targetE0EEEvSM_,"axG",@progbits,_ZN7rocprim17ROCPRIM_400000_NS6detail17trampoline_kernelINS0_14default_configENS1_22reduce_config_selectorIlEEZNS1_11reduce_implILb1ES3_PlS7_lN6hipcub16HIPCUB_304000_NS6detail34convert_binary_result_type_wrapperINS9_3SumENS9_22TransformInputIteratorIb7NonZeroIaEPalEElEEEE10hipError_tPvRmT1_T2_T3_mT4_P12ihipStream_tbEUlT_E0_NS1_11comp_targetILNS1_3genE9ELNS1_11target_archE1100ELNS1_3gpuE3ELNS1_3repE0EEENS1_30default_config_static_selectorELNS0_4arch9wavefront6targetE0EEEvSM_,comdat
	.protected	_ZN7rocprim17ROCPRIM_400000_NS6detail17trampoline_kernelINS0_14default_configENS1_22reduce_config_selectorIlEEZNS1_11reduce_implILb1ES3_PlS7_lN6hipcub16HIPCUB_304000_NS6detail34convert_binary_result_type_wrapperINS9_3SumENS9_22TransformInputIteratorIb7NonZeroIaEPalEElEEEE10hipError_tPvRmT1_T2_T3_mT4_P12ihipStream_tbEUlT_E0_NS1_11comp_targetILNS1_3genE9ELNS1_11target_archE1100ELNS1_3gpuE3ELNS1_3repE0EEENS1_30default_config_static_selectorELNS0_4arch9wavefront6targetE0EEEvSM_ ; -- Begin function _ZN7rocprim17ROCPRIM_400000_NS6detail17trampoline_kernelINS0_14default_configENS1_22reduce_config_selectorIlEEZNS1_11reduce_implILb1ES3_PlS7_lN6hipcub16HIPCUB_304000_NS6detail34convert_binary_result_type_wrapperINS9_3SumENS9_22TransformInputIteratorIb7NonZeroIaEPalEElEEEE10hipError_tPvRmT1_T2_T3_mT4_P12ihipStream_tbEUlT_E0_NS1_11comp_targetILNS1_3genE9ELNS1_11target_archE1100ELNS1_3gpuE3ELNS1_3repE0EEENS1_30default_config_static_selectorELNS0_4arch9wavefront6targetE0EEEvSM_
	.globl	_ZN7rocprim17ROCPRIM_400000_NS6detail17trampoline_kernelINS0_14default_configENS1_22reduce_config_selectorIlEEZNS1_11reduce_implILb1ES3_PlS7_lN6hipcub16HIPCUB_304000_NS6detail34convert_binary_result_type_wrapperINS9_3SumENS9_22TransformInputIteratorIb7NonZeroIaEPalEElEEEE10hipError_tPvRmT1_T2_T3_mT4_P12ihipStream_tbEUlT_E0_NS1_11comp_targetILNS1_3genE9ELNS1_11target_archE1100ELNS1_3gpuE3ELNS1_3repE0EEENS1_30default_config_static_selectorELNS0_4arch9wavefront6targetE0EEEvSM_
	.p2align	8
	.type	_ZN7rocprim17ROCPRIM_400000_NS6detail17trampoline_kernelINS0_14default_configENS1_22reduce_config_selectorIlEEZNS1_11reduce_implILb1ES3_PlS7_lN6hipcub16HIPCUB_304000_NS6detail34convert_binary_result_type_wrapperINS9_3SumENS9_22TransformInputIteratorIb7NonZeroIaEPalEElEEEE10hipError_tPvRmT1_T2_T3_mT4_P12ihipStream_tbEUlT_E0_NS1_11comp_targetILNS1_3genE9ELNS1_11target_archE1100ELNS1_3gpuE3ELNS1_3repE0EEENS1_30default_config_static_selectorELNS0_4arch9wavefront6targetE0EEEvSM_,@function
_ZN7rocprim17ROCPRIM_400000_NS6detail17trampoline_kernelINS0_14default_configENS1_22reduce_config_selectorIlEEZNS1_11reduce_implILb1ES3_PlS7_lN6hipcub16HIPCUB_304000_NS6detail34convert_binary_result_type_wrapperINS9_3SumENS9_22TransformInputIteratorIb7NonZeroIaEPalEElEEEE10hipError_tPvRmT1_T2_T3_mT4_P12ihipStream_tbEUlT_E0_NS1_11comp_targetILNS1_3genE9ELNS1_11target_archE1100ELNS1_3gpuE3ELNS1_3repE0EEENS1_30default_config_static_selectorELNS0_4arch9wavefront6targetE0EEEvSM_: ; @_ZN7rocprim17ROCPRIM_400000_NS6detail17trampoline_kernelINS0_14default_configENS1_22reduce_config_selectorIlEEZNS1_11reduce_implILb1ES3_PlS7_lN6hipcub16HIPCUB_304000_NS6detail34convert_binary_result_type_wrapperINS9_3SumENS9_22TransformInputIteratorIb7NonZeroIaEPalEElEEEE10hipError_tPvRmT1_T2_T3_mT4_P12ihipStream_tbEUlT_E0_NS1_11comp_targetILNS1_3genE9ELNS1_11target_archE1100ELNS1_3gpuE3ELNS1_3repE0EEENS1_30default_config_static_selectorELNS0_4arch9wavefront6targetE0EEEvSM_
; %bb.0:
	s_mov_b32 s2, s15
	s_clause 0x2
	s_load_b256 s[4:11], s[0:1], 0x0
	s_load_b128 s[12:15], s[0:1], 0x20
	s_load_b64 s[16:17], s[0:1], 0x30
	s_mov_b32 s1, 0
	v_lshlrev_b32_e32 v10, 3, v0
	v_mbcnt_lo_u32_b32 v9, -1, 0
	s_mov_b32 s3, s1
	s_waitcnt lgkmcnt(0)
	s_lshl_b64 s[6:7], s[6:7], 3
	s_delay_alu instid0(SALU_CYCLE_1) | instskip(SKIP_4) | instid1(SALU_CYCLE_1)
	s_add_u32 s18, s4, s6
	s_addc_u32 s19, s5, s7
	s_lshl_b32 s0, s2, 10
	s_lshr_b64 s[6:7], s[8:9], 10
	s_lshl_b64 s[4:5], s[0:1], 3
	s_add_u32 s4, s18, s4
	s_addc_u32 s5, s19, s5
	s_cmp_lg_u64 s[6:7], s[2:3]
	s_cbranch_scc0 .LBB7_6
; %bb.1:
	v_add_co_u32 v3, s1, s4, v10
	s_delay_alu instid0(VALU_DEP_1)
	v_add_co_ci_u32_e64 v4, null, s5, 0, s1
	global_load_b64 v[1:2], v10, s[4:5] offset:2048
	v_add_co_u32 v3, vcc_lo, 0x1000, v3
	v_add_co_ci_u32_e32 v4, vcc_lo, 0, v4, vcc_lo
	s_mov_b32 s1, exec_lo
	s_clause 0x2
	global_load_b64 v[5:6], v10, s[4:5]
	global_load_b64 v[7:8], v[3:4], off
	global_load_b64 v[3:4], v[3:4], off offset:2048
	s_waitcnt vmcnt(2)
	v_add_co_u32 v1, vcc_lo, v1, v5
	v_add_co_ci_u32_e32 v2, vcc_lo, v2, v6, vcc_lo
	s_waitcnt vmcnt(1)
	s_delay_alu instid0(VALU_DEP_2) | instskip(NEXT) | instid1(VALU_DEP_2)
	v_add_co_u32 v1, vcc_lo, v1, v7
	v_add_co_ci_u32_e32 v2, vcc_lo, v2, v8, vcc_lo
	s_waitcnt vmcnt(0)
	s_delay_alu instid0(VALU_DEP_2) | instskip(NEXT) | instid1(VALU_DEP_2)
	v_add_co_u32 v1, vcc_lo, v1, v3
	v_add_co_ci_u32_e32 v2, vcc_lo, v2, v4, vcc_lo
	s_delay_alu instid0(VALU_DEP_2) | instskip(NEXT) | instid1(VALU_DEP_1)
	v_mov_b32_dpp v3, v1 quad_perm:[1,0,3,2] row_mask:0xf bank_mask:0xf
	v_add_co_u32 v1, vcc_lo, v1, v3
	s_delay_alu instid0(VALU_DEP_3) | instskip(SKIP_1) | instid1(VALU_DEP_3)
	v_mov_b32_dpp v3, v2 quad_perm:[1,0,3,2] row_mask:0xf bank_mask:0xf
	v_add_co_ci_u32_e32 v2, vcc_lo, 0, v2, vcc_lo
	v_mov_b32_dpp v4, v1 quad_perm:[2,3,0,1] row_mask:0xf bank_mask:0xf
	v_add_co_u32 v1, vcc_lo, 0, v1
	s_delay_alu instid0(VALU_DEP_3) | instskip(NEXT) | instid1(VALU_DEP_2)
	v_add_co_ci_u32_e32 v2, vcc_lo, v3, v2, vcc_lo
	v_add_co_u32 v1, vcc_lo, v1, v4
	s_delay_alu instid0(VALU_DEP_2) | instskip(SKIP_1) | instid1(VALU_DEP_3)
	v_mov_b32_dpp v3, v2 quad_perm:[2,3,0,1] row_mask:0xf bank_mask:0xf
	v_add_co_ci_u32_e32 v2, vcc_lo, 0, v2, vcc_lo
	v_mov_b32_dpp v4, v1 row_ror:4 row_mask:0xf bank_mask:0xf
	v_add_co_u32 v1, vcc_lo, v1, 0
	s_delay_alu instid0(VALU_DEP_3) | instskip(NEXT) | instid1(VALU_DEP_2)
	v_add_co_ci_u32_e32 v2, vcc_lo, v2, v3, vcc_lo
	v_add_co_u32 v1, vcc_lo, v1, v4
	s_delay_alu instid0(VALU_DEP_2) | instskip(SKIP_1) | instid1(VALU_DEP_3)
	v_mov_b32_dpp v3, v2 row_ror:4 row_mask:0xf bank_mask:0xf
	v_add_co_ci_u32_e32 v2, vcc_lo, 0, v2, vcc_lo
	v_mov_b32_dpp v4, v1 row_ror:8 row_mask:0xf bank_mask:0xf
	v_add_co_u32 v1, vcc_lo, v1, 0
	s_delay_alu instid0(VALU_DEP_3) | instskip(NEXT) | instid1(VALU_DEP_2)
	v_add_co_ci_u32_e32 v2, vcc_lo, v2, v3, vcc_lo
	v_add_co_u32 v1, vcc_lo, v1, v4
	s_delay_alu instid0(VALU_DEP_2)
	v_mov_b32_dpp v3, v2 row_ror:8 row_mask:0xf bank_mask:0xf
	v_add_co_ci_u32_e32 v2, vcc_lo, 0, v2, vcc_lo
	ds_swizzle_b32 v4, v1 offset:swizzle(BROADCAST,32,15)
	v_add_co_u32 v1, vcc_lo, v1, 0
	v_add_co_ci_u32_e32 v2, vcc_lo, v2, v3, vcc_lo
	ds_swizzle_b32 v3, v2 offset:swizzle(BROADCAST,32,15)
	s_waitcnt lgkmcnt(1)
	v_add_co_u32 v1, vcc_lo, v1, v4
	v_add_co_ci_u32_e32 v2, vcc_lo, 0, v2, vcc_lo
	v_mov_b32_e32 v4, 0
	s_waitcnt lgkmcnt(0)
	s_delay_alu instid0(VALU_DEP_2)
	v_add_nc_u32_e32 v2, v3, v2
	ds_bpermute_b32 v1, v4, v1 offset:124
	ds_bpermute_b32 v2, v4, v2 offset:124
	v_cmpx_eq_u32_e32 0, v9
	s_cbranch_execz .LBB7_3
; %bb.2:
	v_lshrrev_b32_e32 v3, 2, v0
	s_delay_alu instid0(VALU_DEP_1)
	v_and_b32_e32 v3, 56, v3
	s_waitcnt lgkmcnt(0)
	ds_store_b64 v3, v[1:2]
.LBB7_3:
	s_or_b32 exec_lo, exec_lo, s1
	s_delay_alu instid0(SALU_CYCLE_1)
	s_mov_b32 s1, exec_lo
	s_waitcnt lgkmcnt(0)
	s_barrier
	buffer_gl0_inv
	v_cmpx_gt_u32_e32 32, v0
	s_cbranch_execz .LBB7_5
; %bb.4:
	v_and_b32_e32 v3, 7, v9
	s_delay_alu instid0(VALU_DEP_1) | instskip(SKIP_4) | instid1(VALU_DEP_2)
	v_lshlrev_b32_e32 v1, 3, v3
	v_cmp_ne_u32_e32 vcc_lo, 7, v3
	ds_load_b64 v[1:2], v1
	v_add_co_ci_u32_e32 v4, vcc_lo, 0, v9, vcc_lo
	v_cmp_gt_u32_e32 vcc_lo, 6, v3
	v_lshlrev_b32_e32 v4, 2, v4
	v_cndmask_b32_e64 v6, 0, 1, vcc_lo
	s_delay_alu instid0(VALU_DEP_1) | instskip(NEXT) | instid1(VALU_DEP_1)
	v_lshlrev_b32_e32 v6, 1, v6
	v_add_lshl_u32 v6, v6, v9, 2
	s_waitcnt lgkmcnt(0)
	ds_bpermute_b32 v5, v4, v1
	ds_bpermute_b32 v4, v4, v2
	s_waitcnt lgkmcnt(1)
	v_add_co_u32 v1, vcc_lo, v1, v5
	v_add_co_ci_u32_e32 v2, vcc_lo, 0, v2, vcc_lo
	ds_bpermute_b32 v5, v6, v1
	v_add_co_u32 v1, vcc_lo, 0, v1
	s_waitcnt lgkmcnt(1)
	v_add_co_ci_u32_e32 v2, vcc_lo, v4, v2, vcc_lo
	v_cmp_gt_u32_e32 vcc_lo, 4, v3
	ds_bpermute_b32 v4, v6, v2
	v_cndmask_b32_e64 v3, 0, 1, vcc_lo
	s_delay_alu instid0(VALU_DEP_1) | instskip(NEXT) | instid1(VALU_DEP_1)
	v_lshlrev_b32_e32 v3, 2, v3
	v_add_lshl_u32 v3, v3, v9, 2
	s_waitcnt lgkmcnt(1)
	v_add_co_u32 v1, vcc_lo, v1, v5
	v_add_co_ci_u32_e32 v2, vcc_lo, 0, v2, vcc_lo
	ds_bpermute_b32 v5, v3, v1
	v_add_co_u32 v1, vcc_lo, v1, 0
	s_waitcnt lgkmcnt(1)
	v_add_co_ci_u32_e32 v2, vcc_lo, v2, v4, vcc_lo
	ds_bpermute_b32 v3, v3, v2
	s_waitcnt lgkmcnt(1)
	v_add_co_u32 v1, vcc_lo, v1, v5
	v_add_co_ci_u32_e32 v2, vcc_lo, 0, v2, vcc_lo
	s_delay_alu instid0(VALU_DEP_2) | instskip(SKIP_1) | instid1(VALU_DEP_2)
	v_add_co_u32 v1, vcc_lo, v1, 0
	s_waitcnt lgkmcnt(0)
	v_add_co_ci_u32_e32 v2, vcc_lo, v2, v3, vcc_lo
.LBB7_5:
	s_or_b32 exec_lo, exec_lo, s1
	s_branch .LBB7_36
.LBB7_6:
                                        ; implicit-def: $vgpr1_vgpr2
	s_cbranch_execz .LBB7_36
; %bb.7:
	s_sub_i32 s6, s8, s0
	s_mov_b32 s0, exec_lo
                                        ; implicit-def: $vgpr1_vgpr2_vgpr3_vgpr4_vgpr5_vgpr6_vgpr7_vgpr8
	v_cmpx_gt_u32_e64 s6, v0
	s_cbranch_execz .LBB7_9
; %bb.8:
	global_load_b64 v[1:2], v10, s[4:5]
.LBB7_9:
	s_or_b32 exec_lo, exec_lo, s0
	v_or_b32_e32 v11, 0x100, v0
	s_delay_alu instid0(VALU_DEP_1)
	v_cmp_gt_u32_e32 vcc_lo, s6, v11
	s_and_saveexec_b32 s0, vcc_lo
	s_cbranch_execz .LBB7_11
; %bb.10:
	global_load_b64 v[3:4], v10, s[4:5] offset:2048
.LBB7_11:
	s_or_b32 exec_lo, exec_lo, s0
	v_or_b32_e32 v10, 0x200, v0
	s_delay_alu instid0(VALU_DEP_1) | instskip(NEXT) | instid1(VALU_DEP_1)
	v_cmp_gt_u32_e64 s0, s6, v10
	s_and_saveexec_b32 s1, s0
	s_cbranch_execz .LBB7_13
; %bb.12:
	v_lshlrev_b32_e32 v5, 3, v10
	global_load_b64 v[5:6], v5, s[4:5]
.LBB7_13:
	s_or_b32 exec_lo, exec_lo, s1
	v_or_b32_e32 v10, 0x300, v0
	s_delay_alu instid0(VALU_DEP_1) | instskip(NEXT) | instid1(VALU_DEP_1)
	v_cmp_gt_u32_e64 s1, s6, v10
	s_and_saveexec_b32 s7, s1
	s_cbranch_execz .LBB7_15
; %bb.14:
	v_lshlrev_b32_e32 v7, 3, v10
	global_load_b64 v[7:8], v7, s[4:5]
.LBB7_15:
	s_or_b32 exec_lo, exec_lo, s7
	s_waitcnt vmcnt(0)
	v_dual_cndmask_b32 v3, 0, v3 :: v_dual_cndmask_b32 v4, 0, v4
	s_delay_alu instid0(VALU_DEP_1) | instskip(NEXT) | instid1(VALU_DEP_2)
	v_add_co_u32 v1, vcc_lo, v3, v1
	v_add_co_ci_u32_e32 v2, vcc_lo, v4, v2, vcc_lo
	v_cmp_ne_u32_e32 vcc_lo, 31, v9
	v_cndmask_b32_e64 v4, 0, v5, s0
	v_cndmask_b32_e64 v3, 0, v6, s0
	v_cndmask_b32_e64 v5, 0, v7, s1
	s_min_u32 s0, s6, 0x100
	v_add_co_ci_u32_e32 v6, vcc_lo, 0, v9, vcc_lo
	v_add_co_u32 v1, vcc_lo, v1, v4
	v_add_co_ci_u32_e32 v2, vcc_lo, v2, v3, vcc_lo
	v_cndmask_b32_e64 v3, 0, v8, s1
	s_delay_alu instid0(VALU_DEP_3) | instskip(SKIP_1) | instid1(VALU_DEP_3)
	v_add_co_u32 v1, vcc_lo, v1, v5
	v_lshlrev_b32_e32 v4, 2, v6
	v_add_co_ci_u32_e32 v2, vcc_lo, v2, v3, vcc_lo
	v_and_b32_e32 v3, 0xe0, v0
	ds_bpermute_b32 v6, v4, v1
	ds_bpermute_b32 v5, v4, v2
	v_add_nc_u32_e32 v4, 1, v9
	v_sub_nc_u32_e64 v3, s0, v3 clamp
	s_delay_alu instid0(VALU_DEP_1)
	v_cmp_lt_u32_e32 vcc_lo, v4, v3
	v_mov_b32_e32 v4, v1
	s_and_saveexec_b32 s1, vcc_lo
	s_cbranch_execz .LBB7_17
; %bb.16:
	s_waitcnt lgkmcnt(1)
	v_add_co_u32 v4, vcc_lo, v1, v6
	v_add_co_ci_u32_e32 v2, vcc_lo, 0, v2, vcc_lo
	s_delay_alu instid0(VALU_DEP_2) | instskip(SKIP_1) | instid1(VALU_DEP_2)
	v_add_co_u32 v1, vcc_lo, v4, 0
	s_waitcnt lgkmcnt(0)
	v_add_co_ci_u32_e32 v2, vcc_lo, v2, v5, vcc_lo
.LBB7_17:
	s_or_b32 exec_lo, exec_lo, s1
	v_cmp_gt_u32_e32 vcc_lo, 30, v9
	v_add_nc_u32_e32 v7, 2, v9
	s_mov_b32 s1, exec_lo
	s_waitcnt lgkmcnt(0)
	v_cndmask_b32_e64 v5, 0, 1, vcc_lo
	s_delay_alu instid0(VALU_DEP_1) | instskip(NEXT) | instid1(VALU_DEP_1)
	v_lshlrev_b32_e32 v5, 1, v5
	v_add_lshl_u32 v5, v5, v9, 2
	ds_bpermute_b32 v6, v5, v4
	ds_bpermute_b32 v5, v5, v2
	v_cmpx_lt_u32_e64 v7, v3
	s_cbranch_execz .LBB7_19
; %bb.18:
	s_waitcnt lgkmcnt(1)
	v_add_co_u32 v4, vcc_lo, v1, v6
	v_add_co_ci_u32_e32 v2, vcc_lo, 0, v2, vcc_lo
	s_delay_alu instid0(VALU_DEP_2) | instskip(SKIP_1) | instid1(VALU_DEP_2)
	v_add_co_u32 v1, vcc_lo, 0, v4
	s_waitcnt lgkmcnt(0)
	v_add_co_ci_u32_e32 v2, vcc_lo, v5, v2, vcc_lo
.LBB7_19:
	s_or_b32 exec_lo, exec_lo, s1
	v_cmp_gt_u32_e32 vcc_lo, 28, v9
	v_add_nc_u32_e32 v7, 4, v9
	s_mov_b32 s1, exec_lo
	s_waitcnt lgkmcnt(0)
	v_cndmask_b32_e64 v5, 0, 1, vcc_lo
	s_delay_alu instid0(VALU_DEP_1) | instskip(NEXT) | instid1(VALU_DEP_1)
	v_lshlrev_b32_e32 v5, 2, v5
	v_add_lshl_u32 v5, v5, v9, 2
	ds_bpermute_b32 v6, v5, v4
	ds_bpermute_b32 v5, v5, v2
	v_cmpx_lt_u32_e64 v7, v3
	;; [unrolled: 22-line block ×3, first 2 shown]
	s_cbranch_execz .LBB7_23
; %bb.22:
	s_waitcnt lgkmcnt(1)
	v_add_co_u32 v4, vcc_lo, v1, v6
	v_add_co_ci_u32_e32 v2, vcc_lo, 0, v2, vcc_lo
	s_delay_alu instid0(VALU_DEP_2) | instskip(SKIP_1) | instid1(VALU_DEP_2)
	v_add_co_u32 v1, vcc_lo, 0, v4
	s_waitcnt lgkmcnt(0)
	v_add_co_ci_u32_e32 v2, vcc_lo, v5, v2, vcc_lo
.LBB7_23:
	s_or_b32 exec_lo, exec_lo, s1
	v_cmp_gt_u32_e32 vcc_lo, 16, v9
	s_mov_b32 s1, exec_lo
	s_waitcnt lgkmcnt(0)
	v_cndmask_b32_e64 v5, 0, 1, vcc_lo
	s_delay_alu instid0(VALU_DEP_1) | instskip(NEXT) | instid1(VALU_DEP_1)
	v_lshlrev_b32_e32 v5, 4, v5
	v_add_lshl_u32 v6, v5, v9, 2
	ds_bpermute_b32 v5, v6, v4
	ds_bpermute_b32 v4, v6, v2
	v_add_nc_u32_e32 v6, 16, v9
	s_delay_alu instid0(VALU_DEP_1)
	v_cmpx_lt_u32_e64 v6, v3
	s_cbranch_execz .LBB7_25
; %bb.24:
	s_waitcnt lgkmcnt(1)
	v_add_co_u32 v1, vcc_lo, v1, v5
	v_add_co_ci_u32_e32 v2, vcc_lo, 0, v2, vcc_lo
	s_delay_alu instid0(VALU_DEP_2) | instskip(SKIP_1) | instid1(VALU_DEP_2)
	v_add_co_u32 v1, vcc_lo, v1, 0
	s_waitcnt lgkmcnt(0)
	v_add_co_ci_u32_e32 v2, vcc_lo, v2, v4, vcc_lo
.LBB7_25:
	s_or_b32 exec_lo, exec_lo, s1
	s_delay_alu instid0(SALU_CYCLE_1)
	s_mov_b32 s1, exec_lo
	v_cmpx_eq_u32_e32 0, v9
	s_cbranch_execz .LBB7_27
; %bb.26:
	v_lshrrev_b32_e32 v3, 2, v0
	s_delay_alu instid0(VALU_DEP_1)
	v_and_b32_e32 v3, 56, v3
	ds_store_b64 v3, v[1:2] offset:64
.LBB7_27:
	s_or_b32 exec_lo, exec_lo, s1
	s_delay_alu instid0(SALU_CYCLE_1)
	s_mov_b32 s1, exec_lo
	s_waitcnt lgkmcnt(0)
	s_barrier
	buffer_gl0_inv
	v_cmpx_gt_u32_e32 8, v0
	s_cbranch_execz .LBB7_35
; %bb.28:
	v_lshlrev_b32_e32 v1, 3, v9
	s_add_i32 s0, s0, 31
	s_delay_alu instid0(SALU_CYCLE_1) | instskip(SKIP_2) | instid1(VALU_DEP_1)
	s_lshr_b32 s0, s0, 5
	ds_load_b64 v[1:2], v1 offset:64
	v_and_b32_e32 v3, 7, v9
	v_cmp_ne_u32_e32 vcc_lo, 7, v3
	v_add_co_ci_u32_e32 v4, vcc_lo, 0, v9, vcc_lo
	s_delay_alu instid0(VALU_DEP_1) | instskip(SKIP_4) | instid1(VALU_DEP_1)
	v_lshlrev_b32_e32 v4, 2, v4
	s_waitcnt lgkmcnt(0)
	ds_bpermute_b32 v6, v4, v1
	ds_bpermute_b32 v5, v4, v2
	v_add_nc_u32_e32 v4, 1, v3
	v_cmp_gt_u32_e32 vcc_lo, s0, v4
	v_mov_b32_e32 v4, v1
	s_and_saveexec_b32 s4, vcc_lo
	s_cbranch_execz .LBB7_30
; %bb.29:
	s_waitcnt lgkmcnt(1)
	v_add_co_u32 v4, vcc_lo, v1, v6
	v_add_co_ci_u32_e32 v2, vcc_lo, 0, v2, vcc_lo
	s_delay_alu instid0(VALU_DEP_2) | instskip(SKIP_1) | instid1(VALU_DEP_2)
	v_add_co_u32 v1, vcc_lo, 0, v4
	s_waitcnt lgkmcnt(0)
	v_add_co_ci_u32_e32 v2, vcc_lo, v5, v2, vcc_lo
.LBB7_30:
	s_or_b32 exec_lo, exec_lo, s4
	v_cmp_gt_u32_e32 vcc_lo, 6, v3
	v_add_nc_u32_e32 v7, 2, v3
	s_mov_b32 s4, exec_lo
	s_waitcnt lgkmcnt(0)
	v_cndmask_b32_e64 v5, 0, 1, vcc_lo
	s_delay_alu instid0(VALU_DEP_1) | instskip(NEXT) | instid1(VALU_DEP_1)
	v_lshlrev_b32_e32 v5, 1, v5
	v_add_lshl_u32 v5, v5, v9, 2
	ds_bpermute_b32 v6, v5, v4
	ds_bpermute_b32 v5, v5, v2
	v_cmpx_gt_u32_e64 s0, v7
	s_cbranch_execz .LBB7_32
; %bb.31:
	s_waitcnt lgkmcnt(1)
	v_add_co_u32 v4, vcc_lo, v1, v6
	v_add_co_ci_u32_e32 v2, vcc_lo, 0, v2, vcc_lo
	s_delay_alu instid0(VALU_DEP_2) | instskip(SKIP_1) | instid1(VALU_DEP_2)
	v_add_co_u32 v1, vcc_lo, 0, v4
	s_waitcnt lgkmcnt(0)
	v_add_co_ci_u32_e32 v2, vcc_lo, v5, v2, vcc_lo
.LBB7_32:
	s_or_b32 exec_lo, exec_lo, s4
	v_cmp_gt_u32_e32 vcc_lo, 4, v3
	v_add_nc_u32_e32 v3, 4, v3
	s_waitcnt lgkmcnt(0)
	v_cndmask_b32_e64 v5, 0, 1, vcc_lo
	s_delay_alu instid0(VALU_DEP_2) | instskip(NEXT) | instid1(VALU_DEP_2)
	v_cmp_gt_u32_e32 vcc_lo, s0, v3
	v_lshlrev_b32_e32 v5, 2, v5
	s_delay_alu instid0(VALU_DEP_1)
	v_add_lshl_u32 v6, v5, v9, 2
	ds_bpermute_b32 v5, v6, v4
	ds_bpermute_b32 v4, v6, v2
	s_and_saveexec_b32 s0, vcc_lo
	s_cbranch_execz .LBB7_34
; %bb.33:
	s_waitcnt lgkmcnt(1)
	v_add_co_u32 v1, vcc_lo, v1, v5
	v_add_co_ci_u32_e32 v2, vcc_lo, 0, v2, vcc_lo
	s_delay_alu instid0(VALU_DEP_2) | instskip(SKIP_1) | instid1(VALU_DEP_2)
	v_add_co_u32 v1, vcc_lo, v1, 0
	s_waitcnt lgkmcnt(0)
	v_add_co_ci_u32_e32 v2, vcc_lo, v2, v4, vcc_lo
.LBB7_34:
	s_or_b32 exec_lo, exec_lo, s0
.LBB7_35:
	s_delay_alu instid0(SALU_CYCLE_1)
	s_or_b32 exec_lo, exec_lo, s1
.LBB7_36:
	s_delay_alu instid0(SALU_CYCLE_1)
	s_mov_b32 s0, exec_lo
	v_cmpx_eq_u32_e32 0, v0
	s_cbranch_execz .LBB7_38
; %bb.37:
	s_mul_i32 s0, s14, s13
	s_mul_hi_u32 s1, s14, s12
	s_mul_i32 s4, s15, s12
	s_add_i32 s1, s1, s0
	s_mul_i32 s0, s14, s12
	s_add_i32 s1, s1, s4
	v_mov_b32_e32 v0, 0
	s_lshl_b64 s[0:1], s[0:1], 3
	s_delay_alu instid0(SALU_CYCLE_1)
	s_add_u32 s4, s10, s0
	s_addc_u32 s5, s11, s1
	s_cmp_eq_u64 s[8:9], 0
	s_cselect_b32 s6, -1, 0
	s_lshl_b64 s[0:1], s[2:3], 3
	v_cndmask_b32_e64 v2, v2, s17, s6
	v_cndmask_b32_e64 v1, v1, s16, s6
	s_add_u32 s0, s4, s0
	s_addc_u32 s1, s5, s1
	global_store_b64 v0, v[1:2], s[0:1]
.LBB7_38:
	s_nop 0
	s_sendmsg sendmsg(MSG_DEALLOC_VGPRS)
	s_endpgm
	.section	.rodata,"a",@progbits
	.p2align	6, 0x0
	.amdhsa_kernel _ZN7rocprim17ROCPRIM_400000_NS6detail17trampoline_kernelINS0_14default_configENS1_22reduce_config_selectorIlEEZNS1_11reduce_implILb1ES3_PlS7_lN6hipcub16HIPCUB_304000_NS6detail34convert_binary_result_type_wrapperINS9_3SumENS9_22TransformInputIteratorIb7NonZeroIaEPalEElEEEE10hipError_tPvRmT1_T2_T3_mT4_P12ihipStream_tbEUlT_E0_NS1_11comp_targetILNS1_3genE9ELNS1_11target_archE1100ELNS1_3gpuE3ELNS1_3repE0EEENS1_30default_config_static_selectorELNS0_4arch9wavefront6targetE0EEEvSM_
		.amdhsa_group_segment_fixed_size 128
		.amdhsa_private_segment_fixed_size 0
		.amdhsa_kernarg_size 64
		.amdhsa_user_sgpr_count 15
		.amdhsa_user_sgpr_dispatch_ptr 0
		.amdhsa_user_sgpr_queue_ptr 0
		.amdhsa_user_sgpr_kernarg_segment_ptr 1
		.amdhsa_user_sgpr_dispatch_id 0
		.amdhsa_user_sgpr_private_segment_size 0
		.amdhsa_wavefront_size32 1
		.amdhsa_uses_dynamic_stack 0
		.amdhsa_enable_private_segment 0
		.amdhsa_system_sgpr_workgroup_id_x 1
		.amdhsa_system_sgpr_workgroup_id_y 0
		.amdhsa_system_sgpr_workgroup_id_z 0
		.amdhsa_system_sgpr_workgroup_info 0
		.amdhsa_system_vgpr_workitem_id 0
		.amdhsa_next_free_vgpr 12
		.amdhsa_next_free_sgpr 20
		.amdhsa_reserve_vcc 1
		.amdhsa_float_round_mode_32 0
		.amdhsa_float_round_mode_16_64 0
		.amdhsa_float_denorm_mode_32 3
		.amdhsa_float_denorm_mode_16_64 3
		.amdhsa_dx10_clamp 1
		.amdhsa_ieee_mode 1
		.amdhsa_fp16_overflow 0
		.amdhsa_workgroup_processor_mode 1
		.amdhsa_memory_ordered 1
		.amdhsa_forward_progress 0
		.amdhsa_shared_vgpr_count 0
		.amdhsa_exception_fp_ieee_invalid_op 0
		.amdhsa_exception_fp_denorm_src 0
		.amdhsa_exception_fp_ieee_div_zero 0
		.amdhsa_exception_fp_ieee_overflow 0
		.amdhsa_exception_fp_ieee_underflow 0
		.amdhsa_exception_fp_ieee_inexact 0
		.amdhsa_exception_int_div_zero 0
	.end_amdhsa_kernel
	.section	.text._ZN7rocprim17ROCPRIM_400000_NS6detail17trampoline_kernelINS0_14default_configENS1_22reduce_config_selectorIlEEZNS1_11reduce_implILb1ES3_PlS7_lN6hipcub16HIPCUB_304000_NS6detail34convert_binary_result_type_wrapperINS9_3SumENS9_22TransformInputIteratorIb7NonZeroIaEPalEElEEEE10hipError_tPvRmT1_T2_T3_mT4_P12ihipStream_tbEUlT_E0_NS1_11comp_targetILNS1_3genE9ELNS1_11target_archE1100ELNS1_3gpuE3ELNS1_3repE0EEENS1_30default_config_static_selectorELNS0_4arch9wavefront6targetE0EEEvSM_,"axG",@progbits,_ZN7rocprim17ROCPRIM_400000_NS6detail17trampoline_kernelINS0_14default_configENS1_22reduce_config_selectorIlEEZNS1_11reduce_implILb1ES3_PlS7_lN6hipcub16HIPCUB_304000_NS6detail34convert_binary_result_type_wrapperINS9_3SumENS9_22TransformInputIteratorIb7NonZeroIaEPalEElEEEE10hipError_tPvRmT1_T2_T3_mT4_P12ihipStream_tbEUlT_E0_NS1_11comp_targetILNS1_3genE9ELNS1_11target_archE1100ELNS1_3gpuE3ELNS1_3repE0EEENS1_30default_config_static_selectorELNS0_4arch9wavefront6targetE0EEEvSM_,comdat
.Lfunc_end7:
	.size	_ZN7rocprim17ROCPRIM_400000_NS6detail17trampoline_kernelINS0_14default_configENS1_22reduce_config_selectorIlEEZNS1_11reduce_implILb1ES3_PlS7_lN6hipcub16HIPCUB_304000_NS6detail34convert_binary_result_type_wrapperINS9_3SumENS9_22TransformInputIteratorIb7NonZeroIaEPalEElEEEE10hipError_tPvRmT1_T2_T3_mT4_P12ihipStream_tbEUlT_E0_NS1_11comp_targetILNS1_3genE9ELNS1_11target_archE1100ELNS1_3gpuE3ELNS1_3repE0EEENS1_30default_config_static_selectorELNS0_4arch9wavefront6targetE0EEEvSM_, .Lfunc_end7-_ZN7rocprim17ROCPRIM_400000_NS6detail17trampoline_kernelINS0_14default_configENS1_22reduce_config_selectorIlEEZNS1_11reduce_implILb1ES3_PlS7_lN6hipcub16HIPCUB_304000_NS6detail34convert_binary_result_type_wrapperINS9_3SumENS9_22TransformInputIteratorIb7NonZeroIaEPalEElEEEE10hipError_tPvRmT1_T2_T3_mT4_P12ihipStream_tbEUlT_E0_NS1_11comp_targetILNS1_3genE9ELNS1_11target_archE1100ELNS1_3gpuE3ELNS1_3repE0EEENS1_30default_config_static_selectorELNS0_4arch9wavefront6targetE0EEEvSM_
                                        ; -- End function
	.section	.AMDGPU.csdata,"",@progbits
; Kernel info:
; codeLenInByte = 2140
; NumSgprs: 22
; NumVgprs: 12
; ScratchSize: 0
; MemoryBound: 0
; FloatMode: 240
; IeeeMode: 1
; LDSByteSize: 128 bytes/workgroup (compile time only)
; SGPRBlocks: 2
; VGPRBlocks: 1
; NumSGPRsForWavesPerEU: 22
; NumVGPRsForWavesPerEU: 12
; Occupancy: 16
; WaveLimiterHint : 1
; COMPUTE_PGM_RSRC2:SCRATCH_EN: 0
; COMPUTE_PGM_RSRC2:USER_SGPR: 15
; COMPUTE_PGM_RSRC2:TRAP_HANDLER: 0
; COMPUTE_PGM_RSRC2:TGID_X_EN: 1
; COMPUTE_PGM_RSRC2:TGID_Y_EN: 0
; COMPUTE_PGM_RSRC2:TGID_Z_EN: 0
; COMPUTE_PGM_RSRC2:TIDIG_COMP_CNT: 0
	.section	.text._ZN7rocprim17ROCPRIM_400000_NS6detail17trampoline_kernelINS0_14default_configENS1_22reduce_config_selectorIlEEZNS1_11reduce_implILb1ES3_PlS7_lN6hipcub16HIPCUB_304000_NS6detail34convert_binary_result_type_wrapperINS9_3SumENS9_22TransformInputIteratorIb7NonZeroIaEPalEElEEEE10hipError_tPvRmT1_T2_T3_mT4_P12ihipStream_tbEUlT_E0_NS1_11comp_targetILNS1_3genE8ELNS1_11target_archE1030ELNS1_3gpuE2ELNS1_3repE0EEENS1_30default_config_static_selectorELNS0_4arch9wavefront6targetE0EEEvSM_,"axG",@progbits,_ZN7rocprim17ROCPRIM_400000_NS6detail17trampoline_kernelINS0_14default_configENS1_22reduce_config_selectorIlEEZNS1_11reduce_implILb1ES3_PlS7_lN6hipcub16HIPCUB_304000_NS6detail34convert_binary_result_type_wrapperINS9_3SumENS9_22TransformInputIteratorIb7NonZeroIaEPalEElEEEE10hipError_tPvRmT1_T2_T3_mT4_P12ihipStream_tbEUlT_E0_NS1_11comp_targetILNS1_3genE8ELNS1_11target_archE1030ELNS1_3gpuE2ELNS1_3repE0EEENS1_30default_config_static_selectorELNS0_4arch9wavefront6targetE0EEEvSM_,comdat
	.protected	_ZN7rocprim17ROCPRIM_400000_NS6detail17trampoline_kernelINS0_14default_configENS1_22reduce_config_selectorIlEEZNS1_11reduce_implILb1ES3_PlS7_lN6hipcub16HIPCUB_304000_NS6detail34convert_binary_result_type_wrapperINS9_3SumENS9_22TransformInputIteratorIb7NonZeroIaEPalEElEEEE10hipError_tPvRmT1_T2_T3_mT4_P12ihipStream_tbEUlT_E0_NS1_11comp_targetILNS1_3genE8ELNS1_11target_archE1030ELNS1_3gpuE2ELNS1_3repE0EEENS1_30default_config_static_selectorELNS0_4arch9wavefront6targetE0EEEvSM_ ; -- Begin function _ZN7rocprim17ROCPRIM_400000_NS6detail17trampoline_kernelINS0_14default_configENS1_22reduce_config_selectorIlEEZNS1_11reduce_implILb1ES3_PlS7_lN6hipcub16HIPCUB_304000_NS6detail34convert_binary_result_type_wrapperINS9_3SumENS9_22TransformInputIteratorIb7NonZeroIaEPalEElEEEE10hipError_tPvRmT1_T2_T3_mT4_P12ihipStream_tbEUlT_E0_NS1_11comp_targetILNS1_3genE8ELNS1_11target_archE1030ELNS1_3gpuE2ELNS1_3repE0EEENS1_30default_config_static_selectorELNS0_4arch9wavefront6targetE0EEEvSM_
	.globl	_ZN7rocprim17ROCPRIM_400000_NS6detail17trampoline_kernelINS0_14default_configENS1_22reduce_config_selectorIlEEZNS1_11reduce_implILb1ES3_PlS7_lN6hipcub16HIPCUB_304000_NS6detail34convert_binary_result_type_wrapperINS9_3SumENS9_22TransformInputIteratorIb7NonZeroIaEPalEElEEEE10hipError_tPvRmT1_T2_T3_mT4_P12ihipStream_tbEUlT_E0_NS1_11comp_targetILNS1_3genE8ELNS1_11target_archE1030ELNS1_3gpuE2ELNS1_3repE0EEENS1_30default_config_static_selectorELNS0_4arch9wavefront6targetE0EEEvSM_
	.p2align	8
	.type	_ZN7rocprim17ROCPRIM_400000_NS6detail17trampoline_kernelINS0_14default_configENS1_22reduce_config_selectorIlEEZNS1_11reduce_implILb1ES3_PlS7_lN6hipcub16HIPCUB_304000_NS6detail34convert_binary_result_type_wrapperINS9_3SumENS9_22TransformInputIteratorIb7NonZeroIaEPalEElEEEE10hipError_tPvRmT1_T2_T3_mT4_P12ihipStream_tbEUlT_E0_NS1_11comp_targetILNS1_3genE8ELNS1_11target_archE1030ELNS1_3gpuE2ELNS1_3repE0EEENS1_30default_config_static_selectorELNS0_4arch9wavefront6targetE0EEEvSM_,@function
_ZN7rocprim17ROCPRIM_400000_NS6detail17trampoline_kernelINS0_14default_configENS1_22reduce_config_selectorIlEEZNS1_11reduce_implILb1ES3_PlS7_lN6hipcub16HIPCUB_304000_NS6detail34convert_binary_result_type_wrapperINS9_3SumENS9_22TransformInputIteratorIb7NonZeroIaEPalEElEEEE10hipError_tPvRmT1_T2_T3_mT4_P12ihipStream_tbEUlT_E0_NS1_11comp_targetILNS1_3genE8ELNS1_11target_archE1030ELNS1_3gpuE2ELNS1_3repE0EEENS1_30default_config_static_selectorELNS0_4arch9wavefront6targetE0EEEvSM_: ; @_ZN7rocprim17ROCPRIM_400000_NS6detail17trampoline_kernelINS0_14default_configENS1_22reduce_config_selectorIlEEZNS1_11reduce_implILb1ES3_PlS7_lN6hipcub16HIPCUB_304000_NS6detail34convert_binary_result_type_wrapperINS9_3SumENS9_22TransformInputIteratorIb7NonZeroIaEPalEElEEEE10hipError_tPvRmT1_T2_T3_mT4_P12ihipStream_tbEUlT_E0_NS1_11comp_targetILNS1_3genE8ELNS1_11target_archE1030ELNS1_3gpuE2ELNS1_3repE0EEENS1_30default_config_static_selectorELNS0_4arch9wavefront6targetE0EEEvSM_
; %bb.0:
	.section	.rodata,"a",@progbits
	.p2align	6, 0x0
	.amdhsa_kernel _ZN7rocprim17ROCPRIM_400000_NS6detail17trampoline_kernelINS0_14default_configENS1_22reduce_config_selectorIlEEZNS1_11reduce_implILb1ES3_PlS7_lN6hipcub16HIPCUB_304000_NS6detail34convert_binary_result_type_wrapperINS9_3SumENS9_22TransformInputIteratorIb7NonZeroIaEPalEElEEEE10hipError_tPvRmT1_T2_T3_mT4_P12ihipStream_tbEUlT_E0_NS1_11comp_targetILNS1_3genE8ELNS1_11target_archE1030ELNS1_3gpuE2ELNS1_3repE0EEENS1_30default_config_static_selectorELNS0_4arch9wavefront6targetE0EEEvSM_
		.amdhsa_group_segment_fixed_size 0
		.amdhsa_private_segment_fixed_size 0
		.amdhsa_kernarg_size 64
		.amdhsa_user_sgpr_count 15
		.amdhsa_user_sgpr_dispatch_ptr 0
		.amdhsa_user_sgpr_queue_ptr 0
		.amdhsa_user_sgpr_kernarg_segment_ptr 1
		.amdhsa_user_sgpr_dispatch_id 0
		.amdhsa_user_sgpr_private_segment_size 0
		.amdhsa_wavefront_size32 1
		.amdhsa_uses_dynamic_stack 0
		.amdhsa_enable_private_segment 0
		.amdhsa_system_sgpr_workgroup_id_x 1
		.amdhsa_system_sgpr_workgroup_id_y 0
		.amdhsa_system_sgpr_workgroup_id_z 0
		.amdhsa_system_sgpr_workgroup_info 0
		.amdhsa_system_vgpr_workitem_id 0
		.amdhsa_next_free_vgpr 1
		.amdhsa_next_free_sgpr 1
		.amdhsa_reserve_vcc 0
		.amdhsa_float_round_mode_32 0
		.amdhsa_float_round_mode_16_64 0
		.amdhsa_float_denorm_mode_32 3
		.amdhsa_float_denorm_mode_16_64 3
		.amdhsa_dx10_clamp 1
		.amdhsa_ieee_mode 1
		.amdhsa_fp16_overflow 0
		.amdhsa_workgroup_processor_mode 1
		.amdhsa_memory_ordered 1
		.amdhsa_forward_progress 0
		.amdhsa_shared_vgpr_count 0
		.amdhsa_exception_fp_ieee_invalid_op 0
		.amdhsa_exception_fp_denorm_src 0
		.amdhsa_exception_fp_ieee_div_zero 0
		.amdhsa_exception_fp_ieee_overflow 0
		.amdhsa_exception_fp_ieee_underflow 0
		.amdhsa_exception_fp_ieee_inexact 0
		.amdhsa_exception_int_div_zero 0
	.end_amdhsa_kernel
	.section	.text._ZN7rocprim17ROCPRIM_400000_NS6detail17trampoline_kernelINS0_14default_configENS1_22reduce_config_selectorIlEEZNS1_11reduce_implILb1ES3_PlS7_lN6hipcub16HIPCUB_304000_NS6detail34convert_binary_result_type_wrapperINS9_3SumENS9_22TransformInputIteratorIb7NonZeroIaEPalEElEEEE10hipError_tPvRmT1_T2_T3_mT4_P12ihipStream_tbEUlT_E0_NS1_11comp_targetILNS1_3genE8ELNS1_11target_archE1030ELNS1_3gpuE2ELNS1_3repE0EEENS1_30default_config_static_selectorELNS0_4arch9wavefront6targetE0EEEvSM_,"axG",@progbits,_ZN7rocprim17ROCPRIM_400000_NS6detail17trampoline_kernelINS0_14default_configENS1_22reduce_config_selectorIlEEZNS1_11reduce_implILb1ES3_PlS7_lN6hipcub16HIPCUB_304000_NS6detail34convert_binary_result_type_wrapperINS9_3SumENS9_22TransformInputIteratorIb7NonZeroIaEPalEElEEEE10hipError_tPvRmT1_T2_T3_mT4_P12ihipStream_tbEUlT_E0_NS1_11comp_targetILNS1_3genE8ELNS1_11target_archE1030ELNS1_3gpuE2ELNS1_3repE0EEENS1_30default_config_static_selectorELNS0_4arch9wavefront6targetE0EEEvSM_,comdat
.Lfunc_end8:
	.size	_ZN7rocprim17ROCPRIM_400000_NS6detail17trampoline_kernelINS0_14default_configENS1_22reduce_config_selectorIlEEZNS1_11reduce_implILb1ES3_PlS7_lN6hipcub16HIPCUB_304000_NS6detail34convert_binary_result_type_wrapperINS9_3SumENS9_22TransformInputIteratorIb7NonZeroIaEPalEElEEEE10hipError_tPvRmT1_T2_T3_mT4_P12ihipStream_tbEUlT_E0_NS1_11comp_targetILNS1_3genE8ELNS1_11target_archE1030ELNS1_3gpuE2ELNS1_3repE0EEENS1_30default_config_static_selectorELNS0_4arch9wavefront6targetE0EEEvSM_, .Lfunc_end8-_ZN7rocprim17ROCPRIM_400000_NS6detail17trampoline_kernelINS0_14default_configENS1_22reduce_config_selectorIlEEZNS1_11reduce_implILb1ES3_PlS7_lN6hipcub16HIPCUB_304000_NS6detail34convert_binary_result_type_wrapperINS9_3SumENS9_22TransformInputIteratorIb7NonZeroIaEPalEElEEEE10hipError_tPvRmT1_T2_T3_mT4_P12ihipStream_tbEUlT_E0_NS1_11comp_targetILNS1_3genE8ELNS1_11target_archE1030ELNS1_3gpuE2ELNS1_3repE0EEENS1_30default_config_static_selectorELNS0_4arch9wavefront6targetE0EEEvSM_
                                        ; -- End function
	.section	.AMDGPU.csdata,"",@progbits
; Kernel info:
; codeLenInByte = 0
; NumSgprs: 0
; NumVgprs: 0
; ScratchSize: 0
; MemoryBound: 0
; FloatMode: 240
; IeeeMode: 1
; LDSByteSize: 0 bytes/workgroup (compile time only)
; SGPRBlocks: 0
; VGPRBlocks: 0
; NumSGPRsForWavesPerEU: 1
; NumVGPRsForWavesPerEU: 1
; Occupancy: 16
; WaveLimiterHint : 0
; COMPUTE_PGM_RSRC2:SCRATCH_EN: 0
; COMPUTE_PGM_RSRC2:USER_SGPR: 15
; COMPUTE_PGM_RSRC2:TRAP_HANDLER: 0
; COMPUTE_PGM_RSRC2:TGID_X_EN: 1
; COMPUTE_PGM_RSRC2:TGID_Y_EN: 0
; COMPUTE_PGM_RSRC2:TGID_Z_EN: 0
; COMPUTE_PGM_RSRC2:TIDIG_COMP_CNT: 0
	.section	.text._ZN7rocprim17ROCPRIM_400000_NS6detail17trampoline_kernelINS0_14default_configENS1_22reduce_config_selectorIlEEZNS1_11reduce_implILb1ES3_PlS7_lN6hipcub16HIPCUB_304000_NS6detail34convert_binary_result_type_wrapperINS9_3SumENS9_22TransformInputIteratorIb7NonZeroIaEPalEElEEEE10hipError_tPvRmT1_T2_T3_mT4_P12ihipStream_tbEUlT_E1_NS1_11comp_targetILNS1_3genE0ELNS1_11target_archE4294967295ELNS1_3gpuE0ELNS1_3repE0EEENS1_30default_config_static_selectorELNS0_4arch9wavefront6targetE0EEEvSM_,"axG",@progbits,_ZN7rocprim17ROCPRIM_400000_NS6detail17trampoline_kernelINS0_14default_configENS1_22reduce_config_selectorIlEEZNS1_11reduce_implILb1ES3_PlS7_lN6hipcub16HIPCUB_304000_NS6detail34convert_binary_result_type_wrapperINS9_3SumENS9_22TransformInputIteratorIb7NonZeroIaEPalEElEEEE10hipError_tPvRmT1_T2_T3_mT4_P12ihipStream_tbEUlT_E1_NS1_11comp_targetILNS1_3genE0ELNS1_11target_archE4294967295ELNS1_3gpuE0ELNS1_3repE0EEENS1_30default_config_static_selectorELNS0_4arch9wavefront6targetE0EEEvSM_,comdat
	.protected	_ZN7rocprim17ROCPRIM_400000_NS6detail17trampoline_kernelINS0_14default_configENS1_22reduce_config_selectorIlEEZNS1_11reduce_implILb1ES3_PlS7_lN6hipcub16HIPCUB_304000_NS6detail34convert_binary_result_type_wrapperINS9_3SumENS9_22TransformInputIteratorIb7NonZeroIaEPalEElEEEE10hipError_tPvRmT1_T2_T3_mT4_P12ihipStream_tbEUlT_E1_NS1_11comp_targetILNS1_3genE0ELNS1_11target_archE4294967295ELNS1_3gpuE0ELNS1_3repE0EEENS1_30default_config_static_selectorELNS0_4arch9wavefront6targetE0EEEvSM_ ; -- Begin function _ZN7rocprim17ROCPRIM_400000_NS6detail17trampoline_kernelINS0_14default_configENS1_22reduce_config_selectorIlEEZNS1_11reduce_implILb1ES3_PlS7_lN6hipcub16HIPCUB_304000_NS6detail34convert_binary_result_type_wrapperINS9_3SumENS9_22TransformInputIteratorIb7NonZeroIaEPalEElEEEE10hipError_tPvRmT1_T2_T3_mT4_P12ihipStream_tbEUlT_E1_NS1_11comp_targetILNS1_3genE0ELNS1_11target_archE4294967295ELNS1_3gpuE0ELNS1_3repE0EEENS1_30default_config_static_selectorELNS0_4arch9wavefront6targetE0EEEvSM_
	.globl	_ZN7rocprim17ROCPRIM_400000_NS6detail17trampoline_kernelINS0_14default_configENS1_22reduce_config_selectorIlEEZNS1_11reduce_implILb1ES3_PlS7_lN6hipcub16HIPCUB_304000_NS6detail34convert_binary_result_type_wrapperINS9_3SumENS9_22TransformInputIteratorIb7NonZeroIaEPalEElEEEE10hipError_tPvRmT1_T2_T3_mT4_P12ihipStream_tbEUlT_E1_NS1_11comp_targetILNS1_3genE0ELNS1_11target_archE4294967295ELNS1_3gpuE0ELNS1_3repE0EEENS1_30default_config_static_selectorELNS0_4arch9wavefront6targetE0EEEvSM_
	.p2align	8
	.type	_ZN7rocprim17ROCPRIM_400000_NS6detail17trampoline_kernelINS0_14default_configENS1_22reduce_config_selectorIlEEZNS1_11reduce_implILb1ES3_PlS7_lN6hipcub16HIPCUB_304000_NS6detail34convert_binary_result_type_wrapperINS9_3SumENS9_22TransformInputIteratorIb7NonZeroIaEPalEElEEEE10hipError_tPvRmT1_T2_T3_mT4_P12ihipStream_tbEUlT_E1_NS1_11comp_targetILNS1_3genE0ELNS1_11target_archE4294967295ELNS1_3gpuE0ELNS1_3repE0EEENS1_30default_config_static_selectorELNS0_4arch9wavefront6targetE0EEEvSM_,@function
_ZN7rocprim17ROCPRIM_400000_NS6detail17trampoline_kernelINS0_14default_configENS1_22reduce_config_selectorIlEEZNS1_11reduce_implILb1ES3_PlS7_lN6hipcub16HIPCUB_304000_NS6detail34convert_binary_result_type_wrapperINS9_3SumENS9_22TransformInputIteratorIb7NonZeroIaEPalEElEEEE10hipError_tPvRmT1_T2_T3_mT4_P12ihipStream_tbEUlT_E1_NS1_11comp_targetILNS1_3genE0ELNS1_11target_archE4294967295ELNS1_3gpuE0ELNS1_3repE0EEENS1_30default_config_static_selectorELNS0_4arch9wavefront6targetE0EEEvSM_: ; @_ZN7rocprim17ROCPRIM_400000_NS6detail17trampoline_kernelINS0_14default_configENS1_22reduce_config_selectorIlEEZNS1_11reduce_implILb1ES3_PlS7_lN6hipcub16HIPCUB_304000_NS6detail34convert_binary_result_type_wrapperINS9_3SumENS9_22TransformInputIteratorIb7NonZeroIaEPalEElEEEE10hipError_tPvRmT1_T2_T3_mT4_P12ihipStream_tbEUlT_E1_NS1_11comp_targetILNS1_3genE0ELNS1_11target_archE4294967295ELNS1_3gpuE0ELNS1_3repE0EEENS1_30default_config_static_selectorELNS0_4arch9wavefront6targetE0EEEvSM_
; %bb.0:
	.section	.rodata,"a",@progbits
	.p2align	6, 0x0
	.amdhsa_kernel _ZN7rocprim17ROCPRIM_400000_NS6detail17trampoline_kernelINS0_14default_configENS1_22reduce_config_selectorIlEEZNS1_11reduce_implILb1ES3_PlS7_lN6hipcub16HIPCUB_304000_NS6detail34convert_binary_result_type_wrapperINS9_3SumENS9_22TransformInputIteratorIb7NonZeroIaEPalEElEEEE10hipError_tPvRmT1_T2_T3_mT4_P12ihipStream_tbEUlT_E1_NS1_11comp_targetILNS1_3genE0ELNS1_11target_archE4294967295ELNS1_3gpuE0ELNS1_3repE0EEENS1_30default_config_static_selectorELNS0_4arch9wavefront6targetE0EEEvSM_
		.amdhsa_group_segment_fixed_size 0
		.amdhsa_private_segment_fixed_size 0
		.amdhsa_kernarg_size 48
		.amdhsa_user_sgpr_count 15
		.amdhsa_user_sgpr_dispatch_ptr 0
		.amdhsa_user_sgpr_queue_ptr 0
		.amdhsa_user_sgpr_kernarg_segment_ptr 1
		.amdhsa_user_sgpr_dispatch_id 0
		.amdhsa_user_sgpr_private_segment_size 0
		.amdhsa_wavefront_size32 1
		.amdhsa_uses_dynamic_stack 0
		.amdhsa_enable_private_segment 0
		.amdhsa_system_sgpr_workgroup_id_x 1
		.amdhsa_system_sgpr_workgroup_id_y 0
		.amdhsa_system_sgpr_workgroup_id_z 0
		.amdhsa_system_sgpr_workgroup_info 0
		.amdhsa_system_vgpr_workitem_id 0
		.amdhsa_next_free_vgpr 1
		.amdhsa_next_free_sgpr 1
		.amdhsa_reserve_vcc 0
		.amdhsa_float_round_mode_32 0
		.amdhsa_float_round_mode_16_64 0
		.amdhsa_float_denorm_mode_32 3
		.amdhsa_float_denorm_mode_16_64 3
		.amdhsa_dx10_clamp 1
		.amdhsa_ieee_mode 1
		.amdhsa_fp16_overflow 0
		.amdhsa_workgroup_processor_mode 1
		.amdhsa_memory_ordered 1
		.amdhsa_forward_progress 0
		.amdhsa_shared_vgpr_count 0
		.amdhsa_exception_fp_ieee_invalid_op 0
		.amdhsa_exception_fp_denorm_src 0
		.amdhsa_exception_fp_ieee_div_zero 0
		.amdhsa_exception_fp_ieee_overflow 0
		.amdhsa_exception_fp_ieee_underflow 0
		.amdhsa_exception_fp_ieee_inexact 0
		.amdhsa_exception_int_div_zero 0
	.end_amdhsa_kernel
	.section	.text._ZN7rocprim17ROCPRIM_400000_NS6detail17trampoline_kernelINS0_14default_configENS1_22reduce_config_selectorIlEEZNS1_11reduce_implILb1ES3_PlS7_lN6hipcub16HIPCUB_304000_NS6detail34convert_binary_result_type_wrapperINS9_3SumENS9_22TransformInputIteratorIb7NonZeroIaEPalEElEEEE10hipError_tPvRmT1_T2_T3_mT4_P12ihipStream_tbEUlT_E1_NS1_11comp_targetILNS1_3genE0ELNS1_11target_archE4294967295ELNS1_3gpuE0ELNS1_3repE0EEENS1_30default_config_static_selectorELNS0_4arch9wavefront6targetE0EEEvSM_,"axG",@progbits,_ZN7rocprim17ROCPRIM_400000_NS6detail17trampoline_kernelINS0_14default_configENS1_22reduce_config_selectorIlEEZNS1_11reduce_implILb1ES3_PlS7_lN6hipcub16HIPCUB_304000_NS6detail34convert_binary_result_type_wrapperINS9_3SumENS9_22TransformInputIteratorIb7NonZeroIaEPalEElEEEE10hipError_tPvRmT1_T2_T3_mT4_P12ihipStream_tbEUlT_E1_NS1_11comp_targetILNS1_3genE0ELNS1_11target_archE4294967295ELNS1_3gpuE0ELNS1_3repE0EEENS1_30default_config_static_selectorELNS0_4arch9wavefront6targetE0EEEvSM_,comdat
.Lfunc_end9:
	.size	_ZN7rocprim17ROCPRIM_400000_NS6detail17trampoline_kernelINS0_14default_configENS1_22reduce_config_selectorIlEEZNS1_11reduce_implILb1ES3_PlS7_lN6hipcub16HIPCUB_304000_NS6detail34convert_binary_result_type_wrapperINS9_3SumENS9_22TransformInputIteratorIb7NonZeroIaEPalEElEEEE10hipError_tPvRmT1_T2_T3_mT4_P12ihipStream_tbEUlT_E1_NS1_11comp_targetILNS1_3genE0ELNS1_11target_archE4294967295ELNS1_3gpuE0ELNS1_3repE0EEENS1_30default_config_static_selectorELNS0_4arch9wavefront6targetE0EEEvSM_, .Lfunc_end9-_ZN7rocprim17ROCPRIM_400000_NS6detail17trampoline_kernelINS0_14default_configENS1_22reduce_config_selectorIlEEZNS1_11reduce_implILb1ES3_PlS7_lN6hipcub16HIPCUB_304000_NS6detail34convert_binary_result_type_wrapperINS9_3SumENS9_22TransformInputIteratorIb7NonZeroIaEPalEElEEEE10hipError_tPvRmT1_T2_T3_mT4_P12ihipStream_tbEUlT_E1_NS1_11comp_targetILNS1_3genE0ELNS1_11target_archE4294967295ELNS1_3gpuE0ELNS1_3repE0EEENS1_30default_config_static_selectorELNS0_4arch9wavefront6targetE0EEEvSM_
                                        ; -- End function
	.section	.AMDGPU.csdata,"",@progbits
; Kernel info:
; codeLenInByte = 0
; NumSgprs: 0
; NumVgprs: 0
; ScratchSize: 0
; MemoryBound: 0
; FloatMode: 240
; IeeeMode: 1
; LDSByteSize: 0 bytes/workgroup (compile time only)
; SGPRBlocks: 0
; VGPRBlocks: 0
; NumSGPRsForWavesPerEU: 1
; NumVGPRsForWavesPerEU: 1
; Occupancy: 16
; WaveLimiterHint : 0
; COMPUTE_PGM_RSRC2:SCRATCH_EN: 0
; COMPUTE_PGM_RSRC2:USER_SGPR: 15
; COMPUTE_PGM_RSRC2:TRAP_HANDLER: 0
; COMPUTE_PGM_RSRC2:TGID_X_EN: 1
; COMPUTE_PGM_RSRC2:TGID_Y_EN: 0
; COMPUTE_PGM_RSRC2:TGID_Z_EN: 0
; COMPUTE_PGM_RSRC2:TIDIG_COMP_CNT: 0
	.section	.text._ZN7rocprim17ROCPRIM_400000_NS6detail17trampoline_kernelINS0_14default_configENS1_22reduce_config_selectorIlEEZNS1_11reduce_implILb1ES3_PlS7_lN6hipcub16HIPCUB_304000_NS6detail34convert_binary_result_type_wrapperINS9_3SumENS9_22TransformInputIteratorIb7NonZeroIaEPalEElEEEE10hipError_tPvRmT1_T2_T3_mT4_P12ihipStream_tbEUlT_E1_NS1_11comp_targetILNS1_3genE5ELNS1_11target_archE942ELNS1_3gpuE9ELNS1_3repE0EEENS1_30default_config_static_selectorELNS0_4arch9wavefront6targetE0EEEvSM_,"axG",@progbits,_ZN7rocprim17ROCPRIM_400000_NS6detail17trampoline_kernelINS0_14default_configENS1_22reduce_config_selectorIlEEZNS1_11reduce_implILb1ES3_PlS7_lN6hipcub16HIPCUB_304000_NS6detail34convert_binary_result_type_wrapperINS9_3SumENS9_22TransformInputIteratorIb7NonZeroIaEPalEElEEEE10hipError_tPvRmT1_T2_T3_mT4_P12ihipStream_tbEUlT_E1_NS1_11comp_targetILNS1_3genE5ELNS1_11target_archE942ELNS1_3gpuE9ELNS1_3repE0EEENS1_30default_config_static_selectorELNS0_4arch9wavefront6targetE0EEEvSM_,comdat
	.protected	_ZN7rocprim17ROCPRIM_400000_NS6detail17trampoline_kernelINS0_14default_configENS1_22reduce_config_selectorIlEEZNS1_11reduce_implILb1ES3_PlS7_lN6hipcub16HIPCUB_304000_NS6detail34convert_binary_result_type_wrapperINS9_3SumENS9_22TransformInputIteratorIb7NonZeroIaEPalEElEEEE10hipError_tPvRmT1_T2_T3_mT4_P12ihipStream_tbEUlT_E1_NS1_11comp_targetILNS1_3genE5ELNS1_11target_archE942ELNS1_3gpuE9ELNS1_3repE0EEENS1_30default_config_static_selectorELNS0_4arch9wavefront6targetE0EEEvSM_ ; -- Begin function _ZN7rocprim17ROCPRIM_400000_NS6detail17trampoline_kernelINS0_14default_configENS1_22reduce_config_selectorIlEEZNS1_11reduce_implILb1ES3_PlS7_lN6hipcub16HIPCUB_304000_NS6detail34convert_binary_result_type_wrapperINS9_3SumENS9_22TransformInputIteratorIb7NonZeroIaEPalEElEEEE10hipError_tPvRmT1_T2_T3_mT4_P12ihipStream_tbEUlT_E1_NS1_11comp_targetILNS1_3genE5ELNS1_11target_archE942ELNS1_3gpuE9ELNS1_3repE0EEENS1_30default_config_static_selectorELNS0_4arch9wavefront6targetE0EEEvSM_
	.globl	_ZN7rocprim17ROCPRIM_400000_NS6detail17trampoline_kernelINS0_14default_configENS1_22reduce_config_selectorIlEEZNS1_11reduce_implILb1ES3_PlS7_lN6hipcub16HIPCUB_304000_NS6detail34convert_binary_result_type_wrapperINS9_3SumENS9_22TransformInputIteratorIb7NonZeroIaEPalEElEEEE10hipError_tPvRmT1_T2_T3_mT4_P12ihipStream_tbEUlT_E1_NS1_11comp_targetILNS1_3genE5ELNS1_11target_archE942ELNS1_3gpuE9ELNS1_3repE0EEENS1_30default_config_static_selectorELNS0_4arch9wavefront6targetE0EEEvSM_
	.p2align	8
	.type	_ZN7rocprim17ROCPRIM_400000_NS6detail17trampoline_kernelINS0_14default_configENS1_22reduce_config_selectorIlEEZNS1_11reduce_implILb1ES3_PlS7_lN6hipcub16HIPCUB_304000_NS6detail34convert_binary_result_type_wrapperINS9_3SumENS9_22TransformInputIteratorIb7NonZeroIaEPalEElEEEE10hipError_tPvRmT1_T2_T3_mT4_P12ihipStream_tbEUlT_E1_NS1_11comp_targetILNS1_3genE5ELNS1_11target_archE942ELNS1_3gpuE9ELNS1_3repE0EEENS1_30default_config_static_selectorELNS0_4arch9wavefront6targetE0EEEvSM_,@function
_ZN7rocprim17ROCPRIM_400000_NS6detail17trampoline_kernelINS0_14default_configENS1_22reduce_config_selectorIlEEZNS1_11reduce_implILb1ES3_PlS7_lN6hipcub16HIPCUB_304000_NS6detail34convert_binary_result_type_wrapperINS9_3SumENS9_22TransformInputIteratorIb7NonZeroIaEPalEElEEEE10hipError_tPvRmT1_T2_T3_mT4_P12ihipStream_tbEUlT_E1_NS1_11comp_targetILNS1_3genE5ELNS1_11target_archE942ELNS1_3gpuE9ELNS1_3repE0EEENS1_30default_config_static_selectorELNS0_4arch9wavefront6targetE0EEEvSM_: ; @_ZN7rocprim17ROCPRIM_400000_NS6detail17trampoline_kernelINS0_14default_configENS1_22reduce_config_selectorIlEEZNS1_11reduce_implILb1ES3_PlS7_lN6hipcub16HIPCUB_304000_NS6detail34convert_binary_result_type_wrapperINS9_3SumENS9_22TransformInputIteratorIb7NonZeroIaEPalEElEEEE10hipError_tPvRmT1_T2_T3_mT4_P12ihipStream_tbEUlT_E1_NS1_11comp_targetILNS1_3genE5ELNS1_11target_archE942ELNS1_3gpuE9ELNS1_3repE0EEENS1_30default_config_static_selectorELNS0_4arch9wavefront6targetE0EEEvSM_
; %bb.0:
	.section	.rodata,"a",@progbits
	.p2align	6, 0x0
	.amdhsa_kernel _ZN7rocprim17ROCPRIM_400000_NS6detail17trampoline_kernelINS0_14default_configENS1_22reduce_config_selectorIlEEZNS1_11reduce_implILb1ES3_PlS7_lN6hipcub16HIPCUB_304000_NS6detail34convert_binary_result_type_wrapperINS9_3SumENS9_22TransformInputIteratorIb7NonZeroIaEPalEElEEEE10hipError_tPvRmT1_T2_T3_mT4_P12ihipStream_tbEUlT_E1_NS1_11comp_targetILNS1_3genE5ELNS1_11target_archE942ELNS1_3gpuE9ELNS1_3repE0EEENS1_30default_config_static_selectorELNS0_4arch9wavefront6targetE0EEEvSM_
		.amdhsa_group_segment_fixed_size 0
		.amdhsa_private_segment_fixed_size 0
		.amdhsa_kernarg_size 48
		.amdhsa_user_sgpr_count 15
		.amdhsa_user_sgpr_dispatch_ptr 0
		.amdhsa_user_sgpr_queue_ptr 0
		.amdhsa_user_sgpr_kernarg_segment_ptr 1
		.amdhsa_user_sgpr_dispatch_id 0
		.amdhsa_user_sgpr_private_segment_size 0
		.amdhsa_wavefront_size32 1
		.amdhsa_uses_dynamic_stack 0
		.amdhsa_enable_private_segment 0
		.amdhsa_system_sgpr_workgroup_id_x 1
		.amdhsa_system_sgpr_workgroup_id_y 0
		.amdhsa_system_sgpr_workgroup_id_z 0
		.amdhsa_system_sgpr_workgroup_info 0
		.amdhsa_system_vgpr_workitem_id 0
		.amdhsa_next_free_vgpr 1
		.amdhsa_next_free_sgpr 1
		.amdhsa_reserve_vcc 0
		.amdhsa_float_round_mode_32 0
		.amdhsa_float_round_mode_16_64 0
		.amdhsa_float_denorm_mode_32 3
		.amdhsa_float_denorm_mode_16_64 3
		.amdhsa_dx10_clamp 1
		.amdhsa_ieee_mode 1
		.amdhsa_fp16_overflow 0
		.amdhsa_workgroup_processor_mode 1
		.amdhsa_memory_ordered 1
		.amdhsa_forward_progress 0
		.amdhsa_shared_vgpr_count 0
		.amdhsa_exception_fp_ieee_invalid_op 0
		.amdhsa_exception_fp_denorm_src 0
		.amdhsa_exception_fp_ieee_div_zero 0
		.amdhsa_exception_fp_ieee_overflow 0
		.amdhsa_exception_fp_ieee_underflow 0
		.amdhsa_exception_fp_ieee_inexact 0
		.amdhsa_exception_int_div_zero 0
	.end_amdhsa_kernel
	.section	.text._ZN7rocprim17ROCPRIM_400000_NS6detail17trampoline_kernelINS0_14default_configENS1_22reduce_config_selectorIlEEZNS1_11reduce_implILb1ES3_PlS7_lN6hipcub16HIPCUB_304000_NS6detail34convert_binary_result_type_wrapperINS9_3SumENS9_22TransformInputIteratorIb7NonZeroIaEPalEElEEEE10hipError_tPvRmT1_T2_T3_mT4_P12ihipStream_tbEUlT_E1_NS1_11comp_targetILNS1_3genE5ELNS1_11target_archE942ELNS1_3gpuE9ELNS1_3repE0EEENS1_30default_config_static_selectorELNS0_4arch9wavefront6targetE0EEEvSM_,"axG",@progbits,_ZN7rocprim17ROCPRIM_400000_NS6detail17trampoline_kernelINS0_14default_configENS1_22reduce_config_selectorIlEEZNS1_11reduce_implILb1ES3_PlS7_lN6hipcub16HIPCUB_304000_NS6detail34convert_binary_result_type_wrapperINS9_3SumENS9_22TransformInputIteratorIb7NonZeroIaEPalEElEEEE10hipError_tPvRmT1_T2_T3_mT4_P12ihipStream_tbEUlT_E1_NS1_11comp_targetILNS1_3genE5ELNS1_11target_archE942ELNS1_3gpuE9ELNS1_3repE0EEENS1_30default_config_static_selectorELNS0_4arch9wavefront6targetE0EEEvSM_,comdat
.Lfunc_end10:
	.size	_ZN7rocprim17ROCPRIM_400000_NS6detail17trampoline_kernelINS0_14default_configENS1_22reduce_config_selectorIlEEZNS1_11reduce_implILb1ES3_PlS7_lN6hipcub16HIPCUB_304000_NS6detail34convert_binary_result_type_wrapperINS9_3SumENS9_22TransformInputIteratorIb7NonZeroIaEPalEElEEEE10hipError_tPvRmT1_T2_T3_mT4_P12ihipStream_tbEUlT_E1_NS1_11comp_targetILNS1_3genE5ELNS1_11target_archE942ELNS1_3gpuE9ELNS1_3repE0EEENS1_30default_config_static_selectorELNS0_4arch9wavefront6targetE0EEEvSM_, .Lfunc_end10-_ZN7rocprim17ROCPRIM_400000_NS6detail17trampoline_kernelINS0_14default_configENS1_22reduce_config_selectorIlEEZNS1_11reduce_implILb1ES3_PlS7_lN6hipcub16HIPCUB_304000_NS6detail34convert_binary_result_type_wrapperINS9_3SumENS9_22TransformInputIteratorIb7NonZeroIaEPalEElEEEE10hipError_tPvRmT1_T2_T3_mT4_P12ihipStream_tbEUlT_E1_NS1_11comp_targetILNS1_3genE5ELNS1_11target_archE942ELNS1_3gpuE9ELNS1_3repE0EEENS1_30default_config_static_selectorELNS0_4arch9wavefront6targetE0EEEvSM_
                                        ; -- End function
	.section	.AMDGPU.csdata,"",@progbits
; Kernel info:
; codeLenInByte = 0
; NumSgprs: 0
; NumVgprs: 0
; ScratchSize: 0
; MemoryBound: 0
; FloatMode: 240
; IeeeMode: 1
; LDSByteSize: 0 bytes/workgroup (compile time only)
; SGPRBlocks: 0
; VGPRBlocks: 0
; NumSGPRsForWavesPerEU: 1
; NumVGPRsForWavesPerEU: 1
; Occupancy: 16
; WaveLimiterHint : 0
; COMPUTE_PGM_RSRC2:SCRATCH_EN: 0
; COMPUTE_PGM_RSRC2:USER_SGPR: 15
; COMPUTE_PGM_RSRC2:TRAP_HANDLER: 0
; COMPUTE_PGM_RSRC2:TGID_X_EN: 1
; COMPUTE_PGM_RSRC2:TGID_Y_EN: 0
; COMPUTE_PGM_RSRC2:TGID_Z_EN: 0
; COMPUTE_PGM_RSRC2:TIDIG_COMP_CNT: 0
	.section	.text._ZN7rocprim17ROCPRIM_400000_NS6detail17trampoline_kernelINS0_14default_configENS1_22reduce_config_selectorIlEEZNS1_11reduce_implILb1ES3_PlS7_lN6hipcub16HIPCUB_304000_NS6detail34convert_binary_result_type_wrapperINS9_3SumENS9_22TransformInputIteratorIb7NonZeroIaEPalEElEEEE10hipError_tPvRmT1_T2_T3_mT4_P12ihipStream_tbEUlT_E1_NS1_11comp_targetILNS1_3genE4ELNS1_11target_archE910ELNS1_3gpuE8ELNS1_3repE0EEENS1_30default_config_static_selectorELNS0_4arch9wavefront6targetE0EEEvSM_,"axG",@progbits,_ZN7rocprim17ROCPRIM_400000_NS6detail17trampoline_kernelINS0_14default_configENS1_22reduce_config_selectorIlEEZNS1_11reduce_implILb1ES3_PlS7_lN6hipcub16HIPCUB_304000_NS6detail34convert_binary_result_type_wrapperINS9_3SumENS9_22TransformInputIteratorIb7NonZeroIaEPalEElEEEE10hipError_tPvRmT1_T2_T3_mT4_P12ihipStream_tbEUlT_E1_NS1_11comp_targetILNS1_3genE4ELNS1_11target_archE910ELNS1_3gpuE8ELNS1_3repE0EEENS1_30default_config_static_selectorELNS0_4arch9wavefront6targetE0EEEvSM_,comdat
	.protected	_ZN7rocprim17ROCPRIM_400000_NS6detail17trampoline_kernelINS0_14default_configENS1_22reduce_config_selectorIlEEZNS1_11reduce_implILb1ES3_PlS7_lN6hipcub16HIPCUB_304000_NS6detail34convert_binary_result_type_wrapperINS9_3SumENS9_22TransformInputIteratorIb7NonZeroIaEPalEElEEEE10hipError_tPvRmT1_T2_T3_mT4_P12ihipStream_tbEUlT_E1_NS1_11comp_targetILNS1_3genE4ELNS1_11target_archE910ELNS1_3gpuE8ELNS1_3repE0EEENS1_30default_config_static_selectorELNS0_4arch9wavefront6targetE0EEEvSM_ ; -- Begin function _ZN7rocprim17ROCPRIM_400000_NS6detail17trampoline_kernelINS0_14default_configENS1_22reduce_config_selectorIlEEZNS1_11reduce_implILb1ES3_PlS7_lN6hipcub16HIPCUB_304000_NS6detail34convert_binary_result_type_wrapperINS9_3SumENS9_22TransformInputIteratorIb7NonZeroIaEPalEElEEEE10hipError_tPvRmT1_T2_T3_mT4_P12ihipStream_tbEUlT_E1_NS1_11comp_targetILNS1_3genE4ELNS1_11target_archE910ELNS1_3gpuE8ELNS1_3repE0EEENS1_30default_config_static_selectorELNS0_4arch9wavefront6targetE0EEEvSM_
	.globl	_ZN7rocprim17ROCPRIM_400000_NS6detail17trampoline_kernelINS0_14default_configENS1_22reduce_config_selectorIlEEZNS1_11reduce_implILb1ES3_PlS7_lN6hipcub16HIPCUB_304000_NS6detail34convert_binary_result_type_wrapperINS9_3SumENS9_22TransformInputIteratorIb7NonZeroIaEPalEElEEEE10hipError_tPvRmT1_T2_T3_mT4_P12ihipStream_tbEUlT_E1_NS1_11comp_targetILNS1_3genE4ELNS1_11target_archE910ELNS1_3gpuE8ELNS1_3repE0EEENS1_30default_config_static_selectorELNS0_4arch9wavefront6targetE0EEEvSM_
	.p2align	8
	.type	_ZN7rocprim17ROCPRIM_400000_NS6detail17trampoline_kernelINS0_14default_configENS1_22reduce_config_selectorIlEEZNS1_11reduce_implILb1ES3_PlS7_lN6hipcub16HIPCUB_304000_NS6detail34convert_binary_result_type_wrapperINS9_3SumENS9_22TransformInputIteratorIb7NonZeroIaEPalEElEEEE10hipError_tPvRmT1_T2_T3_mT4_P12ihipStream_tbEUlT_E1_NS1_11comp_targetILNS1_3genE4ELNS1_11target_archE910ELNS1_3gpuE8ELNS1_3repE0EEENS1_30default_config_static_selectorELNS0_4arch9wavefront6targetE0EEEvSM_,@function
_ZN7rocprim17ROCPRIM_400000_NS6detail17trampoline_kernelINS0_14default_configENS1_22reduce_config_selectorIlEEZNS1_11reduce_implILb1ES3_PlS7_lN6hipcub16HIPCUB_304000_NS6detail34convert_binary_result_type_wrapperINS9_3SumENS9_22TransformInputIteratorIb7NonZeroIaEPalEElEEEE10hipError_tPvRmT1_T2_T3_mT4_P12ihipStream_tbEUlT_E1_NS1_11comp_targetILNS1_3genE4ELNS1_11target_archE910ELNS1_3gpuE8ELNS1_3repE0EEENS1_30default_config_static_selectorELNS0_4arch9wavefront6targetE0EEEvSM_: ; @_ZN7rocprim17ROCPRIM_400000_NS6detail17trampoline_kernelINS0_14default_configENS1_22reduce_config_selectorIlEEZNS1_11reduce_implILb1ES3_PlS7_lN6hipcub16HIPCUB_304000_NS6detail34convert_binary_result_type_wrapperINS9_3SumENS9_22TransformInputIteratorIb7NonZeroIaEPalEElEEEE10hipError_tPvRmT1_T2_T3_mT4_P12ihipStream_tbEUlT_E1_NS1_11comp_targetILNS1_3genE4ELNS1_11target_archE910ELNS1_3gpuE8ELNS1_3repE0EEENS1_30default_config_static_selectorELNS0_4arch9wavefront6targetE0EEEvSM_
; %bb.0:
	.section	.rodata,"a",@progbits
	.p2align	6, 0x0
	.amdhsa_kernel _ZN7rocprim17ROCPRIM_400000_NS6detail17trampoline_kernelINS0_14default_configENS1_22reduce_config_selectorIlEEZNS1_11reduce_implILb1ES3_PlS7_lN6hipcub16HIPCUB_304000_NS6detail34convert_binary_result_type_wrapperINS9_3SumENS9_22TransformInputIteratorIb7NonZeroIaEPalEElEEEE10hipError_tPvRmT1_T2_T3_mT4_P12ihipStream_tbEUlT_E1_NS1_11comp_targetILNS1_3genE4ELNS1_11target_archE910ELNS1_3gpuE8ELNS1_3repE0EEENS1_30default_config_static_selectorELNS0_4arch9wavefront6targetE0EEEvSM_
		.amdhsa_group_segment_fixed_size 0
		.amdhsa_private_segment_fixed_size 0
		.amdhsa_kernarg_size 48
		.amdhsa_user_sgpr_count 15
		.amdhsa_user_sgpr_dispatch_ptr 0
		.amdhsa_user_sgpr_queue_ptr 0
		.amdhsa_user_sgpr_kernarg_segment_ptr 1
		.amdhsa_user_sgpr_dispatch_id 0
		.amdhsa_user_sgpr_private_segment_size 0
		.amdhsa_wavefront_size32 1
		.amdhsa_uses_dynamic_stack 0
		.amdhsa_enable_private_segment 0
		.amdhsa_system_sgpr_workgroup_id_x 1
		.amdhsa_system_sgpr_workgroup_id_y 0
		.amdhsa_system_sgpr_workgroup_id_z 0
		.amdhsa_system_sgpr_workgroup_info 0
		.amdhsa_system_vgpr_workitem_id 0
		.amdhsa_next_free_vgpr 1
		.amdhsa_next_free_sgpr 1
		.amdhsa_reserve_vcc 0
		.amdhsa_float_round_mode_32 0
		.amdhsa_float_round_mode_16_64 0
		.amdhsa_float_denorm_mode_32 3
		.amdhsa_float_denorm_mode_16_64 3
		.amdhsa_dx10_clamp 1
		.amdhsa_ieee_mode 1
		.amdhsa_fp16_overflow 0
		.amdhsa_workgroup_processor_mode 1
		.amdhsa_memory_ordered 1
		.amdhsa_forward_progress 0
		.amdhsa_shared_vgpr_count 0
		.amdhsa_exception_fp_ieee_invalid_op 0
		.amdhsa_exception_fp_denorm_src 0
		.amdhsa_exception_fp_ieee_div_zero 0
		.amdhsa_exception_fp_ieee_overflow 0
		.amdhsa_exception_fp_ieee_underflow 0
		.amdhsa_exception_fp_ieee_inexact 0
		.amdhsa_exception_int_div_zero 0
	.end_amdhsa_kernel
	.section	.text._ZN7rocprim17ROCPRIM_400000_NS6detail17trampoline_kernelINS0_14default_configENS1_22reduce_config_selectorIlEEZNS1_11reduce_implILb1ES3_PlS7_lN6hipcub16HIPCUB_304000_NS6detail34convert_binary_result_type_wrapperINS9_3SumENS9_22TransformInputIteratorIb7NonZeroIaEPalEElEEEE10hipError_tPvRmT1_T2_T3_mT4_P12ihipStream_tbEUlT_E1_NS1_11comp_targetILNS1_3genE4ELNS1_11target_archE910ELNS1_3gpuE8ELNS1_3repE0EEENS1_30default_config_static_selectorELNS0_4arch9wavefront6targetE0EEEvSM_,"axG",@progbits,_ZN7rocprim17ROCPRIM_400000_NS6detail17trampoline_kernelINS0_14default_configENS1_22reduce_config_selectorIlEEZNS1_11reduce_implILb1ES3_PlS7_lN6hipcub16HIPCUB_304000_NS6detail34convert_binary_result_type_wrapperINS9_3SumENS9_22TransformInputIteratorIb7NonZeroIaEPalEElEEEE10hipError_tPvRmT1_T2_T3_mT4_P12ihipStream_tbEUlT_E1_NS1_11comp_targetILNS1_3genE4ELNS1_11target_archE910ELNS1_3gpuE8ELNS1_3repE0EEENS1_30default_config_static_selectorELNS0_4arch9wavefront6targetE0EEEvSM_,comdat
.Lfunc_end11:
	.size	_ZN7rocprim17ROCPRIM_400000_NS6detail17trampoline_kernelINS0_14default_configENS1_22reduce_config_selectorIlEEZNS1_11reduce_implILb1ES3_PlS7_lN6hipcub16HIPCUB_304000_NS6detail34convert_binary_result_type_wrapperINS9_3SumENS9_22TransformInputIteratorIb7NonZeroIaEPalEElEEEE10hipError_tPvRmT1_T2_T3_mT4_P12ihipStream_tbEUlT_E1_NS1_11comp_targetILNS1_3genE4ELNS1_11target_archE910ELNS1_3gpuE8ELNS1_3repE0EEENS1_30default_config_static_selectorELNS0_4arch9wavefront6targetE0EEEvSM_, .Lfunc_end11-_ZN7rocprim17ROCPRIM_400000_NS6detail17trampoline_kernelINS0_14default_configENS1_22reduce_config_selectorIlEEZNS1_11reduce_implILb1ES3_PlS7_lN6hipcub16HIPCUB_304000_NS6detail34convert_binary_result_type_wrapperINS9_3SumENS9_22TransformInputIteratorIb7NonZeroIaEPalEElEEEE10hipError_tPvRmT1_T2_T3_mT4_P12ihipStream_tbEUlT_E1_NS1_11comp_targetILNS1_3genE4ELNS1_11target_archE910ELNS1_3gpuE8ELNS1_3repE0EEENS1_30default_config_static_selectorELNS0_4arch9wavefront6targetE0EEEvSM_
                                        ; -- End function
	.section	.AMDGPU.csdata,"",@progbits
; Kernel info:
; codeLenInByte = 0
; NumSgprs: 0
; NumVgprs: 0
; ScratchSize: 0
; MemoryBound: 0
; FloatMode: 240
; IeeeMode: 1
; LDSByteSize: 0 bytes/workgroup (compile time only)
; SGPRBlocks: 0
; VGPRBlocks: 0
; NumSGPRsForWavesPerEU: 1
; NumVGPRsForWavesPerEU: 1
; Occupancy: 16
; WaveLimiterHint : 0
; COMPUTE_PGM_RSRC2:SCRATCH_EN: 0
; COMPUTE_PGM_RSRC2:USER_SGPR: 15
; COMPUTE_PGM_RSRC2:TRAP_HANDLER: 0
; COMPUTE_PGM_RSRC2:TGID_X_EN: 1
; COMPUTE_PGM_RSRC2:TGID_Y_EN: 0
; COMPUTE_PGM_RSRC2:TGID_Z_EN: 0
; COMPUTE_PGM_RSRC2:TIDIG_COMP_CNT: 0
	.section	.text._ZN7rocprim17ROCPRIM_400000_NS6detail17trampoline_kernelINS0_14default_configENS1_22reduce_config_selectorIlEEZNS1_11reduce_implILb1ES3_PlS7_lN6hipcub16HIPCUB_304000_NS6detail34convert_binary_result_type_wrapperINS9_3SumENS9_22TransformInputIteratorIb7NonZeroIaEPalEElEEEE10hipError_tPvRmT1_T2_T3_mT4_P12ihipStream_tbEUlT_E1_NS1_11comp_targetILNS1_3genE3ELNS1_11target_archE908ELNS1_3gpuE7ELNS1_3repE0EEENS1_30default_config_static_selectorELNS0_4arch9wavefront6targetE0EEEvSM_,"axG",@progbits,_ZN7rocprim17ROCPRIM_400000_NS6detail17trampoline_kernelINS0_14default_configENS1_22reduce_config_selectorIlEEZNS1_11reduce_implILb1ES3_PlS7_lN6hipcub16HIPCUB_304000_NS6detail34convert_binary_result_type_wrapperINS9_3SumENS9_22TransformInputIteratorIb7NonZeroIaEPalEElEEEE10hipError_tPvRmT1_T2_T3_mT4_P12ihipStream_tbEUlT_E1_NS1_11comp_targetILNS1_3genE3ELNS1_11target_archE908ELNS1_3gpuE7ELNS1_3repE0EEENS1_30default_config_static_selectorELNS0_4arch9wavefront6targetE0EEEvSM_,comdat
	.protected	_ZN7rocprim17ROCPRIM_400000_NS6detail17trampoline_kernelINS0_14default_configENS1_22reduce_config_selectorIlEEZNS1_11reduce_implILb1ES3_PlS7_lN6hipcub16HIPCUB_304000_NS6detail34convert_binary_result_type_wrapperINS9_3SumENS9_22TransformInputIteratorIb7NonZeroIaEPalEElEEEE10hipError_tPvRmT1_T2_T3_mT4_P12ihipStream_tbEUlT_E1_NS1_11comp_targetILNS1_3genE3ELNS1_11target_archE908ELNS1_3gpuE7ELNS1_3repE0EEENS1_30default_config_static_selectorELNS0_4arch9wavefront6targetE0EEEvSM_ ; -- Begin function _ZN7rocprim17ROCPRIM_400000_NS6detail17trampoline_kernelINS0_14default_configENS1_22reduce_config_selectorIlEEZNS1_11reduce_implILb1ES3_PlS7_lN6hipcub16HIPCUB_304000_NS6detail34convert_binary_result_type_wrapperINS9_3SumENS9_22TransformInputIteratorIb7NonZeroIaEPalEElEEEE10hipError_tPvRmT1_T2_T3_mT4_P12ihipStream_tbEUlT_E1_NS1_11comp_targetILNS1_3genE3ELNS1_11target_archE908ELNS1_3gpuE7ELNS1_3repE0EEENS1_30default_config_static_selectorELNS0_4arch9wavefront6targetE0EEEvSM_
	.globl	_ZN7rocprim17ROCPRIM_400000_NS6detail17trampoline_kernelINS0_14default_configENS1_22reduce_config_selectorIlEEZNS1_11reduce_implILb1ES3_PlS7_lN6hipcub16HIPCUB_304000_NS6detail34convert_binary_result_type_wrapperINS9_3SumENS9_22TransformInputIteratorIb7NonZeroIaEPalEElEEEE10hipError_tPvRmT1_T2_T3_mT4_P12ihipStream_tbEUlT_E1_NS1_11comp_targetILNS1_3genE3ELNS1_11target_archE908ELNS1_3gpuE7ELNS1_3repE0EEENS1_30default_config_static_selectorELNS0_4arch9wavefront6targetE0EEEvSM_
	.p2align	8
	.type	_ZN7rocprim17ROCPRIM_400000_NS6detail17trampoline_kernelINS0_14default_configENS1_22reduce_config_selectorIlEEZNS1_11reduce_implILb1ES3_PlS7_lN6hipcub16HIPCUB_304000_NS6detail34convert_binary_result_type_wrapperINS9_3SumENS9_22TransformInputIteratorIb7NonZeroIaEPalEElEEEE10hipError_tPvRmT1_T2_T3_mT4_P12ihipStream_tbEUlT_E1_NS1_11comp_targetILNS1_3genE3ELNS1_11target_archE908ELNS1_3gpuE7ELNS1_3repE0EEENS1_30default_config_static_selectorELNS0_4arch9wavefront6targetE0EEEvSM_,@function
_ZN7rocprim17ROCPRIM_400000_NS6detail17trampoline_kernelINS0_14default_configENS1_22reduce_config_selectorIlEEZNS1_11reduce_implILb1ES3_PlS7_lN6hipcub16HIPCUB_304000_NS6detail34convert_binary_result_type_wrapperINS9_3SumENS9_22TransformInputIteratorIb7NonZeroIaEPalEElEEEE10hipError_tPvRmT1_T2_T3_mT4_P12ihipStream_tbEUlT_E1_NS1_11comp_targetILNS1_3genE3ELNS1_11target_archE908ELNS1_3gpuE7ELNS1_3repE0EEENS1_30default_config_static_selectorELNS0_4arch9wavefront6targetE0EEEvSM_: ; @_ZN7rocprim17ROCPRIM_400000_NS6detail17trampoline_kernelINS0_14default_configENS1_22reduce_config_selectorIlEEZNS1_11reduce_implILb1ES3_PlS7_lN6hipcub16HIPCUB_304000_NS6detail34convert_binary_result_type_wrapperINS9_3SumENS9_22TransformInputIteratorIb7NonZeroIaEPalEElEEEE10hipError_tPvRmT1_T2_T3_mT4_P12ihipStream_tbEUlT_E1_NS1_11comp_targetILNS1_3genE3ELNS1_11target_archE908ELNS1_3gpuE7ELNS1_3repE0EEENS1_30default_config_static_selectorELNS0_4arch9wavefront6targetE0EEEvSM_
; %bb.0:
	.section	.rodata,"a",@progbits
	.p2align	6, 0x0
	.amdhsa_kernel _ZN7rocprim17ROCPRIM_400000_NS6detail17trampoline_kernelINS0_14default_configENS1_22reduce_config_selectorIlEEZNS1_11reduce_implILb1ES3_PlS7_lN6hipcub16HIPCUB_304000_NS6detail34convert_binary_result_type_wrapperINS9_3SumENS9_22TransformInputIteratorIb7NonZeroIaEPalEElEEEE10hipError_tPvRmT1_T2_T3_mT4_P12ihipStream_tbEUlT_E1_NS1_11comp_targetILNS1_3genE3ELNS1_11target_archE908ELNS1_3gpuE7ELNS1_3repE0EEENS1_30default_config_static_selectorELNS0_4arch9wavefront6targetE0EEEvSM_
		.amdhsa_group_segment_fixed_size 0
		.amdhsa_private_segment_fixed_size 0
		.amdhsa_kernarg_size 48
		.amdhsa_user_sgpr_count 15
		.amdhsa_user_sgpr_dispatch_ptr 0
		.amdhsa_user_sgpr_queue_ptr 0
		.amdhsa_user_sgpr_kernarg_segment_ptr 1
		.amdhsa_user_sgpr_dispatch_id 0
		.amdhsa_user_sgpr_private_segment_size 0
		.amdhsa_wavefront_size32 1
		.amdhsa_uses_dynamic_stack 0
		.amdhsa_enable_private_segment 0
		.amdhsa_system_sgpr_workgroup_id_x 1
		.amdhsa_system_sgpr_workgroup_id_y 0
		.amdhsa_system_sgpr_workgroup_id_z 0
		.amdhsa_system_sgpr_workgroup_info 0
		.amdhsa_system_vgpr_workitem_id 0
		.amdhsa_next_free_vgpr 1
		.amdhsa_next_free_sgpr 1
		.amdhsa_reserve_vcc 0
		.amdhsa_float_round_mode_32 0
		.amdhsa_float_round_mode_16_64 0
		.amdhsa_float_denorm_mode_32 3
		.amdhsa_float_denorm_mode_16_64 3
		.amdhsa_dx10_clamp 1
		.amdhsa_ieee_mode 1
		.amdhsa_fp16_overflow 0
		.amdhsa_workgroup_processor_mode 1
		.amdhsa_memory_ordered 1
		.amdhsa_forward_progress 0
		.amdhsa_shared_vgpr_count 0
		.amdhsa_exception_fp_ieee_invalid_op 0
		.amdhsa_exception_fp_denorm_src 0
		.amdhsa_exception_fp_ieee_div_zero 0
		.amdhsa_exception_fp_ieee_overflow 0
		.amdhsa_exception_fp_ieee_underflow 0
		.amdhsa_exception_fp_ieee_inexact 0
		.amdhsa_exception_int_div_zero 0
	.end_amdhsa_kernel
	.section	.text._ZN7rocprim17ROCPRIM_400000_NS6detail17trampoline_kernelINS0_14default_configENS1_22reduce_config_selectorIlEEZNS1_11reduce_implILb1ES3_PlS7_lN6hipcub16HIPCUB_304000_NS6detail34convert_binary_result_type_wrapperINS9_3SumENS9_22TransformInputIteratorIb7NonZeroIaEPalEElEEEE10hipError_tPvRmT1_T2_T3_mT4_P12ihipStream_tbEUlT_E1_NS1_11comp_targetILNS1_3genE3ELNS1_11target_archE908ELNS1_3gpuE7ELNS1_3repE0EEENS1_30default_config_static_selectorELNS0_4arch9wavefront6targetE0EEEvSM_,"axG",@progbits,_ZN7rocprim17ROCPRIM_400000_NS6detail17trampoline_kernelINS0_14default_configENS1_22reduce_config_selectorIlEEZNS1_11reduce_implILb1ES3_PlS7_lN6hipcub16HIPCUB_304000_NS6detail34convert_binary_result_type_wrapperINS9_3SumENS9_22TransformInputIteratorIb7NonZeroIaEPalEElEEEE10hipError_tPvRmT1_T2_T3_mT4_P12ihipStream_tbEUlT_E1_NS1_11comp_targetILNS1_3genE3ELNS1_11target_archE908ELNS1_3gpuE7ELNS1_3repE0EEENS1_30default_config_static_selectorELNS0_4arch9wavefront6targetE0EEEvSM_,comdat
.Lfunc_end12:
	.size	_ZN7rocprim17ROCPRIM_400000_NS6detail17trampoline_kernelINS0_14default_configENS1_22reduce_config_selectorIlEEZNS1_11reduce_implILb1ES3_PlS7_lN6hipcub16HIPCUB_304000_NS6detail34convert_binary_result_type_wrapperINS9_3SumENS9_22TransformInputIteratorIb7NonZeroIaEPalEElEEEE10hipError_tPvRmT1_T2_T3_mT4_P12ihipStream_tbEUlT_E1_NS1_11comp_targetILNS1_3genE3ELNS1_11target_archE908ELNS1_3gpuE7ELNS1_3repE0EEENS1_30default_config_static_selectorELNS0_4arch9wavefront6targetE0EEEvSM_, .Lfunc_end12-_ZN7rocprim17ROCPRIM_400000_NS6detail17trampoline_kernelINS0_14default_configENS1_22reduce_config_selectorIlEEZNS1_11reduce_implILb1ES3_PlS7_lN6hipcub16HIPCUB_304000_NS6detail34convert_binary_result_type_wrapperINS9_3SumENS9_22TransformInputIteratorIb7NonZeroIaEPalEElEEEE10hipError_tPvRmT1_T2_T3_mT4_P12ihipStream_tbEUlT_E1_NS1_11comp_targetILNS1_3genE3ELNS1_11target_archE908ELNS1_3gpuE7ELNS1_3repE0EEENS1_30default_config_static_selectorELNS0_4arch9wavefront6targetE0EEEvSM_
                                        ; -- End function
	.section	.AMDGPU.csdata,"",@progbits
; Kernel info:
; codeLenInByte = 0
; NumSgprs: 0
; NumVgprs: 0
; ScratchSize: 0
; MemoryBound: 0
; FloatMode: 240
; IeeeMode: 1
; LDSByteSize: 0 bytes/workgroup (compile time only)
; SGPRBlocks: 0
; VGPRBlocks: 0
; NumSGPRsForWavesPerEU: 1
; NumVGPRsForWavesPerEU: 1
; Occupancy: 16
; WaveLimiterHint : 0
; COMPUTE_PGM_RSRC2:SCRATCH_EN: 0
; COMPUTE_PGM_RSRC2:USER_SGPR: 15
; COMPUTE_PGM_RSRC2:TRAP_HANDLER: 0
; COMPUTE_PGM_RSRC2:TGID_X_EN: 1
; COMPUTE_PGM_RSRC2:TGID_Y_EN: 0
; COMPUTE_PGM_RSRC2:TGID_Z_EN: 0
; COMPUTE_PGM_RSRC2:TIDIG_COMP_CNT: 0
	.section	.text._ZN7rocprim17ROCPRIM_400000_NS6detail17trampoline_kernelINS0_14default_configENS1_22reduce_config_selectorIlEEZNS1_11reduce_implILb1ES3_PlS7_lN6hipcub16HIPCUB_304000_NS6detail34convert_binary_result_type_wrapperINS9_3SumENS9_22TransformInputIteratorIb7NonZeroIaEPalEElEEEE10hipError_tPvRmT1_T2_T3_mT4_P12ihipStream_tbEUlT_E1_NS1_11comp_targetILNS1_3genE2ELNS1_11target_archE906ELNS1_3gpuE6ELNS1_3repE0EEENS1_30default_config_static_selectorELNS0_4arch9wavefront6targetE0EEEvSM_,"axG",@progbits,_ZN7rocprim17ROCPRIM_400000_NS6detail17trampoline_kernelINS0_14default_configENS1_22reduce_config_selectorIlEEZNS1_11reduce_implILb1ES3_PlS7_lN6hipcub16HIPCUB_304000_NS6detail34convert_binary_result_type_wrapperINS9_3SumENS9_22TransformInputIteratorIb7NonZeroIaEPalEElEEEE10hipError_tPvRmT1_T2_T3_mT4_P12ihipStream_tbEUlT_E1_NS1_11comp_targetILNS1_3genE2ELNS1_11target_archE906ELNS1_3gpuE6ELNS1_3repE0EEENS1_30default_config_static_selectorELNS0_4arch9wavefront6targetE0EEEvSM_,comdat
	.protected	_ZN7rocprim17ROCPRIM_400000_NS6detail17trampoline_kernelINS0_14default_configENS1_22reduce_config_selectorIlEEZNS1_11reduce_implILb1ES3_PlS7_lN6hipcub16HIPCUB_304000_NS6detail34convert_binary_result_type_wrapperINS9_3SumENS9_22TransformInputIteratorIb7NonZeroIaEPalEElEEEE10hipError_tPvRmT1_T2_T3_mT4_P12ihipStream_tbEUlT_E1_NS1_11comp_targetILNS1_3genE2ELNS1_11target_archE906ELNS1_3gpuE6ELNS1_3repE0EEENS1_30default_config_static_selectorELNS0_4arch9wavefront6targetE0EEEvSM_ ; -- Begin function _ZN7rocprim17ROCPRIM_400000_NS6detail17trampoline_kernelINS0_14default_configENS1_22reduce_config_selectorIlEEZNS1_11reduce_implILb1ES3_PlS7_lN6hipcub16HIPCUB_304000_NS6detail34convert_binary_result_type_wrapperINS9_3SumENS9_22TransformInputIteratorIb7NonZeroIaEPalEElEEEE10hipError_tPvRmT1_T2_T3_mT4_P12ihipStream_tbEUlT_E1_NS1_11comp_targetILNS1_3genE2ELNS1_11target_archE906ELNS1_3gpuE6ELNS1_3repE0EEENS1_30default_config_static_selectorELNS0_4arch9wavefront6targetE0EEEvSM_
	.globl	_ZN7rocprim17ROCPRIM_400000_NS6detail17trampoline_kernelINS0_14default_configENS1_22reduce_config_selectorIlEEZNS1_11reduce_implILb1ES3_PlS7_lN6hipcub16HIPCUB_304000_NS6detail34convert_binary_result_type_wrapperINS9_3SumENS9_22TransformInputIteratorIb7NonZeroIaEPalEElEEEE10hipError_tPvRmT1_T2_T3_mT4_P12ihipStream_tbEUlT_E1_NS1_11comp_targetILNS1_3genE2ELNS1_11target_archE906ELNS1_3gpuE6ELNS1_3repE0EEENS1_30default_config_static_selectorELNS0_4arch9wavefront6targetE0EEEvSM_
	.p2align	8
	.type	_ZN7rocprim17ROCPRIM_400000_NS6detail17trampoline_kernelINS0_14default_configENS1_22reduce_config_selectorIlEEZNS1_11reduce_implILb1ES3_PlS7_lN6hipcub16HIPCUB_304000_NS6detail34convert_binary_result_type_wrapperINS9_3SumENS9_22TransformInputIteratorIb7NonZeroIaEPalEElEEEE10hipError_tPvRmT1_T2_T3_mT4_P12ihipStream_tbEUlT_E1_NS1_11comp_targetILNS1_3genE2ELNS1_11target_archE906ELNS1_3gpuE6ELNS1_3repE0EEENS1_30default_config_static_selectorELNS0_4arch9wavefront6targetE0EEEvSM_,@function
_ZN7rocprim17ROCPRIM_400000_NS6detail17trampoline_kernelINS0_14default_configENS1_22reduce_config_selectorIlEEZNS1_11reduce_implILb1ES3_PlS7_lN6hipcub16HIPCUB_304000_NS6detail34convert_binary_result_type_wrapperINS9_3SumENS9_22TransformInputIteratorIb7NonZeroIaEPalEElEEEE10hipError_tPvRmT1_T2_T3_mT4_P12ihipStream_tbEUlT_E1_NS1_11comp_targetILNS1_3genE2ELNS1_11target_archE906ELNS1_3gpuE6ELNS1_3repE0EEENS1_30default_config_static_selectorELNS0_4arch9wavefront6targetE0EEEvSM_: ; @_ZN7rocprim17ROCPRIM_400000_NS6detail17trampoline_kernelINS0_14default_configENS1_22reduce_config_selectorIlEEZNS1_11reduce_implILb1ES3_PlS7_lN6hipcub16HIPCUB_304000_NS6detail34convert_binary_result_type_wrapperINS9_3SumENS9_22TransformInputIteratorIb7NonZeroIaEPalEElEEEE10hipError_tPvRmT1_T2_T3_mT4_P12ihipStream_tbEUlT_E1_NS1_11comp_targetILNS1_3genE2ELNS1_11target_archE906ELNS1_3gpuE6ELNS1_3repE0EEENS1_30default_config_static_selectorELNS0_4arch9wavefront6targetE0EEEvSM_
; %bb.0:
	.section	.rodata,"a",@progbits
	.p2align	6, 0x0
	.amdhsa_kernel _ZN7rocprim17ROCPRIM_400000_NS6detail17trampoline_kernelINS0_14default_configENS1_22reduce_config_selectorIlEEZNS1_11reduce_implILb1ES3_PlS7_lN6hipcub16HIPCUB_304000_NS6detail34convert_binary_result_type_wrapperINS9_3SumENS9_22TransformInputIteratorIb7NonZeroIaEPalEElEEEE10hipError_tPvRmT1_T2_T3_mT4_P12ihipStream_tbEUlT_E1_NS1_11comp_targetILNS1_3genE2ELNS1_11target_archE906ELNS1_3gpuE6ELNS1_3repE0EEENS1_30default_config_static_selectorELNS0_4arch9wavefront6targetE0EEEvSM_
		.amdhsa_group_segment_fixed_size 0
		.amdhsa_private_segment_fixed_size 0
		.amdhsa_kernarg_size 48
		.amdhsa_user_sgpr_count 15
		.amdhsa_user_sgpr_dispatch_ptr 0
		.amdhsa_user_sgpr_queue_ptr 0
		.amdhsa_user_sgpr_kernarg_segment_ptr 1
		.amdhsa_user_sgpr_dispatch_id 0
		.amdhsa_user_sgpr_private_segment_size 0
		.amdhsa_wavefront_size32 1
		.amdhsa_uses_dynamic_stack 0
		.amdhsa_enable_private_segment 0
		.amdhsa_system_sgpr_workgroup_id_x 1
		.amdhsa_system_sgpr_workgroup_id_y 0
		.amdhsa_system_sgpr_workgroup_id_z 0
		.amdhsa_system_sgpr_workgroup_info 0
		.amdhsa_system_vgpr_workitem_id 0
		.amdhsa_next_free_vgpr 1
		.amdhsa_next_free_sgpr 1
		.amdhsa_reserve_vcc 0
		.amdhsa_float_round_mode_32 0
		.amdhsa_float_round_mode_16_64 0
		.amdhsa_float_denorm_mode_32 3
		.amdhsa_float_denorm_mode_16_64 3
		.amdhsa_dx10_clamp 1
		.amdhsa_ieee_mode 1
		.amdhsa_fp16_overflow 0
		.amdhsa_workgroup_processor_mode 1
		.amdhsa_memory_ordered 1
		.amdhsa_forward_progress 0
		.amdhsa_shared_vgpr_count 0
		.amdhsa_exception_fp_ieee_invalid_op 0
		.amdhsa_exception_fp_denorm_src 0
		.amdhsa_exception_fp_ieee_div_zero 0
		.amdhsa_exception_fp_ieee_overflow 0
		.amdhsa_exception_fp_ieee_underflow 0
		.amdhsa_exception_fp_ieee_inexact 0
		.amdhsa_exception_int_div_zero 0
	.end_amdhsa_kernel
	.section	.text._ZN7rocprim17ROCPRIM_400000_NS6detail17trampoline_kernelINS0_14default_configENS1_22reduce_config_selectorIlEEZNS1_11reduce_implILb1ES3_PlS7_lN6hipcub16HIPCUB_304000_NS6detail34convert_binary_result_type_wrapperINS9_3SumENS9_22TransformInputIteratorIb7NonZeroIaEPalEElEEEE10hipError_tPvRmT1_T2_T3_mT4_P12ihipStream_tbEUlT_E1_NS1_11comp_targetILNS1_3genE2ELNS1_11target_archE906ELNS1_3gpuE6ELNS1_3repE0EEENS1_30default_config_static_selectorELNS0_4arch9wavefront6targetE0EEEvSM_,"axG",@progbits,_ZN7rocprim17ROCPRIM_400000_NS6detail17trampoline_kernelINS0_14default_configENS1_22reduce_config_selectorIlEEZNS1_11reduce_implILb1ES3_PlS7_lN6hipcub16HIPCUB_304000_NS6detail34convert_binary_result_type_wrapperINS9_3SumENS9_22TransformInputIteratorIb7NonZeroIaEPalEElEEEE10hipError_tPvRmT1_T2_T3_mT4_P12ihipStream_tbEUlT_E1_NS1_11comp_targetILNS1_3genE2ELNS1_11target_archE906ELNS1_3gpuE6ELNS1_3repE0EEENS1_30default_config_static_selectorELNS0_4arch9wavefront6targetE0EEEvSM_,comdat
.Lfunc_end13:
	.size	_ZN7rocprim17ROCPRIM_400000_NS6detail17trampoline_kernelINS0_14default_configENS1_22reduce_config_selectorIlEEZNS1_11reduce_implILb1ES3_PlS7_lN6hipcub16HIPCUB_304000_NS6detail34convert_binary_result_type_wrapperINS9_3SumENS9_22TransformInputIteratorIb7NonZeroIaEPalEElEEEE10hipError_tPvRmT1_T2_T3_mT4_P12ihipStream_tbEUlT_E1_NS1_11comp_targetILNS1_3genE2ELNS1_11target_archE906ELNS1_3gpuE6ELNS1_3repE0EEENS1_30default_config_static_selectorELNS0_4arch9wavefront6targetE0EEEvSM_, .Lfunc_end13-_ZN7rocprim17ROCPRIM_400000_NS6detail17trampoline_kernelINS0_14default_configENS1_22reduce_config_selectorIlEEZNS1_11reduce_implILb1ES3_PlS7_lN6hipcub16HIPCUB_304000_NS6detail34convert_binary_result_type_wrapperINS9_3SumENS9_22TransformInputIteratorIb7NonZeroIaEPalEElEEEE10hipError_tPvRmT1_T2_T3_mT4_P12ihipStream_tbEUlT_E1_NS1_11comp_targetILNS1_3genE2ELNS1_11target_archE906ELNS1_3gpuE6ELNS1_3repE0EEENS1_30default_config_static_selectorELNS0_4arch9wavefront6targetE0EEEvSM_
                                        ; -- End function
	.section	.AMDGPU.csdata,"",@progbits
; Kernel info:
; codeLenInByte = 0
; NumSgprs: 0
; NumVgprs: 0
; ScratchSize: 0
; MemoryBound: 0
; FloatMode: 240
; IeeeMode: 1
; LDSByteSize: 0 bytes/workgroup (compile time only)
; SGPRBlocks: 0
; VGPRBlocks: 0
; NumSGPRsForWavesPerEU: 1
; NumVGPRsForWavesPerEU: 1
; Occupancy: 16
; WaveLimiterHint : 0
; COMPUTE_PGM_RSRC2:SCRATCH_EN: 0
; COMPUTE_PGM_RSRC2:USER_SGPR: 15
; COMPUTE_PGM_RSRC2:TRAP_HANDLER: 0
; COMPUTE_PGM_RSRC2:TGID_X_EN: 1
; COMPUTE_PGM_RSRC2:TGID_Y_EN: 0
; COMPUTE_PGM_RSRC2:TGID_Z_EN: 0
; COMPUTE_PGM_RSRC2:TIDIG_COMP_CNT: 0
	.section	.text._ZN7rocprim17ROCPRIM_400000_NS6detail17trampoline_kernelINS0_14default_configENS1_22reduce_config_selectorIlEEZNS1_11reduce_implILb1ES3_PlS7_lN6hipcub16HIPCUB_304000_NS6detail34convert_binary_result_type_wrapperINS9_3SumENS9_22TransformInputIteratorIb7NonZeroIaEPalEElEEEE10hipError_tPvRmT1_T2_T3_mT4_P12ihipStream_tbEUlT_E1_NS1_11comp_targetILNS1_3genE10ELNS1_11target_archE1201ELNS1_3gpuE5ELNS1_3repE0EEENS1_30default_config_static_selectorELNS0_4arch9wavefront6targetE0EEEvSM_,"axG",@progbits,_ZN7rocprim17ROCPRIM_400000_NS6detail17trampoline_kernelINS0_14default_configENS1_22reduce_config_selectorIlEEZNS1_11reduce_implILb1ES3_PlS7_lN6hipcub16HIPCUB_304000_NS6detail34convert_binary_result_type_wrapperINS9_3SumENS9_22TransformInputIteratorIb7NonZeroIaEPalEElEEEE10hipError_tPvRmT1_T2_T3_mT4_P12ihipStream_tbEUlT_E1_NS1_11comp_targetILNS1_3genE10ELNS1_11target_archE1201ELNS1_3gpuE5ELNS1_3repE0EEENS1_30default_config_static_selectorELNS0_4arch9wavefront6targetE0EEEvSM_,comdat
	.protected	_ZN7rocprim17ROCPRIM_400000_NS6detail17trampoline_kernelINS0_14default_configENS1_22reduce_config_selectorIlEEZNS1_11reduce_implILb1ES3_PlS7_lN6hipcub16HIPCUB_304000_NS6detail34convert_binary_result_type_wrapperINS9_3SumENS9_22TransformInputIteratorIb7NonZeroIaEPalEElEEEE10hipError_tPvRmT1_T2_T3_mT4_P12ihipStream_tbEUlT_E1_NS1_11comp_targetILNS1_3genE10ELNS1_11target_archE1201ELNS1_3gpuE5ELNS1_3repE0EEENS1_30default_config_static_selectorELNS0_4arch9wavefront6targetE0EEEvSM_ ; -- Begin function _ZN7rocprim17ROCPRIM_400000_NS6detail17trampoline_kernelINS0_14default_configENS1_22reduce_config_selectorIlEEZNS1_11reduce_implILb1ES3_PlS7_lN6hipcub16HIPCUB_304000_NS6detail34convert_binary_result_type_wrapperINS9_3SumENS9_22TransformInputIteratorIb7NonZeroIaEPalEElEEEE10hipError_tPvRmT1_T2_T3_mT4_P12ihipStream_tbEUlT_E1_NS1_11comp_targetILNS1_3genE10ELNS1_11target_archE1201ELNS1_3gpuE5ELNS1_3repE0EEENS1_30default_config_static_selectorELNS0_4arch9wavefront6targetE0EEEvSM_
	.globl	_ZN7rocprim17ROCPRIM_400000_NS6detail17trampoline_kernelINS0_14default_configENS1_22reduce_config_selectorIlEEZNS1_11reduce_implILb1ES3_PlS7_lN6hipcub16HIPCUB_304000_NS6detail34convert_binary_result_type_wrapperINS9_3SumENS9_22TransformInputIteratorIb7NonZeroIaEPalEElEEEE10hipError_tPvRmT1_T2_T3_mT4_P12ihipStream_tbEUlT_E1_NS1_11comp_targetILNS1_3genE10ELNS1_11target_archE1201ELNS1_3gpuE5ELNS1_3repE0EEENS1_30default_config_static_selectorELNS0_4arch9wavefront6targetE0EEEvSM_
	.p2align	8
	.type	_ZN7rocprim17ROCPRIM_400000_NS6detail17trampoline_kernelINS0_14default_configENS1_22reduce_config_selectorIlEEZNS1_11reduce_implILb1ES3_PlS7_lN6hipcub16HIPCUB_304000_NS6detail34convert_binary_result_type_wrapperINS9_3SumENS9_22TransformInputIteratorIb7NonZeroIaEPalEElEEEE10hipError_tPvRmT1_T2_T3_mT4_P12ihipStream_tbEUlT_E1_NS1_11comp_targetILNS1_3genE10ELNS1_11target_archE1201ELNS1_3gpuE5ELNS1_3repE0EEENS1_30default_config_static_selectorELNS0_4arch9wavefront6targetE0EEEvSM_,@function
_ZN7rocprim17ROCPRIM_400000_NS6detail17trampoline_kernelINS0_14default_configENS1_22reduce_config_selectorIlEEZNS1_11reduce_implILb1ES3_PlS7_lN6hipcub16HIPCUB_304000_NS6detail34convert_binary_result_type_wrapperINS9_3SumENS9_22TransformInputIteratorIb7NonZeroIaEPalEElEEEE10hipError_tPvRmT1_T2_T3_mT4_P12ihipStream_tbEUlT_E1_NS1_11comp_targetILNS1_3genE10ELNS1_11target_archE1201ELNS1_3gpuE5ELNS1_3repE0EEENS1_30default_config_static_selectorELNS0_4arch9wavefront6targetE0EEEvSM_: ; @_ZN7rocprim17ROCPRIM_400000_NS6detail17trampoline_kernelINS0_14default_configENS1_22reduce_config_selectorIlEEZNS1_11reduce_implILb1ES3_PlS7_lN6hipcub16HIPCUB_304000_NS6detail34convert_binary_result_type_wrapperINS9_3SumENS9_22TransformInputIteratorIb7NonZeroIaEPalEElEEEE10hipError_tPvRmT1_T2_T3_mT4_P12ihipStream_tbEUlT_E1_NS1_11comp_targetILNS1_3genE10ELNS1_11target_archE1201ELNS1_3gpuE5ELNS1_3repE0EEENS1_30default_config_static_selectorELNS0_4arch9wavefront6targetE0EEEvSM_
; %bb.0:
	.section	.rodata,"a",@progbits
	.p2align	6, 0x0
	.amdhsa_kernel _ZN7rocprim17ROCPRIM_400000_NS6detail17trampoline_kernelINS0_14default_configENS1_22reduce_config_selectorIlEEZNS1_11reduce_implILb1ES3_PlS7_lN6hipcub16HIPCUB_304000_NS6detail34convert_binary_result_type_wrapperINS9_3SumENS9_22TransformInputIteratorIb7NonZeroIaEPalEElEEEE10hipError_tPvRmT1_T2_T3_mT4_P12ihipStream_tbEUlT_E1_NS1_11comp_targetILNS1_3genE10ELNS1_11target_archE1201ELNS1_3gpuE5ELNS1_3repE0EEENS1_30default_config_static_selectorELNS0_4arch9wavefront6targetE0EEEvSM_
		.amdhsa_group_segment_fixed_size 0
		.amdhsa_private_segment_fixed_size 0
		.amdhsa_kernarg_size 48
		.amdhsa_user_sgpr_count 15
		.amdhsa_user_sgpr_dispatch_ptr 0
		.amdhsa_user_sgpr_queue_ptr 0
		.amdhsa_user_sgpr_kernarg_segment_ptr 1
		.amdhsa_user_sgpr_dispatch_id 0
		.amdhsa_user_sgpr_private_segment_size 0
		.amdhsa_wavefront_size32 1
		.amdhsa_uses_dynamic_stack 0
		.amdhsa_enable_private_segment 0
		.amdhsa_system_sgpr_workgroup_id_x 1
		.amdhsa_system_sgpr_workgroup_id_y 0
		.amdhsa_system_sgpr_workgroup_id_z 0
		.amdhsa_system_sgpr_workgroup_info 0
		.amdhsa_system_vgpr_workitem_id 0
		.amdhsa_next_free_vgpr 1
		.amdhsa_next_free_sgpr 1
		.amdhsa_reserve_vcc 0
		.amdhsa_float_round_mode_32 0
		.amdhsa_float_round_mode_16_64 0
		.amdhsa_float_denorm_mode_32 3
		.amdhsa_float_denorm_mode_16_64 3
		.amdhsa_dx10_clamp 1
		.amdhsa_ieee_mode 1
		.amdhsa_fp16_overflow 0
		.amdhsa_workgroup_processor_mode 1
		.amdhsa_memory_ordered 1
		.amdhsa_forward_progress 0
		.amdhsa_shared_vgpr_count 0
		.amdhsa_exception_fp_ieee_invalid_op 0
		.amdhsa_exception_fp_denorm_src 0
		.amdhsa_exception_fp_ieee_div_zero 0
		.amdhsa_exception_fp_ieee_overflow 0
		.amdhsa_exception_fp_ieee_underflow 0
		.amdhsa_exception_fp_ieee_inexact 0
		.amdhsa_exception_int_div_zero 0
	.end_amdhsa_kernel
	.section	.text._ZN7rocprim17ROCPRIM_400000_NS6detail17trampoline_kernelINS0_14default_configENS1_22reduce_config_selectorIlEEZNS1_11reduce_implILb1ES3_PlS7_lN6hipcub16HIPCUB_304000_NS6detail34convert_binary_result_type_wrapperINS9_3SumENS9_22TransformInputIteratorIb7NonZeroIaEPalEElEEEE10hipError_tPvRmT1_T2_T3_mT4_P12ihipStream_tbEUlT_E1_NS1_11comp_targetILNS1_3genE10ELNS1_11target_archE1201ELNS1_3gpuE5ELNS1_3repE0EEENS1_30default_config_static_selectorELNS0_4arch9wavefront6targetE0EEEvSM_,"axG",@progbits,_ZN7rocprim17ROCPRIM_400000_NS6detail17trampoline_kernelINS0_14default_configENS1_22reduce_config_selectorIlEEZNS1_11reduce_implILb1ES3_PlS7_lN6hipcub16HIPCUB_304000_NS6detail34convert_binary_result_type_wrapperINS9_3SumENS9_22TransformInputIteratorIb7NonZeroIaEPalEElEEEE10hipError_tPvRmT1_T2_T3_mT4_P12ihipStream_tbEUlT_E1_NS1_11comp_targetILNS1_3genE10ELNS1_11target_archE1201ELNS1_3gpuE5ELNS1_3repE0EEENS1_30default_config_static_selectorELNS0_4arch9wavefront6targetE0EEEvSM_,comdat
.Lfunc_end14:
	.size	_ZN7rocprim17ROCPRIM_400000_NS6detail17trampoline_kernelINS0_14default_configENS1_22reduce_config_selectorIlEEZNS1_11reduce_implILb1ES3_PlS7_lN6hipcub16HIPCUB_304000_NS6detail34convert_binary_result_type_wrapperINS9_3SumENS9_22TransformInputIteratorIb7NonZeroIaEPalEElEEEE10hipError_tPvRmT1_T2_T3_mT4_P12ihipStream_tbEUlT_E1_NS1_11comp_targetILNS1_3genE10ELNS1_11target_archE1201ELNS1_3gpuE5ELNS1_3repE0EEENS1_30default_config_static_selectorELNS0_4arch9wavefront6targetE0EEEvSM_, .Lfunc_end14-_ZN7rocprim17ROCPRIM_400000_NS6detail17trampoline_kernelINS0_14default_configENS1_22reduce_config_selectorIlEEZNS1_11reduce_implILb1ES3_PlS7_lN6hipcub16HIPCUB_304000_NS6detail34convert_binary_result_type_wrapperINS9_3SumENS9_22TransformInputIteratorIb7NonZeroIaEPalEElEEEE10hipError_tPvRmT1_T2_T3_mT4_P12ihipStream_tbEUlT_E1_NS1_11comp_targetILNS1_3genE10ELNS1_11target_archE1201ELNS1_3gpuE5ELNS1_3repE0EEENS1_30default_config_static_selectorELNS0_4arch9wavefront6targetE0EEEvSM_
                                        ; -- End function
	.section	.AMDGPU.csdata,"",@progbits
; Kernel info:
; codeLenInByte = 0
; NumSgprs: 0
; NumVgprs: 0
; ScratchSize: 0
; MemoryBound: 0
; FloatMode: 240
; IeeeMode: 1
; LDSByteSize: 0 bytes/workgroup (compile time only)
; SGPRBlocks: 0
; VGPRBlocks: 0
; NumSGPRsForWavesPerEU: 1
; NumVGPRsForWavesPerEU: 1
; Occupancy: 16
; WaveLimiterHint : 0
; COMPUTE_PGM_RSRC2:SCRATCH_EN: 0
; COMPUTE_PGM_RSRC2:USER_SGPR: 15
; COMPUTE_PGM_RSRC2:TRAP_HANDLER: 0
; COMPUTE_PGM_RSRC2:TGID_X_EN: 1
; COMPUTE_PGM_RSRC2:TGID_Y_EN: 0
; COMPUTE_PGM_RSRC2:TGID_Z_EN: 0
; COMPUTE_PGM_RSRC2:TIDIG_COMP_CNT: 0
	.section	.text._ZN7rocprim17ROCPRIM_400000_NS6detail17trampoline_kernelINS0_14default_configENS1_22reduce_config_selectorIlEEZNS1_11reduce_implILb1ES3_PlS7_lN6hipcub16HIPCUB_304000_NS6detail34convert_binary_result_type_wrapperINS9_3SumENS9_22TransformInputIteratorIb7NonZeroIaEPalEElEEEE10hipError_tPvRmT1_T2_T3_mT4_P12ihipStream_tbEUlT_E1_NS1_11comp_targetILNS1_3genE10ELNS1_11target_archE1200ELNS1_3gpuE4ELNS1_3repE0EEENS1_30default_config_static_selectorELNS0_4arch9wavefront6targetE0EEEvSM_,"axG",@progbits,_ZN7rocprim17ROCPRIM_400000_NS6detail17trampoline_kernelINS0_14default_configENS1_22reduce_config_selectorIlEEZNS1_11reduce_implILb1ES3_PlS7_lN6hipcub16HIPCUB_304000_NS6detail34convert_binary_result_type_wrapperINS9_3SumENS9_22TransformInputIteratorIb7NonZeroIaEPalEElEEEE10hipError_tPvRmT1_T2_T3_mT4_P12ihipStream_tbEUlT_E1_NS1_11comp_targetILNS1_3genE10ELNS1_11target_archE1200ELNS1_3gpuE4ELNS1_3repE0EEENS1_30default_config_static_selectorELNS0_4arch9wavefront6targetE0EEEvSM_,comdat
	.protected	_ZN7rocprim17ROCPRIM_400000_NS6detail17trampoline_kernelINS0_14default_configENS1_22reduce_config_selectorIlEEZNS1_11reduce_implILb1ES3_PlS7_lN6hipcub16HIPCUB_304000_NS6detail34convert_binary_result_type_wrapperINS9_3SumENS9_22TransformInputIteratorIb7NonZeroIaEPalEElEEEE10hipError_tPvRmT1_T2_T3_mT4_P12ihipStream_tbEUlT_E1_NS1_11comp_targetILNS1_3genE10ELNS1_11target_archE1200ELNS1_3gpuE4ELNS1_3repE0EEENS1_30default_config_static_selectorELNS0_4arch9wavefront6targetE0EEEvSM_ ; -- Begin function _ZN7rocprim17ROCPRIM_400000_NS6detail17trampoline_kernelINS0_14default_configENS1_22reduce_config_selectorIlEEZNS1_11reduce_implILb1ES3_PlS7_lN6hipcub16HIPCUB_304000_NS6detail34convert_binary_result_type_wrapperINS9_3SumENS9_22TransformInputIteratorIb7NonZeroIaEPalEElEEEE10hipError_tPvRmT1_T2_T3_mT4_P12ihipStream_tbEUlT_E1_NS1_11comp_targetILNS1_3genE10ELNS1_11target_archE1200ELNS1_3gpuE4ELNS1_3repE0EEENS1_30default_config_static_selectorELNS0_4arch9wavefront6targetE0EEEvSM_
	.globl	_ZN7rocprim17ROCPRIM_400000_NS6detail17trampoline_kernelINS0_14default_configENS1_22reduce_config_selectorIlEEZNS1_11reduce_implILb1ES3_PlS7_lN6hipcub16HIPCUB_304000_NS6detail34convert_binary_result_type_wrapperINS9_3SumENS9_22TransformInputIteratorIb7NonZeroIaEPalEElEEEE10hipError_tPvRmT1_T2_T3_mT4_P12ihipStream_tbEUlT_E1_NS1_11comp_targetILNS1_3genE10ELNS1_11target_archE1200ELNS1_3gpuE4ELNS1_3repE0EEENS1_30default_config_static_selectorELNS0_4arch9wavefront6targetE0EEEvSM_
	.p2align	8
	.type	_ZN7rocprim17ROCPRIM_400000_NS6detail17trampoline_kernelINS0_14default_configENS1_22reduce_config_selectorIlEEZNS1_11reduce_implILb1ES3_PlS7_lN6hipcub16HIPCUB_304000_NS6detail34convert_binary_result_type_wrapperINS9_3SumENS9_22TransformInputIteratorIb7NonZeroIaEPalEElEEEE10hipError_tPvRmT1_T2_T3_mT4_P12ihipStream_tbEUlT_E1_NS1_11comp_targetILNS1_3genE10ELNS1_11target_archE1200ELNS1_3gpuE4ELNS1_3repE0EEENS1_30default_config_static_selectorELNS0_4arch9wavefront6targetE0EEEvSM_,@function
_ZN7rocprim17ROCPRIM_400000_NS6detail17trampoline_kernelINS0_14default_configENS1_22reduce_config_selectorIlEEZNS1_11reduce_implILb1ES3_PlS7_lN6hipcub16HIPCUB_304000_NS6detail34convert_binary_result_type_wrapperINS9_3SumENS9_22TransformInputIteratorIb7NonZeroIaEPalEElEEEE10hipError_tPvRmT1_T2_T3_mT4_P12ihipStream_tbEUlT_E1_NS1_11comp_targetILNS1_3genE10ELNS1_11target_archE1200ELNS1_3gpuE4ELNS1_3repE0EEENS1_30default_config_static_selectorELNS0_4arch9wavefront6targetE0EEEvSM_: ; @_ZN7rocprim17ROCPRIM_400000_NS6detail17trampoline_kernelINS0_14default_configENS1_22reduce_config_selectorIlEEZNS1_11reduce_implILb1ES3_PlS7_lN6hipcub16HIPCUB_304000_NS6detail34convert_binary_result_type_wrapperINS9_3SumENS9_22TransformInputIteratorIb7NonZeroIaEPalEElEEEE10hipError_tPvRmT1_T2_T3_mT4_P12ihipStream_tbEUlT_E1_NS1_11comp_targetILNS1_3genE10ELNS1_11target_archE1200ELNS1_3gpuE4ELNS1_3repE0EEENS1_30default_config_static_selectorELNS0_4arch9wavefront6targetE0EEEvSM_
; %bb.0:
	.section	.rodata,"a",@progbits
	.p2align	6, 0x0
	.amdhsa_kernel _ZN7rocprim17ROCPRIM_400000_NS6detail17trampoline_kernelINS0_14default_configENS1_22reduce_config_selectorIlEEZNS1_11reduce_implILb1ES3_PlS7_lN6hipcub16HIPCUB_304000_NS6detail34convert_binary_result_type_wrapperINS9_3SumENS9_22TransformInputIteratorIb7NonZeroIaEPalEElEEEE10hipError_tPvRmT1_T2_T3_mT4_P12ihipStream_tbEUlT_E1_NS1_11comp_targetILNS1_3genE10ELNS1_11target_archE1200ELNS1_3gpuE4ELNS1_3repE0EEENS1_30default_config_static_selectorELNS0_4arch9wavefront6targetE0EEEvSM_
		.amdhsa_group_segment_fixed_size 0
		.amdhsa_private_segment_fixed_size 0
		.amdhsa_kernarg_size 48
		.amdhsa_user_sgpr_count 15
		.amdhsa_user_sgpr_dispatch_ptr 0
		.amdhsa_user_sgpr_queue_ptr 0
		.amdhsa_user_sgpr_kernarg_segment_ptr 1
		.amdhsa_user_sgpr_dispatch_id 0
		.amdhsa_user_sgpr_private_segment_size 0
		.amdhsa_wavefront_size32 1
		.amdhsa_uses_dynamic_stack 0
		.amdhsa_enable_private_segment 0
		.amdhsa_system_sgpr_workgroup_id_x 1
		.amdhsa_system_sgpr_workgroup_id_y 0
		.amdhsa_system_sgpr_workgroup_id_z 0
		.amdhsa_system_sgpr_workgroup_info 0
		.amdhsa_system_vgpr_workitem_id 0
		.amdhsa_next_free_vgpr 1
		.amdhsa_next_free_sgpr 1
		.amdhsa_reserve_vcc 0
		.amdhsa_float_round_mode_32 0
		.amdhsa_float_round_mode_16_64 0
		.amdhsa_float_denorm_mode_32 3
		.amdhsa_float_denorm_mode_16_64 3
		.amdhsa_dx10_clamp 1
		.amdhsa_ieee_mode 1
		.amdhsa_fp16_overflow 0
		.amdhsa_workgroup_processor_mode 1
		.amdhsa_memory_ordered 1
		.amdhsa_forward_progress 0
		.amdhsa_shared_vgpr_count 0
		.amdhsa_exception_fp_ieee_invalid_op 0
		.amdhsa_exception_fp_denorm_src 0
		.amdhsa_exception_fp_ieee_div_zero 0
		.amdhsa_exception_fp_ieee_overflow 0
		.amdhsa_exception_fp_ieee_underflow 0
		.amdhsa_exception_fp_ieee_inexact 0
		.amdhsa_exception_int_div_zero 0
	.end_amdhsa_kernel
	.section	.text._ZN7rocprim17ROCPRIM_400000_NS6detail17trampoline_kernelINS0_14default_configENS1_22reduce_config_selectorIlEEZNS1_11reduce_implILb1ES3_PlS7_lN6hipcub16HIPCUB_304000_NS6detail34convert_binary_result_type_wrapperINS9_3SumENS9_22TransformInputIteratorIb7NonZeroIaEPalEElEEEE10hipError_tPvRmT1_T2_T3_mT4_P12ihipStream_tbEUlT_E1_NS1_11comp_targetILNS1_3genE10ELNS1_11target_archE1200ELNS1_3gpuE4ELNS1_3repE0EEENS1_30default_config_static_selectorELNS0_4arch9wavefront6targetE0EEEvSM_,"axG",@progbits,_ZN7rocprim17ROCPRIM_400000_NS6detail17trampoline_kernelINS0_14default_configENS1_22reduce_config_selectorIlEEZNS1_11reduce_implILb1ES3_PlS7_lN6hipcub16HIPCUB_304000_NS6detail34convert_binary_result_type_wrapperINS9_3SumENS9_22TransformInputIteratorIb7NonZeroIaEPalEElEEEE10hipError_tPvRmT1_T2_T3_mT4_P12ihipStream_tbEUlT_E1_NS1_11comp_targetILNS1_3genE10ELNS1_11target_archE1200ELNS1_3gpuE4ELNS1_3repE0EEENS1_30default_config_static_selectorELNS0_4arch9wavefront6targetE0EEEvSM_,comdat
.Lfunc_end15:
	.size	_ZN7rocprim17ROCPRIM_400000_NS6detail17trampoline_kernelINS0_14default_configENS1_22reduce_config_selectorIlEEZNS1_11reduce_implILb1ES3_PlS7_lN6hipcub16HIPCUB_304000_NS6detail34convert_binary_result_type_wrapperINS9_3SumENS9_22TransformInputIteratorIb7NonZeroIaEPalEElEEEE10hipError_tPvRmT1_T2_T3_mT4_P12ihipStream_tbEUlT_E1_NS1_11comp_targetILNS1_3genE10ELNS1_11target_archE1200ELNS1_3gpuE4ELNS1_3repE0EEENS1_30default_config_static_selectorELNS0_4arch9wavefront6targetE0EEEvSM_, .Lfunc_end15-_ZN7rocprim17ROCPRIM_400000_NS6detail17trampoline_kernelINS0_14default_configENS1_22reduce_config_selectorIlEEZNS1_11reduce_implILb1ES3_PlS7_lN6hipcub16HIPCUB_304000_NS6detail34convert_binary_result_type_wrapperINS9_3SumENS9_22TransformInputIteratorIb7NonZeroIaEPalEElEEEE10hipError_tPvRmT1_T2_T3_mT4_P12ihipStream_tbEUlT_E1_NS1_11comp_targetILNS1_3genE10ELNS1_11target_archE1200ELNS1_3gpuE4ELNS1_3repE0EEENS1_30default_config_static_selectorELNS0_4arch9wavefront6targetE0EEEvSM_
                                        ; -- End function
	.section	.AMDGPU.csdata,"",@progbits
; Kernel info:
; codeLenInByte = 0
; NumSgprs: 0
; NumVgprs: 0
; ScratchSize: 0
; MemoryBound: 0
; FloatMode: 240
; IeeeMode: 1
; LDSByteSize: 0 bytes/workgroup (compile time only)
; SGPRBlocks: 0
; VGPRBlocks: 0
; NumSGPRsForWavesPerEU: 1
; NumVGPRsForWavesPerEU: 1
; Occupancy: 16
; WaveLimiterHint : 0
; COMPUTE_PGM_RSRC2:SCRATCH_EN: 0
; COMPUTE_PGM_RSRC2:USER_SGPR: 15
; COMPUTE_PGM_RSRC2:TRAP_HANDLER: 0
; COMPUTE_PGM_RSRC2:TGID_X_EN: 1
; COMPUTE_PGM_RSRC2:TGID_Y_EN: 0
; COMPUTE_PGM_RSRC2:TGID_Z_EN: 0
; COMPUTE_PGM_RSRC2:TIDIG_COMP_CNT: 0
	.section	.text._ZN7rocprim17ROCPRIM_400000_NS6detail17trampoline_kernelINS0_14default_configENS1_22reduce_config_selectorIlEEZNS1_11reduce_implILb1ES3_PlS7_lN6hipcub16HIPCUB_304000_NS6detail34convert_binary_result_type_wrapperINS9_3SumENS9_22TransformInputIteratorIb7NonZeroIaEPalEElEEEE10hipError_tPvRmT1_T2_T3_mT4_P12ihipStream_tbEUlT_E1_NS1_11comp_targetILNS1_3genE9ELNS1_11target_archE1100ELNS1_3gpuE3ELNS1_3repE0EEENS1_30default_config_static_selectorELNS0_4arch9wavefront6targetE0EEEvSM_,"axG",@progbits,_ZN7rocprim17ROCPRIM_400000_NS6detail17trampoline_kernelINS0_14default_configENS1_22reduce_config_selectorIlEEZNS1_11reduce_implILb1ES3_PlS7_lN6hipcub16HIPCUB_304000_NS6detail34convert_binary_result_type_wrapperINS9_3SumENS9_22TransformInputIteratorIb7NonZeroIaEPalEElEEEE10hipError_tPvRmT1_T2_T3_mT4_P12ihipStream_tbEUlT_E1_NS1_11comp_targetILNS1_3genE9ELNS1_11target_archE1100ELNS1_3gpuE3ELNS1_3repE0EEENS1_30default_config_static_selectorELNS0_4arch9wavefront6targetE0EEEvSM_,comdat
	.protected	_ZN7rocprim17ROCPRIM_400000_NS6detail17trampoline_kernelINS0_14default_configENS1_22reduce_config_selectorIlEEZNS1_11reduce_implILb1ES3_PlS7_lN6hipcub16HIPCUB_304000_NS6detail34convert_binary_result_type_wrapperINS9_3SumENS9_22TransformInputIteratorIb7NonZeroIaEPalEElEEEE10hipError_tPvRmT1_T2_T3_mT4_P12ihipStream_tbEUlT_E1_NS1_11comp_targetILNS1_3genE9ELNS1_11target_archE1100ELNS1_3gpuE3ELNS1_3repE0EEENS1_30default_config_static_selectorELNS0_4arch9wavefront6targetE0EEEvSM_ ; -- Begin function _ZN7rocprim17ROCPRIM_400000_NS6detail17trampoline_kernelINS0_14default_configENS1_22reduce_config_selectorIlEEZNS1_11reduce_implILb1ES3_PlS7_lN6hipcub16HIPCUB_304000_NS6detail34convert_binary_result_type_wrapperINS9_3SumENS9_22TransformInputIteratorIb7NonZeroIaEPalEElEEEE10hipError_tPvRmT1_T2_T3_mT4_P12ihipStream_tbEUlT_E1_NS1_11comp_targetILNS1_3genE9ELNS1_11target_archE1100ELNS1_3gpuE3ELNS1_3repE0EEENS1_30default_config_static_selectorELNS0_4arch9wavefront6targetE0EEEvSM_
	.globl	_ZN7rocprim17ROCPRIM_400000_NS6detail17trampoline_kernelINS0_14default_configENS1_22reduce_config_selectorIlEEZNS1_11reduce_implILb1ES3_PlS7_lN6hipcub16HIPCUB_304000_NS6detail34convert_binary_result_type_wrapperINS9_3SumENS9_22TransformInputIteratorIb7NonZeroIaEPalEElEEEE10hipError_tPvRmT1_T2_T3_mT4_P12ihipStream_tbEUlT_E1_NS1_11comp_targetILNS1_3genE9ELNS1_11target_archE1100ELNS1_3gpuE3ELNS1_3repE0EEENS1_30default_config_static_selectorELNS0_4arch9wavefront6targetE0EEEvSM_
	.p2align	8
	.type	_ZN7rocprim17ROCPRIM_400000_NS6detail17trampoline_kernelINS0_14default_configENS1_22reduce_config_selectorIlEEZNS1_11reduce_implILb1ES3_PlS7_lN6hipcub16HIPCUB_304000_NS6detail34convert_binary_result_type_wrapperINS9_3SumENS9_22TransformInputIteratorIb7NonZeroIaEPalEElEEEE10hipError_tPvRmT1_T2_T3_mT4_P12ihipStream_tbEUlT_E1_NS1_11comp_targetILNS1_3genE9ELNS1_11target_archE1100ELNS1_3gpuE3ELNS1_3repE0EEENS1_30default_config_static_selectorELNS0_4arch9wavefront6targetE0EEEvSM_,@function
_ZN7rocprim17ROCPRIM_400000_NS6detail17trampoline_kernelINS0_14default_configENS1_22reduce_config_selectorIlEEZNS1_11reduce_implILb1ES3_PlS7_lN6hipcub16HIPCUB_304000_NS6detail34convert_binary_result_type_wrapperINS9_3SumENS9_22TransformInputIteratorIb7NonZeroIaEPalEElEEEE10hipError_tPvRmT1_T2_T3_mT4_P12ihipStream_tbEUlT_E1_NS1_11comp_targetILNS1_3genE9ELNS1_11target_archE1100ELNS1_3gpuE3ELNS1_3repE0EEENS1_30default_config_static_selectorELNS0_4arch9wavefront6targetE0EEEvSM_: ; @_ZN7rocprim17ROCPRIM_400000_NS6detail17trampoline_kernelINS0_14default_configENS1_22reduce_config_selectorIlEEZNS1_11reduce_implILb1ES3_PlS7_lN6hipcub16HIPCUB_304000_NS6detail34convert_binary_result_type_wrapperINS9_3SumENS9_22TransformInputIteratorIb7NonZeroIaEPalEElEEEE10hipError_tPvRmT1_T2_T3_mT4_P12ihipStream_tbEUlT_E1_NS1_11comp_targetILNS1_3genE9ELNS1_11target_archE1100ELNS1_3gpuE3ELNS1_3repE0EEENS1_30default_config_static_selectorELNS0_4arch9wavefront6targetE0EEEvSM_
; %bb.0:
	s_clause 0x1
	s_load_b32 s26, s[0:1], 0x4
	s_load_b256 s[16:23], s[0:1], 0x8
	s_mov_b32 s14, s15
	s_waitcnt lgkmcnt(0)
	s_cmp_lt_i32 s26, 4
	s_cbranch_scc1 .LBB16_11
; %bb.1:
	s_cmp_gt_i32 s26, 7
	s_cbranch_scc0 .LBB16_12
; %bb.2:
	s_cmp_gt_i32 s26, 15
	s_cbranch_scc0 .LBB16_13
; %bb.3:
	s_mov_b32 s27, 0
	s_cmp_eq_u32 s26, 16
	s_mov_b32 s0, 0
                                        ; implicit-def: $vgpr1_vgpr2
	s_cbranch_scc0 .LBB16_14
; %bb.4:
	s_mov_b32 s15, 0
	s_lshl_b32 s0, s14, 12
	s_mov_b32 s1, s15
	s_lshr_b64 s[4:5], s[18:19], 12
	s_lshl_b64 s[2:3], s[0:1], 3
	s_delay_alu instid0(SALU_CYCLE_1)
	s_add_u32 s24, s16, s2
	s_addc_u32 s25, s17, s3
	s_cmp_lg_u64 s[4:5], s[14:15]
	s_cbranch_scc0 .LBB16_22
; %bb.5:
	v_lshlrev_b32_e32 v3, 3, v0
	s_delay_alu instid0(VALU_DEP_1) | instskip(NEXT) | instid1(VALU_DEP_1)
	v_add_co_u32 v29, s1, s24, v3
	v_add_co_ci_u32_e64 v30, null, s25, 0, s1
	s_clause 0x1
	global_load_b64 v[1:2], v3, s[24:25]
	global_load_b64 v[3:4], v3, s[24:25] offset:2048
	v_add_co_u32 v5, vcc_lo, v29, 0x2000
	v_add_co_ci_u32_e32 v6, vcc_lo, 0, v30, vcc_lo
	v_add_co_u32 v7, vcc_lo, 0x1000, v29
	v_add_co_ci_u32_e32 v8, vcc_lo, 0, v30, vcc_lo
	v_add_co_u32 v11, vcc_lo, 0x2000, v29
	s_clause 0x1
	global_load_b64 v[9:10], v[5:6], off offset:-4096
	global_load_b64 v[7:8], v[7:8], off offset:2048
	v_add_co_ci_u32_e32 v12, vcc_lo, 0, v30, vcc_lo
	global_load_b64 v[5:6], v[5:6], off
	v_add_co_u32 v13, vcc_lo, v29, 0x4000
	global_load_b64 v[11:12], v[11:12], off offset:2048
	v_add_co_ci_u32_e32 v14, vcc_lo, 0, v30, vcc_lo
	v_add_co_u32 v15, vcc_lo, 0x3000, v29
	v_add_co_ci_u32_e32 v16, vcc_lo, 0, v30, vcc_lo
	s_clause 0x1
	global_load_b64 v[17:18], v[13:14], off offset:-4096
	global_load_b64 v[15:16], v[15:16], off offset:2048
	v_add_co_u32 v19, vcc_lo, 0x4000, v29
	v_add_co_ci_u32_e32 v20, vcc_lo, 0, v30, vcc_lo
	global_load_b64 v[13:14], v[13:14], off
	v_add_co_u32 v21, vcc_lo, v29, 0x6000
	global_load_b64 v[19:20], v[19:20], off offset:2048
	v_add_co_ci_u32_e32 v22, vcc_lo, 0, v30, vcc_lo
	v_add_co_u32 v23, vcc_lo, 0x5000, v29
	v_add_co_ci_u32_e32 v24, vcc_lo, 0, v30, vcc_lo
	s_clause 0x1
	global_load_b64 v[25:26], v[21:22], off offset:-4096
	global_load_b64 v[23:24], v[23:24], off offset:2048
	v_add_co_u32 v27, vcc_lo, 0x6000, v29
	v_add_co_ci_u32_e32 v28, vcc_lo, 0, v30, vcc_lo
	global_load_b64 v[21:22], v[21:22], off
	v_add_co_u32 v29, vcc_lo, 0x7000, v29
	v_add_co_ci_u32_e32 v30, vcc_lo, 0, v30, vcc_lo
	s_clause 0x2
	global_load_b64 v[27:28], v[27:28], off offset:2048
	global_load_b64 v[31:32], v[29:30], off
	global_load_b64 v[29:30], v[29:30], off offset:2048
	s_mov_b32 s1, exec_lo
	s_waitcnt vmcnt(14)
	v_add_co_u32 v1, vcc_lo, v3, v1
	v_add_co_ci_u32_e32 v2, vcc_lo, v4, v2, vcc_lo
	s_waitcnt vmcnt(13)
	s_delay_alu instid0(VALU_DEP_2) | instskip(NEXT) | instid1(VALU_DEP_2)
	v_add_co_u32 v1, vcc_lo, v1, v9
	v_add_co_ci_u32_e32 v2, vcc_lo, v2, v10, vcc_lo
	s_waitcnt vmcnt(12)
	s_delay_alu instid0(VALU_DEP_2) | instskip(NEXT) | instid1(VALU_DEP_2)
	;; [unrolled: 4-line block ×14, first 2 shown]
	v_add_co_u32 v1, vcc_lo, v1, v29
	v_add_co_ci_u32_e32 v2, vcc_lo, v2, v30, vcc_lo
	s_delay_alu instid0(VALU_DEP_2) | instskip(NEXT) | instid1(VALU_DEP_1)
	v_mov_b32_dpp v3, v1 quad_perm:[1,0,3,2] row_mask:0xf bank_mask:0xf
	v_add_co_u32 v1, vcc_lo, v1, v3
	s_delay_alu instid0(VALU_DEP_3) | instskip(SKIP_1) | instid1(VALU_DEP_3)
	v_mov_b32_dpp v3, v2 quad_perm:[1,0,3,2] row_mask:0xf bank_mask:0xf
	v_add_co_ci_u32_e32 v2, vcc_lo, 0, v2, vcc_lo
	v_mov_b32_dpp v4, v1 quad_perm:[2,3,0,1] row_mask:0xf bank_mask:0xf
	v_add_co_u32 v1, vcc_lo, 0, v1
	s_delay_alu instid0(VALU_DEP_3) | instskip(NEXT) | instid1(VALU_DEP_2)
	v_add_co_ci_u32_e32 v2, vcc_lo, v3, v2, vcc_lo
	v_add_co_u32 v1, vcc_lo, v1, v4
	s_delay_alu instid0(VALU_DEP_2) | instskip(SKIP_1) | instid1(VALU_DEP_3)
	v_mov_b32_dpp v3, v2 quad_perm:[2,3,0,1] row_mask:0xf bank_mask:0xf
	v_add_co_ci_u32_e32 v2, vcc_lo, 0, v2, vcc_lo
	v_mov_b32_dpp v4, v1 row_ror:4 row_mask:0xf bank_mask:0xf
	v_add_co_u32 v1, vcc_lo, v1, 0
	s_delay_alu instid0(VALU_DEP_3) | instskip(NEXT) | instid1(VALU_DEP_2)
	v_add_co_ci_u32_e32 v2, vcc_lo, v2, v3, vcc_lo
	v_add_co_u32 v1, vcc_lo, v1, v4
	s_delay_alu instid0(VALU_DEP_2) | instskip(SKIP_1) | instid1(VALU_DEP_3)
	v_mov_b32_dpp v3, v2 row_ror:4 row_mask:0xf bank_mask:0xf
	v_add_co_ci_u32_e32 v2, vcc_lo, 0, v2, vcc_lo
	v_mov_b32_dpp v4, v1 row_ror:8 row_mask:0xf bank_mask:0xf
	v_add_co_u32 v1, vcc_lo, v1, 0
	s_delay_alu instid0(VALU_DEP_3) | instskip(NEXT) | instid1(VALU_DEP_2)
	v_add_co_ci_u32_e32 v2, vcc_lo, v2, v3, vcc_lo
	v_add_co_u32 v1, vcc_lo, v1, v4
	s_delay_alu instid0(VALU_DEP_2)
	v_mov_b32_dpp v3, v2 row_ror:8 row_mask:0xf bank_mask:0xf
	v_add_co_ci_u32_e32 v2, vcc_lo, 0, v2, vcc_lo
	ds_swizzle_b32 v4, v1 offset:swizzle(BROADCAST,32,15)
	v_add_co_u32 v1, vcc_lo, v1, 0
	v_add_co_ci_u32_e32 v2, vcc_lo, v2, v3, vcc_lo
	ds_swizzle_b32 v3, v2 offset:swizzle(BROADCAST,32,15)
	s_waitcnt lgkmcnt(1)
	v_add_co_u32 v1, vcc_lo, v1, v4
	v_add_co_ci_u32_e32 v2, vcc_lo, 0, v2, vcc_lo
	v_mov_b32_e32 v4, 0
	s_waitcnt lgkmcnt(0)
	s_delay_alu instid0(VALU_DEP_2)
	v_add_nc_u32_e32 v2, v3, v2
	ds_bpermute_b32 v1, v4, v1 offset:124
	v_mbcnt_lo_u32_b32 v3, -1, 0
	ds_bpermute_b32 v2, v4, v2 offset:124
	v_cmpx_eq_u32_e32 0, v3
	s_cbranch_execz .LBB16_7
; %bb.6:
	v_lshrrev_b32_e32 v4, 2, v0
	s_delay_alu instid0(VALU_DEP_1)
	v_and_b32_e32 v4, 56, v4
	s_waitcnt lgkmcnt(0)
	ds_store_b64 v4, v[1:2]
.LBB16_7:
	s_or_b32 exec_lo, exec_lo, s1
	s_delay_alu instid0(SALU_CYCLE_1)
	s_mov_b32 s1, exec_lo
	s_waitcnt lgkmcnt(0)
	s_barrier
	buffer_gl0_inv
	v_cmpx_gt_u32_e32 32, v0
	s_cbranch_execz .LBB16_9
; %bb.8:
	v_and_b32_e32 v4, 7, v3
	s_delay_alu instid0(VALU_DEP_1) | instskip(SKIP_4) | instid1(VALU_DEP_2)
	v_lshlrev_b32_e32 v1, 3, v4
	v_cmp_ne_u32_e32 vcc_lo, 7, v4
	ds_load_b64 v[1:2], v1
	v_add_co_ci_u32_e32 v5, vcc_lo, 0, v3, vcc_lo
	v_cmp_gt_u32_e32 vcc_lo, 6, v4
	v_lshlrev_b32_e32 v5, 2, v5
	v_cndmask_b32_e64 v7, 0, 1, vcc_lo
	s_delay_alu instid0(VALU_DEP_1) | instskip(NEXT) | instid1(VALU_DEP_1)
	v_lshlrev_b32_e32 v7, 1, v7
	v_add_lshl_u32 v7, v7, v3, 2
	s_waitcnt lgkmcnt(0)
	ds_bpermute_b32 v6, v5, v1
	ds_bpermute_b32 v5, v5, v2
	s_waitcnt lgkmcnt(1)
	v_add_co_u32 v1, vcc_lo, v1, v6
	v_add_co_ci_u32_e32 v2, vcc_lo, 0, v2, vcc_lo
	ds_bpermute_b32 v6, v7, v1
	v_add_co_u32 v1, vcc_lo, 0, v1
	s_waitcnt lgkmcnt(1)
	v_add_co_ci_u32_e32 v2, vcc_lo, v5, v2, vcc_lo
	v_cmp_gt_u32_e32 vcc_lo, 4, v4
	ds_bpermute_b32 v5, v7, v2
	v_cndmask_b32_e64 v4, 0, 1, vcc_lo
	s_delay_alu instid0(VALU_DEP_1) | instskip(NEXT) | instid1(VALU_DEP_1)
	v_lshlrev_b32_e32 v4, 2, v4
	v_add_lshl_u32 v3, v4, v3, 2
	s_waitcnt lgkmcnt(1)
	v_add_co_u32 v1, vcc_lo, v1, v6
	v_add_co_ci_u32_e32 v2, vcc_lo, 0, v2, vcc_lo
	ds_bpermute_b32 v4, v3, v1
	v_add_co_u32 v1, vcc_lo, v1, 0
	s_waitcnt lgkmcnt(1)
	v_add_co_ci_u32_e32 v2, vcc_lo, v2, v5, vcc_lo
	ds_bpermute_b32 v3, v3, v2
	s_waitcnt lgkmcnt(1)
	v_add_co_u32 v1, vcc_lo, v1, v4
	v_add_co_ci_u32_e32 v2, vcc_lo, 0, v2, vcc_lo
	s_delay_alu instid0(VALU_DEP_2) | instskip(SKIP_1) | instid1(VALU_DEP_2)
	v_add_co_u32 v1, vcc_lo, v1, 0
	s_waitcnt lgkmcnt(0)
	v_add_co_ci_u32_e32 v2, vcc_lo, v2, v3, vcc_lo
.LBB16_9:
	s_or_b32 exec_lo, exec_lo, s1
.LBB16_10:
	v_cmp_eq_u32_e64 s0, 0, v0
	s_and_b32 vcc_lo, exec_lo, s27
	s_cbranch_vccnz .LBB16_15
	s_branch .LBB16_116
.LBB16_11:
	s_mov_b32 s0, 0
                                        ; implicit-def: $vgpr1_vgpr2
	s_cbranch_execnz .LBB16_156
	s_branch .LBB16_201
.LBB16_12:
	s_mov_b32 s0, 0
                                        ; implicit-def: $vgpr1_vgpr2
	s_cbranch_execnz .LBB16_117
	s_branch .LBB16_155
.LBB16_13:
	s_mov_b32 s27, -1
	s_mov_b32 s0, 0
                                        ; implicit-def: $vgpr1_vgpr2
.LBB16_14:
	s_and_b32 vcc_lo, exec_lo, s27
	s_cbranch_vccz .LBB16_116
.LBB16_15:
	s_cmp_eq_u32 s26, 8
                                        ; implicit-def: $vgpr1_vgpr2
	s_cbranch_scc0 .LBB16_116
; %bb.16:
	s_mov_b32 s15, 0
	s_lshl_b32 s0, s14, 11
	s_mov_b32 s1, s15
	s_lshr_b64 s[4:5], s[18:19], 11
	s_lshl_b64 s[2:3], s[0:1], 3
	s_delay_alu instid0(SALU_CYCLE_1)
	s_add_u32 s6, s16, s2
	s_addc_u32 s7, s17, s3
	s_cmp_lg_u64 s[4:5], s[14:15]
	s_cbranch_scc0 .LBB16_76
; %bb.17:
	s_waitcnt lgkmcnt(0)
	v_lshlrev_b32_e32 v3, 3, v0
	s_delay_alu instid0(VALU_DEP_1) | instskip(NEXT) | instid1(VALU_DEP_1)
	v_add_co_u32 v13, s1, s6, v3
	v_add_co_ci_u32_e64 v14, null, s7, 0, s1
	s_clause 0x1
	global_load_b64 v[1:2], v3, s[6:7]
	global_load_b64 v[3:4], v3, s[6:7] offset:2048
	v_add_co_u32 v5, vcc_lo, v13, 0x2000
	v_add_co_ci_u32_e32 v6, vcc_lo, 0, v14, vcc_lo
	v_add_co_u32 v7, vcc_lo, 0x1000, v13
	v_add_co_ci_u32_e32 v8, vcc_lo, 0, v14, vcc_lo
	v_add_co_u32 v11, vcc_lo, 0x2000, v13
	s_clause 0x1
	global_load_b64 v[9:10], v[5:6], off offset:-4096
	global_load_b64 v[7:8], v[7:8], off offset:2048
	v_add_co_ci_u32_e32 v12, vcc_lo, 0, v14, vcc_lo
	global_load_b64 v[5:6], v[5:6], off
	v_add_co_u32 v13, vcc_lo, 0x3000, v13
	v_add_co_ci_u32_e32 v14, vcc_lo, 0, v14, vcc_lo
	s_clause 0x2
	global_load_b64 v[11:12], v[11:12], off offset:2048
	global_load_b64 v[15:16], v[13:14], off
	global_load_b64 v[13:14], v[13:14], off offset:2048
	s_mov_b32 s1, exec_lo
	s_waitcnt vmcnt(6)
	v_add_co_u32 v1, vcc_lo, v3, v1
	v_add_co_ci_u32_e32 v2, vcc_lo, v4, v2, vcc_lo
	s_waitcnt vmcnt(5)
	s_delay_alu instid0(VALU_DEP_2) | instskip(NEXT) | instid1(VALU_DEP_2)
	v_add_co_u32 v1, vcc_lo, v1, v9
	v_add_co_ci_u32_e32 v2, vcc_lo, v2, v10, vcc_lo
	s_waitcnt vmcnt(4)
	s_delay_alu instid0(VALU_DEP_2) | instskip(NEXT) | instid1(VALU_DEP_2)
	;; [unrolled: 4-line block ×6, first 2 shown]
	v_add_co_u32 v1, vcc_lo, v1, v13
	v_add_co_ci_u32_e32 v2, vcc_lo, v2, v14, vcc_lo
	s_delay_alu instid0(VALU_DEP_2) | instskip(NEXT) | instid1(VALU_DEP_1)
	v_mov_b32_dpp v3, v1 quad_perm:[1,0,3,2] row_mask:0xf bank_mask:0xf
	v_add_co_u32 v1, vcc_lo, v1, v3
	s_delay_alu instid0(VALU_DEP_3) | instskip(SKIP_1) | instid1(VALU_DEP_3)
	v_mov_b32_dpp v3, v2 quad_perm:[1,0,3,2] row_mask:0xf bank_mask:0xf
	v_add_co_ci_u32_e32 v2, vcc_lo, 0, v2, vcc_lo
	v_mov_b32_dpp v4, v1 quad_perm:[2,3,0,1] row_mask:0xf bank_mask:0xf
	v_add_co_u32 v1, vcc_lo, 0, v1
	s_delay_alu instid0(VALU_DEP_3) | instskip(NEXT) | instid1(VALU_DEP_2)
	v_add_co_ci_u32_e32 v2, vcc_lo, v3, v2, vcc_lo
	v_add_co_u32 v1, vcc_lo, v1, v4
	s_delay_alu instid0(VALU_DEP_2) | instskip(SKIP_1) | instid1(VALU_DEP_3)
	v_mov_b32_dpp v3, v2 quad_perm:[2,3,0,1] row_mask:0xf bank_mask:0xf
	v_add_co_ci_u32_e32 v2, vcc_lo, 0, v2, vcc_lo
	v_mov_b32_dpp v4, v1 row_ror:4 row_mask:0xf bank_mask:0xf
	v_add_co_u32 v1, vcc_lo, v1, 0
	s_delay_alu instid0(VALU_DEP_3) | instskip(NEXT) | instid1(VALU_DEP_2)
	v_add_co_ci_u32_e32 v2, vcc_lo, v2, v3, vcc_lo
	v_add_co_u32 v1, vcc_lo, v1, v4
	s_delay_alu instid0(VALU_DEP_2) | instskip(SKIP_1) | instid1(VALU_DEP_3)
	v_mov_b32_dpp v3, v2 row_ror:4 row_mask:0xf bank_mask:0xf
	v_add_co_ci_u32_e32 v2, vcc_lo, 0, v2, vcc_lo
	v_mov_b32_dpp v4, v1 row_ror:8 row_mask:0xf bank_mask:0xf
	v_add_co_u32 v1, vcc_lo, v1, 0
	s_delay_alu instid0(VALU_DEP_3) | instskip(NEXT) | instid1(VALU_DEP_2)
	v_add_co_ci_u32_e32 v2, vcc_lo, v2, v3, vcc_lo
	v_add_co_u32 v1, vcc_lo, v1, v4
	s_delay_alu instid0(VALU_DEP_2)
	v_mov_b32_dpp v3, v2 row_ror:8 row_mask:0xf bank_mask:0xf
	v_add_co_ci_u32_e32 v2, vcc_lo, 0, v2, vcc_lo
	ds_swizzle_b32 v4, v1 offset:swizzle(BROADCAST,32,15)
	v_add_co_u32 v1, vcc_lo, v1, 0
	v_add_co_ci_u32_e32 v2, vcc_lo, v2, v3, vcc_lo
	ds_swizzle_b32 v3, v2 offset:swizzle(BROADCAST,32,15)
	s_waitcnt lgkmcnt(1)
	v_add_co_u32 v1, vcc_lo, v1, v4
	v_mov_b32_e32 v4, 0
	v_add_co_ci_u32_e32 v2, vcc_lo, 0, v2, vcc_lo
	ds_bpermute_b32 v1, v4, v1 offset:124
	s_waitcnt lgkmcnt(1)
	v_add_nc_u32_e32 v2, v3, v2
	v_mbcnt_lo_u32_b32 v3, -1, 0
	ds_bpermute_b32 v2, v4, v2 offset:124
	v_cmpx_eq_u32_e32 0, v3
	s_cbranch_execz .LBB16_19
; %bb.18:
	v_lshrrev_b32_e32 v4, 2, v0
	s_delay_alu instid0(VALU_DEP_1)
	v_and_b32_e32 v4, 56, v4
	s_waitcnt lgkmcnt(0)
	ds_store_b64 v4, v[1:2] offset:256
.LBB16_19:
	s_or_b32 exec_lo, exec_lo, s1
	s_delay_alu instid0(SALU_CYCLE_1)
	s_mov_b32 s1, exec_lo
	s_waitcnt lgkmcnt(0)
	s_barrier
	buffer_gl0_inv
	v_cmpx_gt_u32_e32 32, v0
	s_cbranch_execz .LBB16_21
; %bb.20:
	v_and_b32_e32 v4, 7, v3
	s_delay_alu instid0(VALU_DEP_1) | instskip(SKIP_4) | instid1(VALU_DEP_2)
	v_lshlrev_b32_e32 v1, 3, v4
	v_cmp_ne_u32_e32 vcc_lo, 7, v4
	ds_load_b64 v[1:2], v1 offset:256
	v_add_co_ci_u32_e32 v5, vcc_lo, 0, v3, vcc_lo
	v_cmp_gt_u32_e32 vcc_lo, 6, v4
	v_lshlrev_b32_e32 v5, 2, v5
	v_cndmask_b32_e64 v7, 0, 1, vcc_lo
	s_delay_alu instid0(VALU_DEP_1) | instskip(NEXT) | instid1(VALU_DEP_1)
	v_lshlrev_b32_e32 v7, 1, v7
	v_add_lshl_u32 v7, v7, v3, 2
	s_waitcnt lgkmcnt(0)
	ds_bpermute_b32 v6, v5, v1
	ds_bpermute_b32 v5, v5, v2
	s_waitcnt lgkmcnt(1)
	v_add_co_u32 v1, vcc_lo, v1, v6
	v_add_co_ci_u32_e32 v2, vcc_lo, 0, v2, vcc_lo
	ds_bpermute_b32 v6, v7, v1
	v_add_co_u32 v1, vcc_lo, 0, v1
	s_waitcnt lgkmcnt(1)
	v_add_co_ci_u32_e32 v2, vcc_lo, v5, v2, vcc_lo
	v_cmp_gt_u32_e32 vcc_lo, 4, v4
	ds_bpermute_b32 v5, v7, v2
	v_cndmask_b32_e64 v4, 0, 1, vcc_lo
	s_delay_alu instid0(VALU_DEP_1) | instskip(NEXT) | instid1(VALU_DEP_1)
	v_lshlrev_b32_e32 v4, 2, v4
	v_add_lshl_u32 v3, v4, v3, 2
	s_waitcnt lgkmcnt(1)
	v_add_co_u32 v1, vcc_lo, v1, v6
	v_add_co_ci_u32_e32 v2, vcc_lo, 0, v2, vcc_lo
	ds_bpermute_b32 v4, v3, v1
	v_add_co_u32 v1, vcc_lo, v1, 0
	s_waitcnt lgkmcnt(1)
	v_add_co_ci_u32_e32 v2, vcc_lo, v2, v5, vcc_lo
	ds_bpermute_b32 v3, v3, v2
	s_waitcnt lgkmcnt(1)
	v_add_co_u32 v1, vcc_lo, v1, v4
	v_add_co_ci_u32_e32 v2, vcc_lo, 0, v2, vcc_lo
	s_delay_alu instid0(VALU_DEP_2) | instskip(SKIP_1) | instid1(VALU_DEP_2)
	v_add_co_u32 v1, vcc_lo, v1, 0
	s_waitcnt lgkmcnt(0)
	v_add_co_ci_u32_e32 v2, vcc_lo, v2, v3, vcc_lo
.LBB16_21:
	s_or_b32 exec_lo, exec_lo, s1
	s_mov_b32 s1, 0
	s_branch .LBB16_77
.LBB16_22:
                                        ; implicit-def: $vgpr1_vgpr2
	s_cbranch_execz .LBB16_10
; %bb.23:
	s_sub_i32 s28, s18, s0
	s_mov_b32 s0, exec_lo
                                        ; implicit-def: $vgpr1_vgpr2_vgpr3_vgpr4_vgpr5_vgpr6_vgpr7_vgpr8_vgpr9_vgpr10_vgpr11_vgpr12_vgpr13_vgpr14_vgpr15_vgpr16_vgpr17_vgpr18_vgpr19_vgpr20_vgpr21_vgpr22_vgpr23_vgpr24_vgpr25_vgpr26_vgpr27_vgpr28_vgpr29_vgpr30_vgpr31_vgpr32
	v_cmpx_gt_u32_e64 s28, v0
	s_cbranch_execz .LBB16_25
; %bb.24:
	v_lshlrev_b32_e32 v1, 3, v0
	global_load_b64 v[1:2], v1, s[24:25]
.LBB16_25:
	s_or_b32 exec_lo, exec_lo, s0
	v_or_b32_e32 v33, 0x100, v0
	s_delay_alu instid0(VALU_DEP_1)
	v_cmp_gt_u32_e32 vcc_lo, s28, v33
	s_and_saveexec_b32 s0, vcc_lo
	s_cbranch_execz .LBB16_27
; %bb.26:
	v_lshlrev_b32_e32 v3, 3, v0
	global_load_b64 v[3:4], v3, s[24:25] offset:2048
.LBB16_27:
	s_or_b32 exec_lo, exec_lo, s0
	v_or_b32_e32 v33, 0x200, v0
	s_delay_alu instid0(VALU_DEP_1) | instskip(NEXT) | instid1(VALU_DEP_1)
	v_cmp_gt_u32_e64 s0, s28, v33
	s_and_saveexec_b32 s1, s0
	s_cbranch_execz .LBB16_29
; %bb.28:
	v_lshlrev_b32_e32 v5, 3, v33
	global_load_b64 v[5:6], v5, s[24:25]
.LBB16_29:
	s_or_b32 exec_lo, exec_lo, s1
	v_or_b32_e32 v33, 0x300, v0
	s_delay_alu instid0(VALU_DEP_1) | instskip(NEXT) | instid1(VALU_DEP_1)
	v_cmp_gt_u32_e64 s1, s28, v33
	s_and_saveexec_b32 s2, s1
	s_cbranch_execz .LBB16_31
; %bb.30:
	v_lshlrev_b32_e32 v7, 3, v33
	global_load_b64 v[7:8], v7, s[24:25]
.LBB16_31:
	;; [unrolled: 10-line block ×14, first 2 shown]
	s_or_b32 exec_lo, exec_lo, s29
	s_waitcnt vmcnt(0)
	v_dual_cndmask_b32 v3, 0, v3 :: v_dual_cndmask_b32 v4, 0, v4
	v_cndmask_b32_e64 v5, 0, v5, s0
	v_cndmask_b32_e64 v6, 0, v6, s0
	s_min_u32 s0, s28, 0x100
	s_delay_alu instid0(VALU_DEP_3) | instskip(SKIP_2) | instid1(VALU_DEP_3)
	v_add_co_u32 v1, vcc_lo, v3, v1
	v_add_co_ci_u32_e32 v2, vcc_lo, v4, v2, vcc_lo
	v_cndmask_b32_e64 v3, 0, v7, s1
	v_add_co_u32 v1, vcc_lo, v1, v5
	s_delay_alu instid0(VALU_DEP_3) | instskip(SKIP_2) | instid1(VALU_DEP_4)
	v_add_co_ci_u32_e32 v2, vcc_lo, v2, v6, vcc_lo
	v_cndmask_b32_e64 v4, 0, v8, s1
	v_cndmask_b32_e64 v5, 0, v9, s2
	v_add_co_u32 v1, vcc_lo, v1, v3
	v_cndmask_b32_e64 v3, 0, v10, s2
	s_delay_alu instid0(VALU_DEP_4) | instskip(SKIP_1) | instid1(VALU_DEP_4)
	v_add_co_ci_u32_e32 v2, vcc_lo, v2, v4, vcc_lo
	v_cndmask_b32_e64 v4, 0, v11, s3
	v_add_co_u32 v1, vcc_lo, v1, v5
	s_delay_alu instid0(VALU_DEP_3) | instskip(SKIP_2) | instid1(VALU_DEP_4)
	v_add_co_ci_u32_e32 v2, vcc_lo, v2, v3, vcc_lo
	v_cndmask_b32_e64 v3, 0, v12, s3
	v_cndmask_b32_e64 v5, 0, v13, s4
	v_add_co_u32 v1, vcc_lo, v1, v4
	v_cndmask_b32_e64 v4, 0, v15, s5
	s_delay_alu instid0(VALU_DEP_4) | instskip(SKIP_1) | instid1(VALU_DEP_4)
	v_add_co_ci_u32_e32 v2, vcc_lo, v2, v3, vcc_lo
	v_cndmask_b32_e64 v3, 0, v14, s4
	v_add_co_u32 v1, vcc_lo, v1, v5
	v_cndmask_b32_e64 v5, 0, v17, s6
	v_cndmask_b32_e64 v6, 0, v31, s13
	s_delay_alu instid0(VALU_DEP_4) | instskip(SKIP_3) | instid1(VALU_DEP_3)
	v_add_co_ci_u32_e32 v2, vcc_lo, v2, v3, vcc_lo
	v_cndmask_b32_e64 v3, 0, v16, s5
	v_add_co_u32 v1, vcc_lo, v1, v4
	v_cndmask_b32_e64 v4, 0, v19, s7
	v_add_co_ci_u32_e32 v2, vcc_lo, v2, v3, vcc_lo
	v_cndmask_b32_e64 v3, 0, v18, s6
	s_delay_alu instid0(VALU_DEP_4) | instskip(SKIP_1) | instid1(VALU_DEP_3)
	v_add_co_u32 v1, vcc_lo, v1, v5
	v_cndmask_b32_e64 v5, 0, v21, s8
	v_add_co_ci_u32_e32 v2, vcc_lo, v2, v3, vcc_lo
	v_cndmask_b32_e64 v3, 0, v20, s7
	s_delay_alu instid0(VALU_DEP_4) | instskip(SKIP_1) | instid1(VALU_DEP_3)
	;; [unrolled: 5-line block ×5, first 2 shown]
	v_add_co_u32 v1, vcc_lo, v1, v5
	v_cndmask_b32_e64 v5, 0, v28, s11
	v_add_co_ci_u32_e32 v2, vcc_lo, v2, v3, vcc_lo
	v_mbcnt_lo_u32_b32 v3, -1, 0
	s_delay_alu instid0(VALU_DEP_4) | instskip(NEXT) | instid1(VALU_DEP_3)
	v_add_co_u32 v1, vcc_lo, v1, v4
	v_add_co_ci_u32_e32 v2, vcc_lo, v2, v5, vcc_lo
	s_delay_alu instid0(VALU_DEP_3) | instskip(SKIP_3) | instid1(VALU_DEP_3)
	v_cmp_ne_u32_e32 vcc_lo, 31, v3
	v_cndmask_b32_e64 v5, 0, v29, s12
	v_cndmask_b32_e64 v4, 0, v30, s12
	v_add_co_ci_u32_e32 v7, vcc_lo, 0, v3, vcc_lo
	v_add_co_u32 v1, vcc_lo, v1, v5
	s_delay_alu instid0(VALU_DEP_3) | instskip(SKIP_1) | instid1(VALU_DEP_3)
	v_add_co_ci_u32_e32 v2, vcc_lo, v2, v4, vcc_lo
	v_cndmask_b32_e64 v4, 0, v32, s13
	v_add_co_u32 v1, vcc_lo, v1, v6
	v_lshlrev_b32_e32 v5, 2, v7
	s_delay_alu instid0(VALU_DEP_3)
	v_add_co_ci_u32_e32 v2, vcc_lo, v2, v4, vcc_lo
	v_and_b32_e32 v4, 0xe0, v0
	ds_bpermute_b32 v7, v5, v1
	ds_bpermute_b32 v6, v5, v2
	v_add_nc_u32_e32 v5, 1, v3
	v_sub_nc_u32_e64 v4, s0, v4 clamp
	s_delay_alu instid0(VALU_DEP_1)
	v_cmp_lt_u32_e32 vcc_lo, v5, v4
	v_mov_b32_e32 v5, v1
	s_and_saveexec_b32 s1, vcc_lo
	s_cbranch_execz .LBB16_57
; %bb.56:
	s_waitcnt lgkmcnt(1)
	v_add_co_u32 v5, vcc_lo, v1, v7
	v_add_co_ci_u32_e32 v2, vcc_lo, 0, v2, vcc_lo
	s_delay_alu instid0(VALU_DEP_2) | instskip(SKIP_1) | instid1(VALU_DEP_2)
	v_add_co_u32 v1, vcc_lo, v5, 0
	s_waitcnt lgkmcnt(0)
	v_add_co_ci_u32_e32 v2, vcc_lo, v2, v6, vcc_lo
.LBB16_57:
	s_or_b32 exec_lo, exec_lo, s1
	v_cmp_gt_u32_e32 vcc_lo, 30, v3
	v_add_nc_u32_e32 v8, 2, v3
	s_mov_b32 s1, exec_lo
	s_waitcnt lgkmcnt(0)
	v_cndmask_b32_e64 v6, 0, 1, vcc_lo
	s_delay_alu instid0(VALU_DEP_1) | instskip(NEXT) | instid1(VALU_DEP_1)
	v_lshlrev_b32_e32 v6, 1, v6
	v_add_lshl_u32 v6, v6, v3, 2
	ds_bpermute_b32 v7, v6, v5
	ds_bpermute_b32 v6, v6, v2
	v_cmpx_lt_u32_e64 v8, v4
	s_cbranch_execz .LBB16_59
; %bb.58:
	s_waitcnt lgkmcnt(1)
	v_add_co_u32 v5, vcc_lo, v1, v7
	v_add_co_ci_u32_e32 v2, vcc_lo, 0, v2, vcc_lo
	s_delay_alu instid0(VALU_DEP_2) | instskip(SKIP_1) | instid1(VALU_DEP_2)
	v_add_co_u32 v1, vcc_lo, 0, v5
	s_waitcnt lgkmcnt(0)
	v_add_co_ci_u32_e32 v2, vcc_lo, v6, v2, vcc_lo
.LBB16_59:
	s_or_b32 exec_lo, exec_lo, s1
	v_cmp_gt_u32_e32 vcc_lo, 28, v3
	v_add_nc_u32_e32 v8, 4, v3
	s_mov_b32 s1, exec_lo
	s_waitcnt lgkmcnt(0)
	v_cndmask_b32_e64 v6, 0, 1, vcc_lo
	s_delay_alu instid0(VALU_DEP_1) | instskip(NEXT) | instid1(VALU_DEP_1)
	v_lshlrev_b32_e32 v6, 2, v6
	v_add_lshl_u32 v6, v6, v3, 2
	ds_bpermute_b32 v7, v6, v5
	ds_bpermute_b32 v6, v6, v2
	v_cmpx_lt_u32_e64 v8, v4
	;; [unrolled: 22-line block ×3, first 2 shown]
	s_cbranch_execz .LBB16_63
; %bb.62:
	s_waitcnt lgkmcnt(1)
	v_add_co_u32 v5, vcc_lo, v1, v7
	v_add_co_ci_u32_e32 v2, vcc_lo, 0, v2, vcc_lo
	s_delay_alu instid0(VALU_DEP_2) | instskip(SKIP_1) | instid1(VALU_DEP_2)
	v_add_co_u32 v1, vcc_lo, 0, v5
	s_waitcnt lgkmcnt(0)
	v_add_co_ci_u32_e32 v2, vcc_lo, v6, v2, vcc_lo
.LBB16_63:
	s_or_b32 exec_lo, exec_lo, s1
	v_cmp_gt_u32_e32 vcc_lo, 16, v3
	s_mov_b32 s1, exec_lo
	s_waitcnt lgkmcnt(0)
	v_cndmask_b32_e64 v6, 0, 1, vcc_lo
	s_delay_alu instid0(VALU_DEP_1) | instskip(NEXT) | instid1(VALU_DEP_1)
	v_lshlrev_b32_e32 v6, 4, v6
	v_add_lshl_u32 v7, v6, v3, 2
	ds_bpermute_b32 v6, v7, v5
	ds_bpermute_b32 v5, v7, v2
	v_add_nc_u32_e32 v7, 16, v3
	s_delay_alu instid0(VALU_DEP_1)
	v_cmpx_lt_u32_e64 v7, v4
	s_cbranch_execz .LBB16_65
; %bb.64:
	s_waitcnt lgkmcnt(1)
	v_add_co_u32 v1, vcc_lo, v1, v6
	v_add_co_ci_u32_e32 v2, vcc_lo, 0, v2, vcc_lo
	s_delay_alu instid0(VALU_DEP_2) | instskip(SKIP_1) | instid1(VALU_DEP_2)
	v_add_co_u32 v1, vcc_lo, v1, 0
	s_waitcnt lgkmcnt(0)
	v_add_co_ci_u32_e32 v2, vcc_lo, v2, v5, vcc_lo
.LBB16_65:
	s_or_b32 exec_lo, exec_lo, s1
	s_delay_alu instid0(SALU_CYCLE_1)
	s_mov_b32 s1, exec_lo
	v_cmpx_eq_u32_e32 0, v3
	s_cbranch_execz .LBB16_67
; %bb.66:
	v_lshrrev_b32_e32 v4, 2, v0
	s_delay_alu instid0(VALU_DEP_1)
	v_and_b32_e32 v4, 56, v4
	ds_store_b64 v4, v[1:2] offset:320
.LBB16_67:
	s_or_b32 exec_lo, exec_lo, s1
	s_delay_alu instid0(SALU_CYCLE_1)
	s_mov_b32 s1, exec_lo
	s_waitcnt lgkmcnt(0)
	s_barrier
	buffer_gl0_inv
	v_cmpx_gt_u32_e32 8, v0
	s_cbranch_execz .LBB16_75
; %bb.68:
	v_lshlrev_b32_e32 v1, 3, v3
	s_add_i32 s0, s0, 31
	s_delay_alu instid0(SALU_CYCLE_1) | instskip(SKIP_2) | instid1(VALU_DEP_1)
	s_lshr_b32 s0, s0, 5
	ds_load_b64 v[1:2], v1 offset:320
	v_and_b32_e32 v4, 7, v3
	v_cmp_ne_u32_e32 vcc_lo, 7, v4
	v_add_co_ci_u32_e32 v5, vcc_lo, 0, v3, vcc_lo
	s_delay_alu instid0(VALU_DEP_1) | instskip(SKIP_4) | instid1(VALU_DEP_1)
	v_lshlrev_b32_e32 v5, 2, v5
	s_waitcnt lgkmcnt(0)
	ds_bpermute_b32 v7, v5, v1
	ds_bpermute_b32 v6, v5, v2
	v_add_nc_u32_e32 v5, 1, v4
	v_cmp_gt_u32_e32 vcc_lo, s0, v5
	v_mov_b32_e32 v5, v1
	s_and_saveexec_b32 s2, vcc_lo
	s_cbranch_execz .LBB16_70
; %bb.69:
	s_waitcnt lgkmcnt(1)
	v_add_co_u32 v5, vcc_lo, v1, v7
	v_add_co_ci_u32_e32 v2, vcc_lo, 0, v2, vcc_lo
	s_delay_alu instid0(VALU_DEP_2) | instskip(SKIP_1) | instid1(VALU_DEP_2)
	v_add_co_u32 v1, vcc_lo, 0, v5
	s_waitcnt lgkmcnt(0)
	v_add_co_ci_u32_e32 v2, vcc_lo, v6, v2, vcc_lo
.LBB16_70:
	s_or_b32 exec_lo, exec_lo, s2
	v_cmp_gt_u32_e32 vcc_lo, 6, v4
	v_add_nc_u32_e32 v8, 2, v4
	s_mov_b32 s2, exec_lo
	s_waitcnt lgkmcnt(0)
	v_cndmask_b32_e64 v6, 0, 1, vcc_lo
	s_delay_alu instid0(VALU_DEP_1) | instskip(NEXT) | instid1(VALU_DEP_1)
	v_lshlrev_b32_e32 v6, 1, v6
	v_add_lshl_u32 v6, v6, v3, 2
	ds_bpermute_b32 v7, v6, v5
	ds_bpermute_b32 v6, v6, v2
	v_cmpx_gt_u32_e64 s0, v8
	s_cbranch_execz .LBB16_72
; %bb.71:
	s_waitcnt lgkmcnt(1)
	v_add_co_u32 v5, vcc_lo, v1, v7
	v_add_co_ci_u32_e32 v2, vcc_lo, 0, v2, vcc_lo
	s_delay_alu instid0(VALU_DEP_2) | instskip(SKIP_1) | instid1(VALU_DEP_2)
	v_add_co_u32 v1, vcc_lo, 0, v5
	s_waitcnt lgkmcnt(0)
	v_add_co_ci_u32_e32 v2, vcc_lo, v6, v2, vcc_lo
.LBB16_72:
	s_or_b32 exec_lo, exec_lo, s2
	v_cmp_gt_u32_e32 vcc_lo, 4, v4
	v_add_nc_u32_e32 v4, 4, v4
	s_waitcnt lgkmcnt(0)
	v_cndmask_b32_e64 v6, 0, 1, vcc_lo
	s_delay_alu instid0(VALU_DEP_2) | instskip(NEXT) | instid1(VALU_DEP_2)
	v_cmp_gt_u32_e32 vcc_lo, s0, v4
	v_lshlrev_b32_e32 v6, 2, v6
	s_delay_alu instid0(VALU_DEP_1)
	v_add_lshl_u32 v3, v6, v3, 2
	ds_bpermute_b32 v5, v3, v5
	ds_bpermute_b32 v3, v3, v2
	s_and_saveexec_b32 s0, vcc_lo
	s_cbranch_execz .LBB16_74
; %bb.73:
	s_waitcnt lgkmcnt(1)
	v_add_co_u32 v1, vcc_lo, v1, v5
	v_add_co_ci_u32_e32 v2, vcc_lo, 0, v2, vcc_lo
	s_delay_alu instid0(VALU_DEP_2) | instskip(SKIP_1) | instid1(VALU_DEP_2)
	v_add_co_u32 v1, vcc_lo, v1, 0
	s_waitcnt lgkmcnt(0)
	v_add_co_ci_u32_e32 v2, vcc_lo, v2, v3, vcc_lo
.LBB16_74:
	s_or_b32 exec_lo, exec_lo, s0
.LBB16_75:
	s_delay_alu instid0(SALU_CYCLE_1)
	s_or_b32 exec_lo, exec_lo, s1
	v_cmp_eq_u32_e64 s0, 0, v0
	s_and_b32 vcc_lo, exec_lo, s27
	s_cbranch_vccnz .LBB16_15
	s_branch .LBB16_116
.LBB16_76:
	s_mov_b32 s1, -1
                                        ; implicit-def: $vgpr1_vgpr2
.LBB16_77:
	s_delay_alu instid0(SALU_CYCLE_1)
	s_and_b32 vcc_lo, exec_lo, s1
	s_cbranch_vccz .LBB16_115
; %bb.78:
	s_sub_i32 s8, s18, s0
	s_mov_b32 s0, exec_lo
                                        ; implicit-def: $vgpr1_vgpr2_vgpr3_vgpr4_vgpr5_vgpr6_vgpr7_vgpr8_vgpr9_vgpr10_vgpr11_vgpr12_vgpr13_vgpr14_vgpr15_vgpr16
	v_cmpx_gt_u32_e64 s8, v0
	s_cbranch_execz .LBB16_80
; %bb.79:
	v_lshlrev_b32_e32 v1, 3, v0
	global_load_b64 v[1:2], v1, s[6:7]
.LBB16_80:
	s_or_b32 exec_lo, exec_lo, s0
	v_or_b32_e32 v17, 0x100, v0
	s_delay_alu instid0(VALU_DEP_1)
	v_cmp_gt_u32_e32 vcc_lo, s8, v17
	s_and_saveexec_b32 s0, vcc_lo
	s_cbranch_execz .LBB16_82
; %bb.81:
	s_waitcnt lgkmcnt(0)
	v_lshlrev_b32_e32 v3, 3, v0
	global_load_b64 v[3:4], v3, s[6:7] offset:2048
.LBB16_82:
	s_or_b32 exec_lo, exec_lo, s0
	v_or_b32_e32 v17, 0x200, v0
	s_delay_alu instid0(VALU_DEP_1) | instskip(NEXT) | instid1(VALU_DEP_1)
	v_cmp_gt_u32_e64 s0, s8, v17
	s_and_saveexec_b32 s1, s0
	s_cbranch_execz .LBB16_84
; %bb.83:
	s_waitcnt lgkmcnt(1)
	v_lshlrev_b32_e32 v5, 3, v17
	global_load_b64 v[5:6], v5, s[6:7]
.LBB16_84:
	s_or_b32 exec_lo, exec_lo, s1
	v_or_b32_e32 v17, 0x300, v0
	s_delay_alu instid0(VALU_DEP_1) | instskip(NEXT) | instid1(VALU_DEP_1)
	v_cmp_gt_u32_e64 s1, s8, v17
	s_and_saveexec_b32 s2, s1
	s_cbranch_execz .LBB16_86
; %bb.85:
	v_lshlrev_b32_e32 v7, 3, v17
	global_load_b64 v[7:8], v7, s[6:7]
.LBB16_86:
	s_or_b32 exec_lo, exec_lo, s2
	v_or_b32_e32 v17, 0x400, v0
	s_delay_alu instid0(VALU_DEP_1) | instskip(NEXT) | instid1(VALU_DEP_1)
	v_cmp_gt_u32_e64 s2, s8, v17
	s_and_saveexec_b32 s3, s2
	s_cbranch_execz .LBB16_88
; %bb.87:
	v_lshlrev_b32_e32 v9, 3, v17
	global_load_b64 v[9:10], v9, s[6:7]
.LBB16_88:
	;; [unrolled: 10-line block ×5, first 2 shown]
	s_or_b32 exec_lo, exec_lo, s9
	s_waitcnt vmcnt(0) lgkmcnt(0)
	v_dual_cndmask_b32 v3, 0, v3 :: v_dual_cndmask_b32 v4, 0, v4
	v_cndmask_b32_e64 v5, 0, v5, s0
	v_cndmask_b32_e64 v6, 0, v6, s0
	s_min_u32 s0, s8, 0x100
	s_delay_alu instid0(VALU_DEP_3) | instskip(SKIP_2) | instid1(VALU_DEP_3)
	v_add_co_u32 v1, vcc_lo, v3, v1
	v_add_co_ci_u32_e32 v2, vcc_lo, v4, v2, vcc_lo
	v_cndmask_b32_e64 v3, 0, v7, s1
	v_add_co_u32 v1, vcc_lo, v1, v5
	s_delay_alu instid0(VALU_DEP_3) | instskip(SKIP_2) | instid1(VALU_DEP_4)
	v_add_co_ci_u32_e32 v2, vcc_lo, v2, v6, vcc_lo
	v_cndmask_b32_e64 v4, 0, v8, s1
	v_cndmask_b32_e64 v5, 0, v9, s2
	v_add_co_u32 v1, vcc_lo, v1, v3
	v_cndmask_b32_e64 v3, 0, v10, s2
	s_delay_alu instid0(VALU_DEP_4) | instskip(SKIP_1) | instid1(VALU_DEP_4)
	v_add_co_ci_u32_e32 v2, vcc_lo, v2, v4, vcc_lo
	v_cndmask_b32_e64 v4, 0, v11, s3
	v_add_co_u32 v1, vcc_lo, v1, v5
	s_delay_alu instid0(VALU_DEP_3) | instskip(SKIP_2) | instid1(VALU_DEP_4)
	v_add_co_ci_u32_e32 v2, vcc_lo, v2, v3, vcc_lo
	v_cndmask_b32_e64 v5, 0, v12, s3
	v_mbcnt_lo_u32_b32 v3, -1, 0
	v_add_co_u32 v1, vcc_lo, v1, v4
	v_cndmask_b32_e64 v4, 0, v14, s4
	s_delay_alu instid0(VALU_DEP_4) | instskip(NEXT) | instid1(VALU_DEP_4)
	v_add_co_ci_u32_e32 v2, vcc_lo, v2, v5, vcc_lo
	v_cmp_ne_u32_e32 vcc_lo, 31, v3
	v_cndmask_b32_e64 v5, 0, v13, s4
	v_cndmask_b32_e64 v6, 0, v15, s5
	v_add_co_ci_u32_e32 v7, vcc_lo, 0, v3, vcc_lo
	s_delay_alu instid0(VALU_DEP_3) | instskip(SKIP_2) | instid1(VALU_DEP_3)
	v_add_co_u32 v1, vcc_lo, v1, v5
	v_add_co_ci_u32_e32 v2, vcc_lo, v2, v4, vcc_lo
	v_cndmask_b32_e64 v4, 0, v16, s5
	v_add_co_u32 v1, vcc_lo, v1, v6
	v_lshlrev_b32_e32 v5, 2, v7
	s_delay_alu instid0(VALU_DEP_3)
	v_add_co_ci_u32_e32 v2, vcc_lo, v2, v4, vcc_lo
	v_and_b32_e32 v4, 0xe0, v0
	ds_bpermute_b32 v7, v5, v1
	ds_bpermute_b32 v6, v5, v2
	v_add_nc_u32_e32 v5, 1, v3
	v_sub_nc_u32_e64 v4, s0, v4 clamp
	s_delay_alu instid0(VALU_DEP_1)
	v_cmp_lt_u32_e32 vcc_lo, v5, v4
	v_mov_b32_e32 v5, v1
	s_and_saveexec_b32 s1, vcc_lo
	s_cbranch_execz .LBB16_96
; %bb.95:
	s_waitcnt lgkmcnt(1)
	v_add_co_u32 v5, vcc_lo, v1, v7
	v_add_co_ci_u32_e32 v2, vcc_lo, 0, v2, vcc_lo
	s_delay_alu instid0(VALU_DEP_2) | instskip(SKIP_1) | instid1(VALU_DEP_2)
	v_add_co_u32 v1, vcc_lo, v5, 0
	s_waitcnt lgkmcnt(0)
	v_add_co_ci_u32_e32 v2, vcc_lo, v2, v6, vcc_lo
.LBB16_96:
	s_or_b32 exec_lo, exec_lo, s1
	v_cmp_gt_u32_e32 vcc_lo, 30, v3
	v_add_nc_u32_e32 v8, 2, v3
	s_mov_b32 s1, exec_lo
	s_waitcnt lgkmcnt(0)
	v_cndmask_b32_e64 v6, 0, 1, vcc_lo
	s_delay_alu instid0(VALU_DEP_1) | instskip(NEXT) | instid1(VALU_DEP_1)
	v_lshlrev_b32_e32 v6, 1, v6
	v_add_lshl_u32 v6, v6, v3, 2
	ds_bpermute_b32 v7, v6, v5
	ds_bpermute_b32 v6, v6, v2
	v_cmpx_lt_u32_e64 v8, v4
	s_cbranch_execz .LBB16_98
; %bb.97:
	s_waitcnt lgkmcnt(1)
	v_add_co_u32 v5, vcc_lo, v1, v7
	v_add_co_ci_u32_e32 v2, vcc_lo, 0, v2, vcc_lo
	s_delay_alu instid0(VALU_DEP_2) | instskip(SKIP_1) | instid1(VALU_DEP_2)
	v_add_co_u32 v1, vcc_lo, 0, v5
	s_waitcnt lgkmcnt(0)
	v_add_co_ci_u32_e32 v2, vcc_lo, v6, v2, vcc_lo
.LBB16_98:
	s_or_b32 exec_lo, exec_lo, s1
	v_cmp_gt_u32_e32 vcc_lo, 28, v3
	v_add_nc_u32_e32 v8, 4, v3
	s_mov_b32 s1, exec_lo
	s_waitcnt lgkmcnt(0)
	v_cndmask_b32_e64 v6, 0, 1, vcc_lo
	s_delay_alu instid0(VALU_DEP_1) | instskip(NEXT) | instid1(VALU_DEP_1)
	v_lshlrev_b32_e32 v6, 2, v6
	v_add_lshl_u32 v6, v6, v3, 2
	ds_bpermute_b32 v7, v6, v5
	ds_bpermute_b32 v6, v6, v2
	v_cmpx_lt_u32_e64 v8, v4
	;; [unrolled: 22-line block ×3, first 2 shown]
	s_cbranch_execz .LBB16_102
; %bb.101:
	s_waitcnt lgkmcnt(1)
	v_add_co_u32 v5, vcc_lo, v1, v7
	v_add_co_ci_u32_e32 v2, vcc_lo, 0, v2, vcc_lo
	s_delay_alu instid0(VALU_DEP_2) | instskip(SKIP_1) | instid1(VALU_DEP_2)
	v_add_co_u32 v1, vcc_lo, 0, v5
	s_waitcnt lgkmcnt(0)
	v_add_co_ci_u32_e32 v2, vcc_lo, v6, v2, vcc_lo
.LBB16_102:
	s_or_b32 exec_lo, exec_lo, s1
	v_cmp_gt_u32_e32 vcc_lo, 16, v3
	s_mov_b32 s1, exec_lo
	s_waitcnt lgkmcnt(0)
	v_cndmask_b32_e64 v6, 0, 1, vcc_lo
	s_delay_alu instid0(VALU_DEP_1) | instskip(NEXT) | instid1(VALU_DEP_1)
	v_lshlrev_b32_e32 v6, 4, v6
	v_add_lshl_u32 v7, v6, v3, 2
	ds_bpermute_b32 v6, v7, v5
	ds_bpermute_b32 v5, v7, v2
	v_add_nc_u32_e32 v7, 16, v3
	s_delay_alu instid0(VALU_DEP_1)
	v_cmpx_lt_u32_e64 v7, v4
	s_cbranch_execz .LBB16_104
; %bb.103:
	s_waitcnt lgkmcnt(1)
	v_add_co_u32 v1, vcc_lo, v1, v6
	v_add_co_ci_u32_e32 v2, vcc_lo, 0, v2, vcc_lo
	s_delay_alu instid0(VALU_DEP_2) | instskip(SKIP_1) | instid1(VALU_DEP_2)
	v_add_co_u32 v1, vcc_lo, v1, 0
	s_waitcnt lgkmcnt(0)
	v_add_co_ci_u32_e32 v2, vcc_lo, v2, v5, vcc_lo
.LBB16_104:
	s_or_b32 exec_lo, exec_lo, s1
	s_delay_alu instid0(SALU_CYCLE_1)
	s_mov_b32 s1, exec_lo
	v_cmpx_eq_u32_e32 0, v3
	s_cbranch_execz .LBB16_106
; %bb.105:
	v_lshrrev_b32_e32 v4, 2, v0
	s_delay_alu instid0(VALU_DEP_1)
	v_and_b32_e32 v4, 56, v4
	ds_store_b64 v4, v[1:2] offset:320
.LBB16_106:
	s_or_b32 exec_lo, exec_lo, s1
	s_delay_alu instid0(SALU_CYCLE_1)
	s_mov_b32 s1, exec_lo
	s_waitcnt lgkmcnt(0)
	s_barrier
	buffer_gl0_inv
	v_cmpx_gt_u32_e32 8, v0
	s_cbranch_execz .LBB16_114
; %bb.107:
	v_lshlrev_b32_e32 v1, 3, v3
	s_add_i32 s0, s0, 31
	s_delay_alu instid0(SALU_CYCLE_1) | instskip(SKIP_2) | instid1(VALU_DEP_1)
	s_lshr_b32 s0, s0, 5
	ds_load_b64 v[1:2], v1 offset:320
	v_and_b32_e32 v4, 7, v3
	v_cmp_ne_u32_e32 vcc_lo, 7, v4
	v_add_co_ci_u32_e32 v5, vcc_lo, 0, v3, vcc_lo
	s_delay_alu instid0(VALU_DEP_1) | instskip(SKIP_4) | instid1(VALU_DEP_1)
	v_lshlrev_b32_e32 v5, 2, v5
	s_waitcnt lgkmcnt(0)
	ds_bpermute_b32 v7, v5, v1
	ds_bpermute_b32 v6, v5, v2
	v_add_nc_u32_e32 v5, 1, v4
	v_cmp_gt_u32_e32 vcc_lo, s0, v5
	v_mov_b32_e32 v5, v1
	s_and_saveexec_b32 s2, vcc_lo
	s_cbranch_execz .LBB16_109
; %bb.108:
	s_waitcnt lgkmcnt(1)
	v_add_co_u32 v5, vcc_lo, v1, v7
	v_add_co_ci_u32_e32 v2, vcc_lo, 0, v2, vcc_lo
	s_delay_alu instid0(VALU_DEP_2) | instskip(SKIP_1) | instid1(VALU_DEP_2)
	v_add_co_u32 v1, vcc_lo, 0, v5
	s_waitcnt lgkmcnt(0)
	v_add_co_ci_u32_e32 v2, vcc_lo, v6, v2, vcc_lo
.LBB16_109:
	s_or_b32 exec_lo, exec_lo, s2
	v_cmp_gt_u32_e32 vcc_lo, 6, v4
	v_add_nc_u32_e32 v8, 2, v4
	s_mov_b32 s2, exec_lo
	s_waitcnt lgkmcnt(0)
	v_cndmask_b32_e64 v6, 0, 1, vcc_lo
	s_delay_alu instid0(VALU_DEP_1) | instskip(NEXT) | instid1(VALU_DEP_1)
	v_lshlrev_b32_e32 v6, 1, v6
	v_add_lshl_u32 v6, v6, v3, 2
	ds_bpermute_b32 v7, v6, v5
	ds_bpermute_b32 v6, v6, v2
	v_cmpx_gt_u32_e64 s0, v8
	s_cbranch_execz .LBB16_111
; %bb.110:
	s_waitcnt lgkmcnt(1)
	v_add_co_u32 v5, vcc_lo, v1, v7
	v_add_co_ci_u32_e32 v2, vcc_lo, 0, v2, vcc_lo
	s_delay_alu instid0(VALU_DEP_2) | instskip(SKIP_1) | instid1(VALU_DEP_2)
	v_add_co_u32 v1, vcc_lo, 0, v5
	s_waitcnt lgkmcnt(0)
	v_add_co_ci_u32_e32 v2, vcc_lo, v6, v2, vcc_lo
.LBB16_111:
	s_or_b32 exec_lo, exec_lo, s2
	v_cmp_gt_u32_e32 vcc_lo, 4, v4
	v_add_nc_u32_e32 v4, 4, v4
	s_waitcnt lgkmcnt(0)
	v_cndmask_b32_e64 v6, 0, 1, vcc_lo
	s_delay_alu instid0(VALU_DEP_2) | instskip(NEXT) | instid1(VALU_DEP_2)
	v_cmp_gt_u32_e32 vcc_lo, s0, v4
	v_lshlrev_b32_e32 v6, 2, v6
	s_delay_alu instid0(VALU_DEP_1)
	v_add_lshl_u32 v3, v6, v3, 2
	ds_bpermute_b32 v5, v3, v5
	ds_bpermute_b32 v3, v3, v2
	s_and_saveexec_b32 s0, vcc_lo
	s_cbranch_execz .LBB16_113
; %bb.112:
	s_waitcnt lgkmcnt(1)
	v_add_co_u32 v1, vcc_lo, v1, v5
	v_add_co_ci_u32_e32 v2, vcc_lo, 0, v2, vcc_lo
	s_delay_alu instid0(VALU_DEP_2) | instskip(SKIP_1) | instid1(VALU_DEP_2)
	v_add_co_u32 v1, vcc_lo, v1, 0
	s_waitcnt lgkmcnt(0)
	v_add_co_ci_u32_e32 v2, vcc_lo, v2, v3, vcc_lo
.LBB16_113:
	s_or_b32 exec_lo, exec_lo, s0
.LBB16_114:
	s_delay_alu instid0(SALU_CYCLE_1)
	s_or_b32 exec_lo, exec_lo, s1
.LBB16_115:
	v_cmp_eq_u32_e64 s0, 0, v0
.LBB16_116:
	s_branch .LBB16_155
.LBB16_117:
	s_cmp_eq_u32 s26, 4
                                        ; implicit-def: $vgpr1_vgpr2
	s_cbranch_scc0 .LBB16_155
; %bb.118:
	s_mov_b32 s15, 0
	s_lshl_b32 s0, s14, 10
	s_mov_b32 s1, s15
	s_lshr_b64 s[4:5], s[18:19], 10
	s_lshl_b64 s[2:3], s[0:1], 3
	s_delay_alu instid0(SALU_CYCLE_1)
	s_add_u32 s2, s16, s2
	s_addc_u32 s3, s17, s3
	s_cmp_lg_u64 s[4:5], s[14:15]
	s_cbranch_scc0 .LBB16_124
; %bb.119:
	s_waitcnt lgkmcnt(1)
	v_lshlrev_b32_e32 v5, 3, v0
	s_delay_alu instid0(VALU_DEP_1) | instskip(NEXT) | instid1(VALU_DEP_1)
	v_add_co_u32 v1, s1, s2, v5
	v_add_co_ci_u32_e64 v2, null, s3, 0, s1
	s_mov_b32 s1, exec_lo
	s_delay_alu instid0(VALU_DEP_2) | instskip(NEXT) | instid1(VALU_DEP_2)
	v_add_co_u32 v1, vcc_lo, 0x1000, v1
	v_add_co_ci_u32_e32 v2, vcc_lo, 0, v2, vcc_lo
	s_waitcnt lgkmcnt(0)
	s_clause 0x3
	global_load_b64 v[3:4], v5, s[2:3]
	global_load_b64 v[5:6], v5, s[2:3] offset:2048
	global_load_b64 v[7:8], v[1:2], off
	global_load_b64 v[1:2], v[1:2], off offset:2048
	s_waitcnt vmcnt(2)
	v_add_co_u32 v3, vcc_lo, v5, v3
	v_add_co_ci_u32_e32 v4, vcc_lo, v6, v4, vcc_lo
	s_waitcnt vmcnt(1)
	s_delay_alu instid0(VALU_DEP_2) | instskip(NEXT) | instid1(VALU_DEP_2)
	v_add_co_u32 v3, vcc_lo, v3, v7
	v_add_co_ci_u32_e32 v4, vcc_lo, v4, v8, vcc_lo
	s_waitcnt vmcnt(0)
	s_delay_alu instid0(VALU_DEP_2) | instskip(NEXT) | instid1(VALU_DEP_2)
	v_add_co_u32 v1, vcc_lo, v3, v1
	v_add_co_ci_u32_e32 v2, vcc_lo, v4, v2, vcc_lo
	s_delay_alu instid0(VALU_DEP_2) | instskip(NEXT) | instid1(VALU_DEP_1)
	v_mov_b32_dpp v3, v1 quad_perm:[1,0,3,2] row_mask:0xf bank_mask:0xf
	v_add_co_u32 v1, vcc_lo, v1, v3
	s_delay_alu instid0(VALU_DEP_3) | instskip(SKIP_1) | instid1(VALU_DEP_3)
	v_mov_b32_dpp v3, v2 quad_perm:[1,0,3,2] row_mask:0xf bank_mask:0xf
	v_add_co_ci_u32_e32 v2, vcc_lo, 0, v2, vcc_lo
	v_mov_b32_dpp v4, v1 quad_perm:[2,3,0,1] row_mask:0xf bank_mask:0xf
	v_add_co_u32 v1, vcc_lo, 0, v1
	s_delay_alu instid0(VALU_DEP_3) | instskip(NEXT) | instid1(VALU_DEP_2)
	v_add_co_ci_u32_e32 v2, vcc_lo, v3, v2, vcc_lo
	v_add_co_u32 v1, vcc_lo, v1, v4
	s_delay_alu instid0(VALU_DEP_2) | instskip(SKIP_1) | instid1(VALU_DEP_3)
	v_mov_b32_dpp v3, v2 quad_perm:[2,3,0,1] row_mask:0xf bank_mask:0xf
	v_add_co_ci_u32_e32 v2, vcc_lo, 0, v2, vcc_lo
	v_mov_b32_dpp v4, v1 row_ror:4 row_mask:0xf bank_mask:0xf
	v_add_co_u32 v1, vcc_lo, v1, 0
	s_delay_alu instid0(VALU_DEP_3) | instskip(NEXT) | instid1(VALU_DEP_2)
	v_add_co_ci_u32_e32 v2, vcc_lo, v2, v3, vcc_lo
	v_add_co_u32 v1, vcc_lo, v1, v4
	s_delay_alu instid0(VALU_DEP_2) | instskip(SKIP_1) | instid1(VALU_DEP_3)
	v_mov_b32_dpp v3, v2 row_ror:4 row_mask:0xf bank_mask:0xf
	v_add_co_ci_u32_e32 v2, vcc_lo, 0, v2, vcc_lo
	v_mov_b32_dpp v4, v1 row_ror:8 row_mask:0xf bank_mask:0xf
	v_add_co_u32 v1, vcc_lo, v1, 0
	s_delay_alu instid0(VALU_DEP_3) | instskip(NEXT) | instid1(VALU_DEP_2)
	v_add_co_ci_u32_e32 v2, vcc_lo, v2, v3, vcc_lo
	v_add_co_u32 v1, vcc_lo, v1, v4
	s_delay_alu instid0(VALU_DEP_2)
	v_mov_b32_dpp v3, v2 row_ror:8 row_mask:0xf bank_mask:0xf
	v_add_co_ci_u32_e32 v2, vcc_lo, 0, v2, vcc_lo
	ds_swizzle_b32 v4, v1 offset:swizzle(BROADCAST,32,15)
	v_add_co_u32 v1, vcc_lo, v1, 0
	v_add_co_ci_u32_e32 v2, vcc_lo, v2, v3, vcc_lo
	ds_swizzle_b32 v3, v2 offset:swizzle(BROADCAST,32,15)
	s_waitcnt lgkmcnt(1)
	v_add_co_u32 v1, vcc_lo, v1, v4
	v_mov_b32_e32 v4, 0
	v_add_co_ci_u32_e32 v2, vcc_lo, 0, v2, vcc_lo
	ds_bpermute_b32 v1, v4, v1 offset:124
	s_waitcnt lgkmcnt(1)
	v_add_nc_u32_e32 v2, v3, v2
	v_mbcnt_lo_u32_b32 v3, -1, 0
	ds_bpermute_b32 v2, v4, v2 offset:124
	v_cmpx_eq_u32_e32 0, v3
	s_cbranch_execz .LBB16_121
; %bb.120:
	v_lshrrev_b32_e32 v4, 2, v0
	s_delay_alu instid0(VALU_DEP_1)
	v_and_b32_e32 v4, 56, v4
	s_waitcnt lgkmcnt(0)
	ds_store_b64 v4, v[1:2] offset:192
.LBB16_121:
	s_or_b32 exec_lo, exec_lo, s1
	s_delay_alu instid0(SALU_CYCLE_1)
	s_mov_b32 s1, exec_lo
	s_waitcnt lgkmcnt(0)
	s_barrier
	buffer_gl0_inv
	v_cmpx_gt_u32_e32 32, v0
	s_cbranch_execz .LBB16_123
; %bb.122:
	v_lshl_or_b32 v1, v3, 3, 0xc0
	v_and_b32_e32 v4, 7, v3
	ds_load_b64 v[1:2], v1
	v_cmp_ne_u32_e32 vcc_lo, 7, v4
	v_add_co_ci_u32_e32 v5, vcc_lo, 0, v3, vcc_lo
	v_cmp_gt_u32_e32 vcc_lo, 6, v4
	s_delay_alu instid0(VALU_DEP_2) | instskip(SKIP_1) | instid1(VALU_DEP_1)
	v_lshlrev_b32_e32 v5, 2, v5
	v_cndmask_b32_e64 v7, 0, 1, vcc_lo
	v_lshlrev_b32_e32 v7, 1, v7
	s_waitcnt lgkmcnt(0)
	ds_bpermute_b32 v6, v5, v1
	ds_bpermute_b32 v5, v5, v2
	v_add_lshl_u32 v7, v7, v3, 2
	s_waitcnt lgkmcnt(1)
	v_add_co_u32 v1, vcc_lo, v1, v6
	v_add_co_ci_u32_e32 v2, vcc_lo, 0, v2, vcc_lo
	ds_bpermute_b32 v6, v7, v1
	v_add_co_u32 v1, vcc_lo, 0, v1
	s_waitcnt lgkmcnt(1)
	v_add_co_ci_u32_e32 v2, vcc_lo, v5, v2, vcc_lo
	v_cmp_gt_u32_e32 vcc_lo, 4, v4
	ds_bpermute_b32 v5, v7, v2
	v_cndmask_b32_e64 v4, 0, 1, vcc_lo
	s_delay_alu instid0(VALU_DEP_1) | instskip(NEXT) | instid1(VALU_DEP_1)
	v_lshlrev_b32_e32 v4, 2, v4
	v_add_lshl_u32 v3, v4, v3, 2
	s_waitcnt lgkmcnt(1)
	v_add_co_u32 v1, vcc_lo, v1, v6
	v_add_co_ci_u32_e32 v2, vcc_lo, 0, v2, vcc_lo
	ds_bpermute_b32 v4, v3, v1
	v_add_co_u32 v1, vcc_lo, v1, 0
	s_waitcnt lgkmcnt(1)
	v_add_co_ci_u32_e32 v2, vcc_lo, v2, v5, vcc_lo
	ds_bpermute_b32 v3, v3, v2
	s_waitcnt lgkmcnt(1)
	v_add_co_u32 v1, vcc_lo, v1, v4
	v_add_co_ci_u32_e32 v2, vcc_lo, 0, v2, vcc_lo
	s_delay_alu instid0(VALU_DEP_2) | instskip(SKIP_1) | instid1(VALU_DEP_2)
	v_add_co_u32 v1, vcc_lo, v1, 0
	s_waitcnt lgkmcnt(0)
	v_add_co_ci_u32_e32 v2, vcc_lo, v2, v3, vcc_lo
.LBB16_123:
	s_or_b32 exec_lo, exec_lo, s1
	s_branch .LBB16_154
.LBB16_124:
                                        ; implicit-def: $vgpr1_vgpr2
	s_cbranch_execz .LBB16_154
; %bb.125:
	s_sub_i32 s4, s18, s0
	s_mov_b32 s0, exec_lo
                                        ; implicit-def: $vgpr1_vgpr2_vgpr3_vgpr4_vgpr5_vgpr6_vgpr7_vgpr8
	v_cmpx_gt_u32_e64 s4, v0
	s_cbranch_execz .LBB16_127
; %bb.126:
	v_lshlrev_b32_e32 v1, 3, v0
	global_load_b64 v[1:2], v1, s[2:3]
.LBB16_127:
	s_or_b32 exec_lo, exec_lo, s0
	v_or_b32_e32 v9, 0x100, v0
	s_delay_alu instid0(VALU_DEP_1)
	v_cmp_gt_u32_e32 vcc_lo, s4, v9
	s_and_saveexec_b32 s0, vcc_lo
	s_cbranch_execz .LBB16_129
; %bb.128:
	s_waitcnt lgkmcnt(0)
	v_lshlrev_b32_e32 v3, 3, v0
	global_load_b64 v[3:4], v3, s[2:3] offset:2048
.LBB16_129:
	s_or_b32 exec_lo, exec_lo, s0
	v_or_b32_e32 v9, 0x200, v0
	s_delay_alu instid0(VALU_DEP_1) | instskip(NEXT) | instid1(VALU_DEP_1)
	v_cmp_gt_u32_e64 s0, s4, v9
	s_and_saveexec_b32 s1, s0
	s_cbranch_execz .LBB16_131
; %bb.130:
	s_waitcnt lgkmcnt(1)
	v_lshlrev_b32_e32 v5, 3, v9
	global_load_b64 v[5:6], v5, s[2:3]
.LBB16_131:
	s_or_b32 exec_lo, exec_lo, s1
	v_or_b32_e32 v9, 0x300, v0
	s_delay_alu instid0(VALU_DEP_1) | instskip(NEXT) | instid1(VALU_DEP_1)
	v_cmp_gt_u32_e64 s1, s4, v9
	s_and_saveexec_b32 s5, s1
	s_cbranch_execz .LBB16_133
; %bb.132:
	v_lshlrev_b32_e32 v7, 3, v9
	global_load_b64 v[7:8], v7, s[2:3]
.LBB16_133:
	s_or_b32 exec_lo, exec_lo, s5
	s_waitcnt vmcnt(0) lgkmcnt(0)
	v_dual_cndmask_b32 v9, 0, v3 :: v_dual_cndmask_b32 v4, 0, v4
	v_mbcnt_lo_u32_b32 v3, -1, 0
	v_cndmask_b32_e64 v5, 0, v5, s0
	s_delay_alu instid0(VALU_DEP_3) | instskip(NEXT) | instid1(VALU_DEP_4)
	v_add_co_u32 v1, vcc_lo, v9, v1
	v_add_co_ci_u32_e32 v2, vcc_lo, v4, v2, vcc_lo
	s_delay_alu instid0(VALU_DEP_4)
	v_cmp_ne_u32_e32 vcc_lo, 31, v3
	v_cndmask_b32_e64 v4, 0, v6, s0
	v_cndmask_b32_e64 v6, 0, v7, s1
	s_min_u32 s0, s4, 0x100
	v_add_co_ci_u32_e32 v7, vcc_lo, 0, v3, vcc_lo
	v_add_co_u32 v1, vcc_lo, v1, v5
	v_add_co_ci_u32_e32 v2, vcc_lo, v2, v4, vcc_lo
	v_cndmask_b32_e64 v4, 0, v8, s1
	s_delay_alu instid0(VALU_DEP_3) | instskip(SKIP_1) | instid1(VALU_DEP_3)
	v_add_co_u32 v1, vcc_lo, v1, v6
	v_lshlrev_b32_e32 v5, 2, v7
	v_add_co_ci_u32_e32 v2, vcc_lo, v2, v4, vcc_lo
	v_and_b32_e32 v4, 0xe0, v0
	ds_bpermute_b32 v7, v5, v1
	ds_bpermute_b32 v6, v5, v2
	v_add_nc_u32_e32 v5, 1, v3
	v_sub_nc_u32_e64 v4, s0, v4 clamp
	s_delay_alu instid0(VALU_DEP_1)
	v_cmp_lt_u32_e32 vcc_lo, v5, v4
	v_mov_b32_e32 v5, v1
	s_and_saveexec_b32 s1, vcc_lo
	s_cbranch_execz .LBB16_135
; %bb.134:
	s_waitcnt lgkmcnt(1)
	v_add_co_u32 v5, vcc_lo, v1, v7
	v_add_co_ci_u32_e32 v2, vcc_lo, 0, v2, vcc_lo
	s_delay_alu instid0(VALU_DEP_2) | instskip(SKIP_1) | instid1(VALU_DEP_2)
	v_add_co_u32 v1, vcc_lo, v5, 0
	s_waitcnt lgkmcnt(0)
	v_add_co_ci_u32_e32 v2, vcc_lo, v2, v6, vcc_lo
.LBB16_135:
	s_or_b32 exec_lo, exec_lo, s1
	v_cmp_gt_u32_e32 vcc_lo, 30, v3
	v_add_nc_u32_e32 v8, 2, v3
	s_mov_b32 s1, exec_lo
	s_waitcnt lgkmcnt(0)
	v_cndmask_b32_e64 v6, 0, 1, vcc_lo
	s_delay_alu instid0(VALU_DEP_1) | instskip(NEXT) | instid1(VALU_DEP_1)
	v_lshlrev_b32_e32 v6, 1, v6
	v_add_lshl_u32 v6, v6, v3, 2
	ds_bpermute_b32 v7, v6, v5
	ds_bpermute_b32 v6, v6, v2
	v_cmpx_lt_u32_e64 v8, v4
	s_cbranch_execz .LBB16_137
; %bb.136:
	s_waitcnt lgkmcnt(1)
	v_add_co_u32 v5, vcc_lo, v1, v7
	v_add_co_ci_u32_e32 v2, vcc_lo, 0, v2, vcc_lo
	s_delay_alu instid0(VALU_DEP_2) | instskip(SKIP_1) | instid1(VALU_DEP_2)
	v_add_co_u32 v1, vcc_lo, 0, v5
	s_waitcnt lgkmcnt(0)
	v_add_co_ci_u32_e32 v2, vcc_lo, v6, v2, vcc_lo
.LBB16_137:
	s_or_b32 exec_lo, exec_lo, s1
	v_cmp_gt_u32_e32 vcc_lo, 28, v3
	v_add_nc_u32_e32 v8, 4, v3
	s_mov_b32 s1, exec_lo
	s_waitcnt lgkmcnt(0)
	v_cndmask_b32_e64 v6, 0, 1, vcc_lo
	s_delay_alu instid0(VALU_DEP_1) | instskip(NEXT) | instid1(VALU_DEP_1)
	v_lshlrev_b32_e32 v6, 2, v6
	v_add_lshl_u32 v6, v6, v3, 2
	ds_bpermute_b32 v7, v6, v5
	ds_bpermute_b32 v6, v6, v2
	v_cmpx_lt_u32_e64 v8, v4
	;; [unrolled: 22-line block ×3, first 2 shown]
	s_cbranch_execz .LBB16_141
; %bb.140:
	s_waitcnt lgkmcnt(1)
	v_add_co_u32 v5, vcc_lo, v1, v7
	v_add_co_ci_u32_e32 v2, vcc_lo, 0, v2, vcc_lo
	s_delay_alu instid0(VALU_DEP_2) | instskip(SKIP_1) | instid1(VALU_DEP_2)
	v_add_co_u32 v1, vcc_lo, 0, v5
	s_waitcnt lgkmcnt(0)
	v_add_co_ci_u32_e32 v2, vcc_lo, v6, v2, vcc_lo
.LBB16_141:
	s_or_b32 exec_lo, exec_lo, s1
	v_cmp_gt_u32_e32 vcc_lo, 16, v3
	s_mov_b32 s1, exec_lo
	s_waitcnt lgkmcnt(0)
	v_cndmask_b32_e64 v6, 0, 1, vcc_lo
	s_delay_alu instid0(VALU_DEP_1) | instskip(NEXT) | instid1(VALU_DEP_1)
	v_lshlrev_b32_e32 v6, 4, v6
	v_add_lshl_u32 v7, v6, v3, 2
	ds_bpermute_b32 v6, v7, v5
	ds_bpermute_b32 v5, v7, v2
	v_add_nc_u32_e32 v7, 16, v3
	s_delay_alu instid0(VALU_DEP_1)
	v_cmpx_lt_u32_e64 v7, v4
	s_cbranch_execz .LBB16_143
; %bb.142:
	s_waitcnt lgkmcnt(1)
	v_add_co_u32 v1, vcc_lo, v1, v6
	v_add_co_ci_u32_e32 v2, vcc_lo, 0, v2, vcc_lo
	s_delay_alu instid0(VALU_DEP_2) | instskip(SKIP_1) | instid1(VALU_DEP_2)
	v_add_co_u32 v1, vcc_lo, v1, 0
	s_waitcnt lgkmcnt(0)
	v_add_co_ci_u32_e32 v2, vcc_lo, v2, v5, vcc_lo
.LBB16_143:
	s_or_b32 exec_lo, exec_lo, s1
	s_delay_alu instid0(SALU_CYCLE_1)
	s_mov_b32 s1, exec_lo
	v_cmpx_eq_u32_e32 0, v3
	s_cbranch_execz .LBB16_145
; %bb.144:
	v_lshrrev_b32_e32 v4, 2, v0
	s_delay_alu instid0(VALU_DEP_1)
	v_and_b32_e32 v4, 56, v4
	ds_store_b64 v4, v[1:2] offset:320
.LBB16_145:
	s_or_b32 exec_lo, exec_lo, s1
	s_delay_alu instid0(SALU_CYCLE_1)
	s_mov_b32 s1, exec_lo
	s_waitcnt lgkmcnt(0)
	s_barrier
	buffer_gl0_inv
	v_cmpx_gt_u32_e32 8, v0
	s_cbranch_execz .LBB16_153
; %bb.146:
	v_lshlrev_b32_e32 v1, 3, v3
	s_add_i32 s0, s0, 31
	s_delay_alu instid0(SALU_CYCLE_1) | instskip(SKIP_2) | instid1(VALU_DEP_1)
	s_lshr_b32 s0, s0, 5
	ds_load_b64 v[1:2], v1 offset:320
	v_and_b32_e32 v4, 7, v3
	v_cmp_ne_u32_e32 vcc_lo, 7, v4
	v_add_co_ci_u32_e32 v5, vcc_lo, 0, v3, vcc_lo
	s_delay_alu instid0(VALU_DEP_1) | instskip(SKIP_4) | instid1(VALU_DEP_1)
	v_lshlrev_b32_e32 v5, 2, v5
	s_waitcnt lgkmcnt(0)
	ds_bpermute_b32 v7, v5, v1
	ds_bpermute_b32 v6, v5, v2
	v_add_nc_u32_e32 v5, 1, v4
	v_cmp_gt_u32_e32 vcc_lo, s0, v5
	v_mov_b32_e32 v5, v1
	s_and_saveexec_b32 s2, vcc_lo
	s_cbranch_execz .LBB16_148
; %bb.147:
	s_waitcnt lgkmcnt(1)
	v_add_co_u32 v5, vcc_lo, v1, v7
	v_add_co_ci_u32_e32 v2, vcc_lo, 0, v2, vcc_lo
	s_delay_alu instid0(VALU_DEP_2) | instskip(SKIP_1) | instid1(VALU_DEP_2)
	v_add_co_u32 v1, vcc_lo, 0, v5
	s_waitcnt lgkmcnt(0)
	v_add_co_ci_u32_e32 v2, vcc_lo, v6, v2, vcc_lo
.LBB16_148:
	s_or_b32 exec_lo, exec_lo, s2
	v_cmp_gt_u32_e32 vcc_lo, 6, v4
	v_add_nc_u32_e32 v8, 2, v4
	s_mov_b32 s2, exec_lo
	s_waitcnt lgkmcnt(0)
	v_cndmask_b32_e64 v6, 0, 1, vcc_lo
	s_delay_alu instid0(VALU_DEP_1) | instskip(NEXT) | instid1(VALU_DEP_1)
	v_lshlrev_b32_e32 v6, 1, v6
	v_add_lshl_u32 v6, v6, v3, 2
	ds_bpermute_b32 v7, v6, v5
	ds_bpermute_b32 v6, v6, v2
	v_cmpx_gt_u32_e64 s0, v8
	s_cbranch_execz .LBB16_150
; %bb.149:
	s_waitcnt lgkmcnt(1)
	v_add_co_u32 v5, vcc_lo, v1, v7
	v_add_co_ci_u32_e32 v2, vcc_lo, 0, v2, vcc_lo
	s_delay_alu instid0(VALU_DEP_2) | instskip(SKIP_1) | instid1(VALU_DEP_2)
	v_add_co_u32 v1, vcc_lo, 0, v5
	s_waitcnt lgkmcnt(0)
	v_add_co_ci_u32_e32 v2, vcc_lo, v6, v2, vcc_lo
.LBB16_150:
	s_or_b32 exec_lo, exec_lo, s2
	v_cmp_gt_u32_e32 vcc_lo, 4, v4
	v_add_nc_u32_e32 v4, 4, v4
	s_waitcnt lgkmcnt(0)
	v_cndmask_b32_e64 v6, 0, 1, vcc_lo
	s_delay_alu instid0(VALU_DEP_2) | instskip(NEXT) | instid1(VALU_DEP_2)
	v_cmp_gt_u32_e32 vcc_lo, s0, v4
	v_lshlrev_b32_e32 v6, 2, v6
	s_delay_alu instid0(VALU_DEP_1)
	v_add_lshl_u32 v3, v6, v3, 2
	ds_bpermute_b32 v5, v3, v5
	ds_bpermute_b32 v3, v3, v2
	s_and_saveexec_b32 s0, vcc_lo
	s_cbranch_execz .LBB16_152
; %bb.151:
	s_waitcnt lgkmcnt(1)
	v_add_co_u32 v1, vcc_lo, v1, v5
	v_add_co_ci_u32_e32 v2, vcc_lo, 0, v2, vcc_lo
	s_delay_alu instid0(VALU_DEP_2) | instskip(SKIP_1) | instid1(VALU_DEP_2)
	v_add_co_u32 v1, vcc_lo, v1, 0
	s_waitcnt lgkmcnt(0)
	v_add_co_ci_u32_e32 v2, vcc_lo, v2, v3, vcc_lo
.LBB16_152:
	s_or_b32 exec_lo, exec_lo, s0
.LBB16_153:
	s_delay_alu instid0(SALU_CYCLE_1)
	s_or_b32 exec_lo, exec_lo, s1
.LBB16_154:
	v_cmp_eq_u32_e64 s0, 0, v0
.LBB16_155:
	s_branch .LBB16_201
.LBB16_156:
	s_cmp_gt_i32 s26, 1
	s_cbranch_scc0 .LBB16_165
; %bb.157:
	s_cmp_eq_u32 s26, 2
                                        ; implicit-def: $vgpr1_vgpr2
	s_cbranch_scc0 .LBB16_166
; %bb.158:
	s_mov_b32 s15, 0
	s_lshl_b32 s2, s14, 9
	s_mov_b32 s3, s15
	s_lshr_b64 s[4:5], s[18:19], 9
	s_lshl_b64 s[0:1], s[2:3], 3
	s_delay_alu instid0(SALU_CYCLE_1)
	s_add_u32 s0, s16, s0
	s_addc_u32 s1, s17, s1
	s_cmp_lg_u64 s[4:5], s[14:15]
	s_cbranch_scc0 .LBB16_167
; %bb.159:
	s_waitcnt lgkmcnt(0)
	v_lshlrev_b32_e32 v3, 3, v0
	s_mov_b32 s3, exec_lo
	s_clause 0x1
	global_load_b64 v[1:2], v3, s[0:1]
	global_load_b64 v[3:4], v3, s[0:1] offset:2048
	s_waitcnt vmcnt(0)
	v_add_co_u32 v1, vcc_lo, v3, v1
	v_add_co_ci_u32_e32 v2, vcc_lo, v4, v2, vcc_lo
	s_delay_alu instid0(VALU_DEP_2) | instskip(NEXT) | instid1(VALU_DEP_1)
	v_mov_b32_dpp v3, v1 quad_perm:[1,0,3,2] row_mask:0xf bank_mask:0xf
	v_add_co_u32 v1, vcc_lo, v1, v3
	s_delay_alu instid0(VALU_DEP_3) | instskip(SKIP_1) | instid1(VALU_DEP_3)
	v_mov_b32_dpp v3, v2 quad_perm:[1,0,3,2] row_mask:0xf bank_mask:0xf
	v_add_co_ci_u32_e32 v2, vcc_lo, 0, v2, vcc_lo
	v_mov_b32_dpp v4, v1 quad_perm:[2,3,0,1] row_mask:0xf bank_mask:0xf
	v_add_co_u32 v1, vcc_lo, 0, v1
	s_delay_alu instid0(VALU_DEP_3) | instskip(NEXT) | instid1(VALU_DEP_2)
	v_add_co_ci_u32_e32 v2, vcc_lo, v3, v2, vcc_lo
	v_add_co_u32 v1, vcc_lo, v1, v4
	s_delay_alu instid0(VALU_DEP_2) | instskip(SKIP_1) | instid1(VALU_DEP_3)
	v_mov_b32_dpp v3, v2 quad_perm:[2,3,0,1] row_mask:0xf bank_mask:0xf
	v_add_co_ci_u32_e32 v2, vcc_lo, 0, v2, vcc_lo
	v_mov_b32_dpp v4, v1 row_ror:4 row_mask:0xf bank_mask:0xf
	v_add_co_u32 v1, vcc_lo, v1, 0
	s_delay_alu instid0(VALU_DEP_3) | instskip(NEXT) | instid1(VALU_DEP_2)
	v_add_co_ci_u32_e32 v2, vcc_lo, v2, v3, vcc_lo
	v_add_co_u32 v1, vcc_lo, v1, v4
	s_delay_alu instid0(VALU_DEP_2) | instskip(SKIP_1) | instid1(VALU_DEP_3)
	v_mov_b32_dpp v3, v2 row_ror:4 row_mask:0xf bank_mask:0xf
	v_add_co_ci_u32_e32 v2, vcc_lo, 0, v2, vcc_lo
	v_mov_b32_dpp v4, v1 row_ror:8 row_mask:0xf bank_mask:0xf
	v_add_co_u32 v1, vcc_lo, v1, 0
	s_delay_alu instid0(VALU_DEP_3) | instskip(NEXT) | instid1(VALU_DEP_2)
	v_add_co_ci_u32_e32 v2, vcc_lo, v2, v3, vcc_lo
	v_add_co_u32 v1, vcc_lo, v1, v4
	s_delay_alu instid0(VALU_DEP_2)
	v_mov_b32_dpp v3, v2 row_ror:8 row_mask:0xf bank_mask:0xf
	v_add_co_ci_u32_e32 v2, vcc_lo, 0, v2, vcc_lo
	ds_swizzle_b32 v4, v1 offset:swizzle(BROADCAST,32,15)
	v_add_co_u32 v1, vcc_lo, v1, 0
	v_add_co_ci_u32_e32 v2, vcc_lo, v2, v3, vcc_lo
	ds_swizzle_b32 v3, v2 offset:swizzle(BROADCAST,32,15)
	s_waitcnt lgkmcnt(1)
	v_add_co_u32 v1, vcc_lo, v1, v4
	v_mov_b32_e32 v4, 0
	v_add_co_ci_u32_e32 v2, vcc_lo, 0, v2, vcc_lo
	ds_bpermute_b32 v1, v4, v1 offset:124
	s_waitcnt lgkmcnt(1)
	v_add_nc_u32_e32 v2, v3, v2
	v_mbcnt_lo_u32_b32 v3, -1, 0
	ds_bpermute_b32 v2, v4, v2 offset:124
	v_cmpx_eq_u32_e32 0, v3
	s_cbranch_execz .LBB16_161
; %bb.160:
	v_lshrrev_b32_e32 v4, 2, v0
	s_delay_alu instid0(VALU_DEP_1)
	v_and_b32_e32 v4, 56, v4
	s_waitcnt lgkmcnt(0)
	ds_store_b64 v4, v[1:2] offset:128
.LBB16_161:
	s_or_b32 exec_lo, exec_lo, s3
	s_delay_alu instid0(SALU_CYCLE_1)
	s_mov_b32 s3, exec_lo
	s_waitcnt lgkmcnt(0)
	s_barrier
	buffer_gl0_inv
	v_cmpx_gt_u32_e32 32, v0
	s_cbranch_execz .LBB16_163
; %bb.162:
	v_and_b32_e32 v4, 7, v3
	s_delay_alu instid0(VALU_DEP_1) | instskip(SKIP_4) | instid1(VALU_DEP_2)
	v_lshlrev_b32_e32 v1, 3, v4
	v_cmp_ne_u32_e32 vcc_lo, 7, v4
	ds_load_b64 v[1:2], v1 offset:128
	v_add_co_ci_u32_e32 v5, vcc_lo, 0, v3, vcc_lo
	v_cmp_gt_u32_e32 vcc_lo, 6, v4
	v_lshlrev_b32_e32 v5, 2, v5
	v_cndmask_b32_e64 v7, 0, 1, vcc_lo
	s_delay_alu instid0(VALU_DEP_1) | instskip(NEXT) | instid1(VALU_DEP_1)
	v_lshlrev_b32_e32 v7, 1, v7
	v_add_lshl_u32 v7, v7, v3, 2
	s_waitcnt lgkmcnt(0)
	ds_bpermute_b32 v6, v5, v1
	ds_bpermute_b32 v5, v5, v2
	s_waitcnt lgkmcnt(1)
	v_add_co_u32 v1, vcc_lo, v1, v6
	v_add_co_ci_u32_e32 v2, vcc_lo, 0, v2, vcc_lo
	ds_bpermute_b32 v6, v7, v1
	v_add_co_u32 v1, vcc_lo, 0, v1
	s_waitcnt lgkmcnt(1)
	v_add_co_ci_u32_e32 v2, vcc_lo, v5, v2, vcc_lo
	v_cmp_gt_u32_e32 vcc_lo, 4, v4
	ds_bpermute_b32 v5, v7, v2
	v_cndmask_b32_e64 v4, 0, 1, vcc_lo
	s_delay_alu instid0(VALU_DEP_1) | instskip(NEXT) | instid1(VALU_DEP_1)
	v_lshlrev_b32_e32 v4, 2, v4
	v_add_lshl_u32 v3, v4, v3, 2
	s_waitcnt lgkmcnt(1)
	v_add_co_u32 v1, vcc_lo, v1, v6
	v_add_co_ci_u32_e32 v2, vcc_lo, 0, v2, vcc_lo
	ds_bpermute_b32 v4, v3, v1
	v_add_co_u32 v1, vcc_lo, v1, 0
	s_waitcnt lgkmcnt(1)
	v_add_co_ci_u32_e32 v2, vcc_lo, v2, v5, vcc_lo
	ds_bpermute_b32 v3, v3, v2
	s_waitcnt lgkmcnt(1)
	v_add_co_u32 v1, vcc_lo, v1, v4
	v_add_co_ci_u32_e32 v2, vcc_lo, 0, v2, vcc_lo
	s_delay_alu instid0(VALU_DEP_2) | instskip(SKIP_1) | instid1(VALU_DEP_2)
	v_add_co_u32 v1, vcc_lo, v1, 0
	s_waitcnt lgkmcnt(0)
	v_add_co_ci_u32_e32 v2, vcc_lo, v2, v3, vcc_lo
.LBB16_163:
	s_or_b32 exec_lo, exec_lo, s3
.LBB16_164:
	v_cmp_eq_u32_e64 s0, 0, v0
	s_branch .LBB16_201
.LBB16_165:
                                        ; implicit-def: $vgpr1_vgpr2
	s_cbranch_execnz .LBB16_193
	s_branch .LBB16_201
.LBB16_166:
	s_branch .LBB16_201
.LBB16_167:
                                        ; implicit-def: $vgpr1_vgpr2
	s_cbranch_execz .LBB16_164
; %bb.168:
	s_sub_i32 s2, s18, s2
	s_mov_b32 s3, exec_lo
                                        ; implicit-def: $vgpr1_vgpr2_vgpr3_vgpr4
	v_cmpx_gt_u32_e64 s2, v0
	s_cbranch_execz .LBB16_170
; %bb.169:
	v_lshlrev_b32_e32 v1, 3, v0
	global_load_b64 v[1:2], v1, s[0:1]
.LBB16_170:
	s_or_b32 exec_lo, exec_lo, s3
	s_waitcnt lgkmcnt(1)
	v_or_b32_e32 v5, 0x100, v0
	s_delay_alu instid0(VALU_DEP_1)
	v_cmp_gt_u32_e32 vcc_lo, s2, v5
	s_and_saveexec_b32 s3, vcc_lo
	s_cbranch_execz .LBB16_172
; %bb.171:
	s_waitcnt lgkmcnt(0)
	v_lshlrev_b32_e32 v3, 3, v0
	global_load_b64 v[3:4], v3, s[0:1] offset:2048
.LBB16_172:
	s_or_b32 exec_lo, exec_lo, s3
	v_mbcnt_lo_u32_b32 v5, -1, 0
	s_waitcnt vmcnt(0) lgkmcnt(0)
	v_dual_cndmask_b32 v3, 0, v3 :: v_dual_cndmask_b32 v4, 0, v4
	s_delay_alu instid0(VALU_DEP_2) | instskip(NEXT) | instid1(VALU_DEP_2)
	v_cmp_ne_u32_e64 s0, 31, v5
	v_add_co_u32 v1, vcc_lo, v3, v1
	s_delay_alu instid0(VALU_DEP_3) | instskip(NEXT) | instid1(VALU_DEP_3)
	v_add_co_ci_u32_e32 v2, vcc_lo, v4, v2, vcc_lo
	v_add_co_ci_u32_e64 v6, s0, 0, v5, s0
	v_and_b32_e32 v3, 0xe0, v0
	s_min_u32 s0, s2, 0x100
	v_add_nc_u32_e32 v4, 1, v5
	s_delay_alu instid0(VALU_DEP_3) | instskip(NEXT) | instid1(VALU_DEP_3)
	v_lshlrev_b32_e32 v6, 2, v6
	v_sub_nc_u32_e64 v3, s0, v3 clamp
	ds_bpermute_b32 v7, v6, v1
	ds_bpermute_b32 v6, v6, v2
	v_cmp_lt_u32_e32 vcc_lo, v4, v3
	v_mov_b32_e32 v4, v1
	s_and_saveexec_b32 s1, vcc_lo
	s_cbranch_execz .LBB16_174
; %bb.173:
	s_waitcnt lgkmcnt(1)
	v_add_co_u32 v4, vcc_lo, v1, v7
	v_add_co_ci_u32_e32 v2, vcc_lo, 0, v2, vcc_lo
	s_delay_alu instid0(VALU_DEP_2) | instskip(SKIP_1) | instid1(VALU_DEP_2)
	v_add_co_u32 v1, vcc_lo, 0, v4
	s_waitcnt lgkmcnt(0)
	v_add_co_ci_u32_e32 v2, vcc_lo, v6, v2, vcc_lo
.LBB16_174:
	s_or_b32 exec_lo, exec_lo, s1
	v_cmp_gt_u32_e32 vcc_lo, 30, v5
	v_add_nc_u32_e32 v8, 2, v5
	s_mov_b32 s1, exec_lo
	s_waitcnt lgkmcnt(0)
	v_cndmask_b32_e64 v6, 0, 1, vcc_lo
	s_delay_alu instid0(VALU_DEP_1) | instskip(NEXT) | instid1(VALU_DEP_1)
	v_lshlrev_b32_e32 v6, 1, v6
	v_add_lshl_u32 v6, v6, v5, 2
	ds_bpermute_b32 v7, v6, v4
	ds_bpermute_b32 v6, v6, v2
	v_cmpx_lt_u32_e64 v8, v3
	s_cbranch_execz .LBB16_176
; %bb.175:
	s_waitcnt lgkmcnt(1)
	v_add_co_u32 v4, vcc_lo, v1, v7
	v_add_co_ci_u32_e32 v2, vcc_lo, 0, v2, vcc_lo
	s_delay_alu instid0(VALU_DEP_2) | instskip(SKIP_1) | instid1(VALU_DEP_2)
	v_add_co_u32 v1, vcc_lo, 0, v4
	s_waitcnt lgkmcnt(0)
	v_add_co_ci_u32_e32 v2, vcc_lo, v6, v2, vcc_lo
.LBB16_176:
	s_or_b32 exec_lo, exec_lo, s1
	v_cmp_gt_u32_e32 vcc_lo, 28, v5
	v_add_nc_u32_e32 v8, 4, v5
	s_mov_b32 s1, exec_lo
	s_waitcnt lgkmcnt(0)
	v_cndmask_b32_e64 v6, 0, 1, vcc_lo
	s_delay_alu instid0(VALU_DEP_1) | instskip(NEXT) | instid1(VALU_DEP_1)
	v_lshlrev_b32_e32 v6, 2, v6
	v_add_lshl_u32 v6, v6, v5, 2
	ds_bpermute_b32 v7, v6, v4
	ds_bpermute_b32 v6, v6, v2
	v_cmpx_lt_u32_e64 v8, v3
	;; [unrolled: 22-line block ×3, first 2 shown]
	s_cbranch_execz .LBB16_180
; %bb.179:
	s_waitcnt lgkmcnt(1)
	v_add_co_u32 v4, vcc_lo, v1, v7
	v_add_co_ci_u32_e32 v2, vcc_lo, 0, v2, vcc_lo
	s_delay_alu instid0(VALU_DEP_2) | instskip(SKIP_1) | instid1(VALU_DEP_2)
	v_add_co_u32 v1, vcc_lo, 0, v4
	s_waitcnt lgkmcnt(0)
	v_add_co_ci_u32_e32 v2, vcc_lo, v6, v2, vcc_lo
.LBB16_180:
	s_or_b32 exec_lo, exec_lo, s1
	v_cmp_gt_u32_e32 vcc_lo, 16, v5
	s_mov_b32 s1, exec_lo
	s_waitcnt lgkmcnt(0)
	v_cndmask_b32_e64 v6, 0, 1, vcc_lo
	s_delay_alu instid0(VALU_DEP_1) | instskip(NEXT) | instid1(VALU_DEP_1)
	v_lshlrev_b32_e32 v6, 4, v6
	v_add_lshl_u32 v7, v6, v5, 2
	ds_bpermute_b32 v6, v7, v4
	ds_bpermute_b32 v4, v7, v2
	v_add_nc_u32_e32 v7, 16, v5
	s_delay_alu instid0(VALU_DEP_1)
	v_cmpx_lt_u32_e64 v7, v3
	s_cbranch_execz .LBB16_182
; %bb.181:
	s_waitcnt lgkmcnt(1)
	v_add_co_u32 v1, vcc_lo, v1, v6
	v_add_co_ci_u32_e32 v2, vcc_lo, 0, v2, vcc_lo
	s_delay_alu instid0(VALU_DEP_2) | instskip(SKIP_1) | instid1(VALU_DEP_2)
	v_add_co_u32 v1, vcc_lo, v1, 0
	s_waitcnt lgkmcnt(0)
	v_add_co_ci_u32_e32 v2, vcc_lo, v2, v4, vcc_lo
.LBB16_182:
	s_or_b32 exec_lo, exec_lo, s1
	s_delay_alu instid0(SALU_CYCLE_1)
	s_mov_b32 s1, exec_lo
	v_cmpx_eq_u32_e32 0, v5
	s_cbranch_execz .LBB16_184
; %bb.183:
	v_lshrrev_b32_e32 v3, 2, v0
	s_delay_alu instid0(VALU_DEP_1)
	v_and_b32_e32 v3, 56, v3
	ds_store_b64 v3, v[1:2] offset:320
.LBB16_184:
	s_or_b32 exec_lo, exec_lo, s1
	s_delay_alu instid0(SALU_CYCLE_1)
	s_mov_b32 s1, exec_lo
	s_waitcnt lgkmcnt(0)
	s_barrier
	buffer_gl0_inv
	v_cmpx_gt_u32_e32 8, v0
	s_cbranch_execz .LBB16_192
; %bb.185:
	v_lshlrev_b32_e32 v1, 3, v5
	s_add_i32 s0, s0, 31
	s_delay_alu instid0(SALU_CYCLE_1) | instskip(SKIP_2) | instid1(VALU_DEP_1)
	s_lshr_b32 s0, s0, 5
	ds_load_b64 v[1:2], v1 offset:320
	v_and_b32_e32 v3, 7, v5
	v_cmp_ne_u32_e32 vcc_lo, 7, v3
	v_add_co_ci_u32_e32 v4, vcc_lo, 0, v5, vcc_lo
	s_delay_alu instid0(VALU_DEP_1) | instskip(SKIP_4) | instid1(VALU_DEP_1)
	v_lshlrev_b32_e32 v4, 2, v4
	s_waitcnt lgkmcnt(0)
	ds_bpermute_b32 v7, v4, v1
	ds_bpermute_b32 v6, v4, v2
	v_add_nc_u32_e32 v4, 1, v3
	v_cmp_gt_u32_e32 vcc_lo, s0, v4
	v_mov_b32_e32 v4, v1
	s_and_saveexec_b32 s2, vcc_lo
	s_cbranch_execz .LBB16_187
; %bb.186:
	s_waitcnt lgkmcnt(1)
	v_add_co_u32 v4, vcc_lo, v1, v7
	v_add_co_ci_u32_e32 v2, vcc_lo, 0, v2, vcc_lo
	s_delay_alu instid0(VALU_DEP_2) | instskip(SKIP_1) | instid1(VALU_DEP_2)
	v_add_co_u32 v1, vcc_lo, 0, v4
	s_waitcnt lgkmcnt(0)
	v_add_co_ci_u32_e32 v2, vcc_lo, v6, v2, vcc_lo
.LBB16_187:
	s_or_b32 exec_lo, exec_lo, s2
	v_cmp_gt_u32_e32 vcc_lo, 6, v3
	v_add_nc_u32_e32 v8, 2, v3
	s_mov_b32 s2, exec_lo
	s_waitcnt lgkmcnt(0)
	v_cndmask_b32_e64 v6, 0, 1, vcc_lo
	s_delay_alu instid0(VALU_DEP_1) | instskip(NEXT) | instid1(VALU_DEP_1)
	v_lshlrev_b32_e32 v6, 1, v6
	v_add_lshl_u32 v6, v6, v5, 2
	ds_bpermute_b32 v7, v6, v4
	ds_bpermute_b32 v6, v6, v2
	v_cmpx_gt_u32_e64 s0, v8
	s_cbranch_execz .LBB16_189
; %bb.188:
	s_waitcnt lgkmcnt(1)
	v_add_co_u32 v4, vcc_lo, v1, v7
	v_add_co_ci_u32_e32 v2, vcc_lo, 0, v2, vcc_lo
	s_delay_alu instid0(VALU_DEP_2) | instskip(SKIP_1) | instid1(VALU_DEP_2)
	v_add_co_u32 v1, vcc_lo, 0, v4
	s_waitcnt lgkmcnt(0)
	v_add_co_ci_u32_e32 v2, vcc_lo, v6, v2, vcc_lo
.LBB16_189:
	s_or_b32 exec_lo, exec_lo, s2
	v_cmp_gt_u32_e32 vcc_lo, 4, v3
	v_add_nc_u32_e32 v3, 4, v3
	s_waitcnt lgkmcnt(0)
	v_cndmask_b32_e64 v6, 0, 1, vcc_lo
	s_delay_alu instid0(VALU_DEP_2) | instskip(NEXT) | instid1(VALU_DEP_2)
	v_cmp_gt_u32_e32 vcc_lo, s0, v3
	v_lshlrev_b32_e32 v6, 2, v6
	s_delay_alu instid0(VALU_DEP_1)
	v_add_lshl_u32 v6, v6, v5, 2
	ds_bpermute_b32 v5, v6, v4
	ds_bpermute_b32 v4, v6, v2
	s_and_saveexec_b32 s0, vcc_lo
	s_cbranch_execz .LBB16_191
; %bb.190:
	s_waitcnt lgkmcnt(1)
	v_add_co_u32 v1, vcc_lo, v1, v5
	v_add_co_ci_u32_e32 v2, vcc_lo, 0, v2, vcc_lo
	s_delay_alu instid0(VALU_DEP_2) | instskip(SKIP_1) | instid1(VALU_DEP_2)
	v_add_co_u32 v1, vcc_lo, v1, 0
	s_waitcnt lgkmcnt(0)
	v_add_co_ci_u32_e32 v2, vcc_lo, v2, v4, vcc_lo
.LBB16_191:
	s_or_b32 exec_lo, exec_lo, s0
.LBB16_192:
	s_delay_alu instid0(SALU_CYCLE_1)
	s_or_b32 exec_lo, exec_lo, s1
	v_cmp_eq_u32_e64 s0, 0, v0
	s_branch .LBB16_201
.LBB16_193:
	s_cmp_eq_u32 s26, 1
                                        ; implicit-def: $vgpr1_vgpr2
	s_cbranch_scc0 .LBB16_201
; %bb.194:
	s_mov_b32 s1, 0
	s_waitcnt lgkmcnt(0)
	v_mbcnt_lo_u32_b32 v3, -1, 0
	s_lshr_b64 s[2:3], s[18:19], 8
	s_mov_b32 s15, s1
	s_lshl_b32 s0, s14, 8
	s_cmp_lg_u64 s[2:3], s[14:15]
	s_cbranch_scc0 .LBB16_204
; %bb.195:
	s_lshl_b64 s[2:3], s[0:1], 3
	v_lshlrev_b32_e32 v1, 3, v0
	s_add_u32 s2, s16, s2
	s_addc_u32 s3, s17, s3
	global_load_b64 v[1:2], v1, s[2:3]
	s_mov_b32 s2, exec_lo
	s_waitcnt vmcnt(0)
	v_mov_b32_dpp v4, v1 quad_perm:[1,0,3,2] row_mask:0xf bank_mask:0xf
	s_delay_alu instid0(VALU_DEP_1) | instskip(SKIP_2) | instid1(VALU_DEP_3)
	v_add_co_u32 v1, vcc_lo, v1, v4
	v_mov_b32_dpp v4, v2 quad_perm:[1,0,3,2] row_mask:0xf bank_mask:0xf
	v_add_co_ci_u32_e32 v2, vcc_lo, 0, v2, vcc_lo
	v_mov_b32_dpp v5, v1 quad_perm:[2,3,0,1] row_mask:0xf bank_mask:0xf
	v_add_co_u32 v1, vcc_lo, 0, v1
	s_delay_alu instid0(VALU_DEP_3) | instskip(NEXT) | instid1(VALU_DEP_2)
	v_add_co_ci_u32_e32 v2, vcc_lo, v4, v2, vcc_lo
	v_add_co_u32 v1, vcc_lo, v1, v5
	s_delay_alu instid0(VALU_DEP_2) | instskip(SKIP_1) | instid1(VALU_DEP_3)
	v_mov_b32_dpp v4, v2 quad_perm:[2,3,0,1] row_mask:0xf bank_mask:0xf
	v_add_co_ci_u32_e32 v2, vcc_lo, 0, v2, vcc_lo
	v_mov_b32_dpp v5, v1 row_ror:4 row_mask:0xf bank_mask:0xf
	v_add_co_u32 v1, vcc_lo, v1, 0
	s_delay_alu instid0(VALU_DEP_3) | instskip(NEXT) | instid1(VALU_DEP_2)
	v_add_co_ci_u32_e32 v2, vcc_lo, v2, v4, vcc_lo
	v_add_co_u32 v1, vcc_lo, v1, v5
	s_delay_alu instid0(VALU_DEP_2) | instskip(SKIP_1) | instid1(VALU_DEP_3)
	v_mov_b32_dpp v4, v2 row_ror:4 row_mask:0xf bank_mask:0xf
	v_add_co_ci_u32_e32 v2, vcc_lo, 0, v2, vcc_lo
	v_mov_b32_dpp v5, v1 row_ror:8 row_mask:0xf bank_mask:0xf
	v_add_co_u32 v1, vcc_lo, v1, 0
	s_delay_alu instid0(VALU_DEP_3) | instskip(NEXT) | instid1(VALU_DEP_2)
	v_add_co_ci_u32_e32 v2, vcc_lo, v2, v4, vcc_lo
	v_add_co_u32 v1, vcc_lo, v1, v5
	s_delay_alu instid0(VALU_DEP_2)
	v_mov_b32_dpp v4, v2 row_ror:8 row_mask:0xf bank_mask:0xf
	v_add_co_ci_u32_e32 v2, vcc_lo, 0, v2, vcc_lo
	ds_swizzle_b32 v5, v1 offset:swizzle(BROADCAST,32,15)
	v_add_co_u32 v1, vcc_lo, v1, 0
	v_add_co_ci_u32_e32 v2, vcc_lo, v2, v4, vcc_lo
	ds_swizzle_b32 v4, v2 offset:swizzle(BROADCAST,32,15)
	s_waitcnt lgkmcnt(1)
	v_add_co_u32 v1, vcc_lo, v1, v5
	v_add_co_ci_u32_e32 v2, vcc_lo, 0, v2, vcc_lo
	s_waitcnt lgkmcnt(0)
	s_delay_alu instid0(VALU_DEP_1)
	v_dual_mov_b32 v5, 0 :: v_dual_add_nc_u32 v2, v4, v2
	ds_bpermute_b32 v1, v5, v1 offset:124
	ds_bpermute_b32 v2, v5, v2 offset:124
	v_cmpx_eq_u32_e32 0, v3
	s_cbranch_execz .LBB16_197
; %bb.196:
	v_lshrrev_b32_e32 v4, 2, v0
	s_delay_alu instid0(VALU_DEP_1)
	v_and_b32_e32 v4, 56, v4
	s_waitcnt lgkmcnt(0)
	ds_store_b64 v4, v[1:2] offset:64
.LBB16_197:
	s_or_b32 exec_lo, exec_lo, s2
	s_delay_alu instid0(SALU_CYCLE_1)
	s_mov_b32 s2, exec_lo
	s_waitcnt lgkmcnt(0)
	s_barrier
	buffer_gl0_inv
	v_cmpx_gt_u32_e32 32, v0
	s_cbranch_execz .LBB16_199
; %bb.198:
	v_and_b32_e32 v4, 7, v3
	s_delay_alu instid0(VALU_DEP_1) | instskip(SKIP_4) | instid1(VALU_DEP_2)
	v_lshlrev_b32_e32 v1, 3, v4
	v_cmp_ne_u32_e32 vcc_lo, 7, v4
	ds_load_b64 v[1:2], v1 offset:64
	v_add_co_ci_u32_e32 v5, vcc_lo, 0, v3, vcc_lo
	v_cmp_gt_u32_e32 vcc_lo, 6, v4
	v_lshlrev_b32_e32 v5, 2, v5
	v_cndmask_b32_e64 v7, 0, 1, vcc_lo
	s_delay_alu instid0(VALU_DEP_1) | instskip(NEXT) | instid1(VALU_DEP_1)
	v_lshlrev_b32_e32 v7, 1, v7
	v_add_lshl_u32 v7, v7, v3, 2
	s_waitcnt lgkmcnt(0)
	ds_bpermute_b32 v6, v5, v1
	ds_bpermute_b32 v5, v5, v2
	s_waitcnt lgkmcnt(1)
	v_add_co_u32 v1, vcc_lo, v1, v6
	v_add_co_ci_u32_e32 v2, vcc_lo, 0, v2, vcc_lo
	ds_bpermute_b32 v6, v7, v1
	v_add_co_u32 v1, vcc_lo, 0, v1
	s_waitcnt lgkmcnt(1)
	v_add_co_ci_u32_e32 v2, vcc_lo, v5, v2, vcc_lo
	v_cmp_gt_u32_e32 vcc_lo, 4, v4
	ds_bpermute_b32 v5, v7, v2
	v_cndmask_b32_e64 v4, 0, 1, vcc_lo
	s_delay_alu instid0(VALU_DEP_1) | instskip(NEXT) | instid1(VALU_DEP_1)
	v_lshlrev_b32_e32 v4, 2, v4
	v_add_lshl_u32 v4, v4, v3, 2
	s_waitcnt lgkmcnt(1)
	v_add_co_u32 v1, vcc_lo, v1, v6
	v_add_co_ci_u32_e32 v2, vcc_lo, 0, v2, vcc_lo
	ds_bpermute_b32 v6, v4, v1
	v_add_co_u32 v1, vcc_lo, v1, 0
	s_waitcnt lgkmcnt(1)
	v_add_co_ci_u32_e32 v2, vcc_lo, v2, v5, vcc_lo
	ds_bpermute_b32 v4, v4, v2
	s_waitcnt lgkmcnt(1)
	v_add_co_u32 v1, vcc_lo, v1, v6
	v_add_co_ci_u32_e32 v2, vcc_lo, 0, v2, vcc_lo
	s_delay_alu instid0(VALU_DEP_2) | instskip(SKIP_1) | instid1(VALU_DEP_2)
	v_add_co_u32 v1, vcc_lo, v1, 0
	s_waitcnt lgkmcnt(0)
	v_add_co_ci_u32_e32 v2, vcc_lo, v2, v4, vcc_lo
.LBB16_199:
	s_or_b32 exec_lo, exec_lo, s2
.LBB16_200:
	v_cmp_eq_u32_e64 s0, 0, v0
.LBB16_201:
	s_delay_alu instid0(VALU_DEP_1)
	s_and_saveexec_b32 s1, s0
	s_cbranch_execz .LBB16_203
.LBB16_202:
	s_lshl_b64 s[0:1], s[14:15], 3
	s_waitcnt lgkmcnt(0)
	v_mov_b32_e32 v3, 0
	s_add_u32 s0, s20, s0
	s_addc_u32 s1, s21, s1
	s_cmp_lg_u64 s[18:19], 0
	s_cselect_b32 vcc_lo, -1, 0
	v_cndmask_b32_e32 v0, 0, v1, vcc_lo
	v_cndmask_b32_e32 v2, 0, v2, vcc_lo
	s_delay_alu instid0(VALU_DEP_2) | instskip(NEXT) | instid1(VALU_DEP_2)
	v_add_co_u32 v0, vcc_lo, v0, s22
	v_add_co_ci_u32_e32 v1, vcc_lo, s23, v2, vcc_lo
	global_store_b64 v3, v[0:1], s[0:1]
.LBB16_203:
	s_nop 0
	s_sendmsg sendmsg(MSG_DEALLOC_VGPRS)
	s_endpgm
.LBB16_204:
                                        ; implicit-def: $vgpr1_vgpr2
	s_cbranch_execz .LBB16_200
; %bb.205:
	s_sub_i32 s2, s18, s0
	s_mov_b32 s3, exec_lo
                                        ; implicit-def: $vgpr1_vgpr2
	v_cmpx_gt_u32_e64 s2, v0
	s_cbranch_execz .LBB16_207
; %bb.206:
	s_lshl_b64 s[0:1], s[0:1], 3
	v_lshlrev_b32_e32 v1, 3, v0
	s_add_u32 s0, s16, s0
	s_addc_u32 s1, s17, s1
	global_load_b64 v[1:2], v1, s[0:1]
.LBB16_207:
	s_or_b32 exec_lo, exec_lo, s3
	v_cmp_ne_u32_e32 vcc_lo, 31, v3
	s_min_u32 s0, s2, 0x100
	v_add_nc_u32_e32 v5, 1, v3
	v_add_co_ci_u32_e32 v4, vcc_lo, 0, v3, vcc_lo
	s_delay_alu instid0(VALU_DEP_1) | instskip(SKIP_4) | instid1(VALU_DEP_1)
	v_lshlrev_b32_e32 v4, 2, v4
	s_waitcnt vmcnt(0)
	ds_bpermute_b32 v7, v4, v1
	ds_bpermute_b32 v6, v4, v2
	v_and_b32_e32 v4, 0xe0, v0
	v_sub_nc_u32_e64 v4, s0, v4 clamp
	s_delay_alu instid0(VALU_DEP_1)
	v_cmp_lt_u32_e32 vcc_lo, v5, v4
	v_mov_b32_e32 v5, v1
	s_and_saveexec_b32 s1, vcc_lo
	s_cbranch_execz .LBB16_209
; %bb.208:
	s_waitcnt lgkmcnt(1)
	v_add_co_u32 v5, vcc_lo, v1, v7
	v_add_co_ci_u32_e32 v2, vcc_lo, 0, v2, vcc_lo
	s_delay_alu instid0(VALU_DEP_2) | instskip(SKIP_1) | instid1(VALU_DEP_2)
	v_add_co_u32 v1, vcc_lo, 0, v5
	s_waitcnt lgkmcnt(0)
	v_add_co_ci_u32_e32 v2, vcc_lo, v6, v2, vcc_lo
.LBB16_209:
	s_or_b32 exec_lo, exec_lo, s1
	v_cmp_gt_u32_e32 vcc_lo, 30, v3
	v_add_nc_u32_e32 v8, 2, v3
	s_mov_b32 s1, exec_lo
	s_waitcnt lgkmcnt(0)
	v_cndmask_b32_e64 v6, 0, 1, vcc_lo
	s_delay_alu instid0(VALU_DEP_1) | instskip(NEXT) | instid1(VALU_DEP_1)
	v_lshlrev_b32_e32 v6, 1, v6
	v_add_lshl_u32 v6, v6, v3, 2
	ds_bpermute_b32 v7, v6, v5
	ds_bpermute_b32 v6, v6, v2
	v_cmpx_lt_u32_e64 v8, v4
	s_cbranch_execz .LBB16_211
; %bb.210:
	s_waitcnt lgkmcnt(1)
	v_add_co_u32 v5, vcc_lo, v1, v7
	v_add_co_ci_u32_e32 v2, vcc_lo, 0, v2, vcc_lo
	s_delay_alu instid0(VALU_DEP_2) | instskip(SKIP_1) | instid1(VALU_DEP_2)
	v_add_co_u32 v1, vcc_lo, 0, v5
	s_waitcnt lgkmcnt(0)
	v_add_co_ci_u32_e32 v2, vcc_lo, v6, v2, vcc_lo
.LBB16_211:
	s_or_b32 exec_lo, exec_lo, s1
	v_cmp_gt_u32_e32 vcc_lo, 28, v3
	v_add_nc_u32_e32 v8, 4, v3
	s_mov_b32 s1, exec_lo
	s_waitcnt lgkmcnt(0)
	v_cndmask_b32_e64 v6, 0, 1, vcc_lo
	s_delay_alu instid0(VALU_DEP_1) | instskip(NEXT) | instid1(VALU_DEP_1)
	v_lshlrev_b32_e32 v6, 2, v6
	v_add_lshl_u32 v6, v6, v3, 2
	ds_bpermute_b32 v7, v6, v5
	ds_bpermute_b32 v6, v6, v2
	v_cmpx_lt_u32_e64 v8, v4
	s_cbranch_execz .LBB16_213
; %bb.212:
	s_waitcnt lgkmcnt(1)
	v_add_co_u32 v5, vcc_lo, v1, v7
	v_add_co_ci_u32_e32 v2, vcc_lo, 0, v2, vcc_lo
	s_delay_alu instid0(VALU_DEP_2) | instskip(SKIP_1) | instid1(VALU_DEP_2)
	v_add_co_u32 v1, vcc_lo, 0, v5
	s_waitcnt lgkmcnt(0)
	v_add_co_ci_u32_e32 v2, vcc_lo, v6, v2, vcc_lo
.LBB16_213:
	s_or_b32 exec_lo, exec_lo, s1
	v_cmp_gt_u32_e32 vcc_lo, 24, v3
	v_add_nc_u32_e32 v8, 8, v3
	s_mov_b32 s1, exec_lo
	s_waitcnt lgkmcnt(0)
	v_cndmask_b32_e64 v6, 0, 1, vcc_lo
	s_delay_alu instid0(VALU_DEP_1) | instskip(NEXT) | instid1(VALU_DEP_1)
	v_lshlrev_b32_e32 v6, 3, v6
	v_add_lshl_u32 v6, v6, v3, 2
	ds_bpermute_b32 v7, v6, v5
	ds_bpermute_b32 v6, v6, v2
	v_cmpx_lt_u32_e64 v8, v4
	s_cbranch_execz .LBB16_215
; %bb.214:
	s_waitcnt lgkmcnt(1)
	v_add_co_u32 v5, vcc_lo, v1, v7
	v_add_co_ci_u32_e32 v2, vcc_lo, 0, v2, vcc_lo
	s_delay_alu instid0(VALU_DEP_2) | instskip(SKIP_1) | instid1(VALU_DEP_2)
	v_add_co_u32 v1, vcc_lo, 0, v5
	s_waitcnt lgkmcnt(0)
	v_add_co_ci_u32_e32 v2, vcc_lo, v6, v2, vcc_lo
.LBB16_215:
	s_or_b32 exec_lo, exec_lo, s1
	v_cmp_gt_u32_e32 vcc_lo, 16, v3
	s_mov_b32 s1, exec_lo
	s_waitcnt lgkmcnt(0)
	v_cndmask_b32_e64 v6, 0, 1, vcc_lo
	s_delay_alu instid0(VALU_DEP_1) | instskip(NEXT) | instid1(VALU_DEP_1)
	v_lshlrev_b32_e32 v6, 4, v6
	v_add_lshl_u32 v7, v6, v3, 2
	ds_bpermute_b32 v6, v7, v5
	ds_bpermute_b32 v5, v7, v2
	v_add_nc_u32_e32 v7, 16, v3
	s_delay_alu instid0(VALU_DEP_1)
	v_cmpx_lt_u32_e64 v7, v4
	s_cbranch_execz .LBB16_217
; %bb.216:
	s_waitcnt lgkmcnt(1)
	v_add_co_u32 v1, vcc_lo, v1, v6
	v_add_co_ci_u32_e32 v2, vcc_lo, 0, v2, vcc_lo
	s_delay_alu instid0(VALU_DEP_2) | instskip(SKIP_1) | instid1(VALU_DEP_2)
	v_add_co_u32 v1, vcc_lo, v1, 0
	s_waitcnt lgkmcnt(0)
	v_add_co_ci_u32_e32 v2, vcc_lo, v2, v5, vcc_lo
.LBB16_217:
	s_or_b32 exec_lo, exec_lo, s1
	s_delay_alu instid0(SALU_CYCLE_1)
	s_mov_b32 s1, exec_lo
	v_cmpx_eq_u32_e32 0, v3
	s_cbranch_execz .LBB16_219
; %bb.218:
	v_lshrrev_b32_e32 v4, 2, v0
	s_delay_alu instid0(VALU_DEP_1)
	v_and_b32_e32 v4, 56, v4
	ds_store_b64 v4, v[1:2] offset:320
.LBB16_219:
	s_or_b32 exec_lo, exec_lo, s1
	s_delay_alu instid0(SALU_CYCLE_1)
	s_mov_b32 s1, exec_lo
	s_waitcnt lgkmcnt(0)
	s_barrier
	buffer_gl0_inv
	v_cmpx_gt_u32_e32 8, v0
	s_cbranch_execz .LBB16_227
; %bb.220:
	v_lshlrev_b32_e32 v1, 3, v3
	s_add_i32 s0, s0, 31
	s_delay_alu instid0(SALU_CYCLE_1) | instskip(SKIP_2) | instid1(VALU_DEP_1)
	s_lshr_b32 s0, s0, 5
	ds_load_b64 v[1:2], v1 offset:320
	v_and_b32_e32 v4, 7, v3
	v_cmp_ne_u32_e32 vcc_lo, 7, v4
	v_add_co_ci_u32_e32 v5, vcc_lo, 0, v3, vcc_lo
	s_delay_alu instid0(VALU_DEP_1) | instskip(SKIP_4) | instid1(VALU_DEP_1)
	v_lshlrev_b32_e32 v5, 2, v5
	s_waitcnt lgkmcnt(0)
	ds_bpermute_b32 v7, v5, v1
	ds_bpermute_b32 v6, v5, v2
	v_add_nc_u32_e32 v5, 1, v4
	v_cmp_gt_u32_e32 vcc_lo, s0, v5
	v_mov_b32_e32 v5, v1
	s_and_saveexec_b32 s2, vcc_lo
	s_cbranch_execz .LBB16_222
; %bb.221:
	s_waitcnt lgkmcnt(1)
	v_add_co_u32 v5, vcc_lo, v1, v7
	v_add_co_ci_u32_e32 v2, vcc_lo, 0, v2, vcc_lo
	s_delay_alu instid0(VALU_DEP_2) | instskip(SKIP_1) | instid1(VALU_DEP_2)
	v_add_co_u32 v1, vcc_lo, 0, v5
	s_waitcnt lgkmcnt(0)
	v_add_co_ci_u32_e32 v2, vcc_lo, v6, v2, vcc_lo
.LBB16_222:
	s_or_b32 exec_lo, exec_lo, s2
	v_cmp_gt_u32_e32 vcc_lo, 6, v4
	v_add_nc_u32_e32 v8, 2, v4
	s_mov_b32 s2, exec_lo
	s_waitcnt lgkmcnt(0)
	v_cndmask_b32_e64 v6, 0, 1, vcc_lo
	s_delay_alu instid0(VALU_DEP_1) | instskip(NEXT) | instid1(VALU_DEP_1)
	v_lshlrev_b32_e32 v6, 1, v6
	v_add_lshl_u32 v6, v6, v3, 2
	ds_bpermute_b32 v7, v6, v5
	ds_bpermute_b32 v6, v6, v2
	v_cmpx_gt_u32_e64 s0, v8
	s_cbranch_execz .LBB16_224
; %bb.223:
	s_waitcnt lgkmcnt(1)
	v_add_co_u32 v5, vcc_lo, v1, v7
	v_add_co_ci_u32_e32 v2, vcc_lo, 0, v2, vcc_lo
	s_delay_alu instid0(VALU_DEP_2) | instskip(SKIP_1) | instid1(VALU_DEP_2)
	v_add_co_u32 v1, vcc_lo, 0, v5
	s_waitcnt lgkmcnt(0)
	v_add_co_ci_u32_e32 v2, vcc_lo, v6, v2, vcc_lo
.LBB16_224:
	s_or_b32 exec_lo, exec_lo, s2
	v_cmp_gt_u32_e32 vcc_lo, 4, v4
	v_add_nc_u32_e32 v4, 4, v4
	s_waitcnt lgkmcnt(0)
	v_cndmask_b32_e64 v6, 0, 1, vcc_lo
	s_delay_alu instid0(VALU_DEP_2) | instskip(NEXT) | instid1(VALU_DEP_2)
	v_cmp_gt_u32_e32 vcc_lo, s0, v4
	v_lshlrev_b32_e32 v6, 2, v6
	s_delay_alu instid0(VALU_DEP_1)
	v_add_lshl_u32 v3, v6, v3, 2
	ds_bpermute_b32 v5, v3, v5
	ds_bpermute_b32 v3, v3, v2
	s_and_saveexec_b32 s0, vcc_lo
	s_cbranch_execz .LBB16_226
; %bb.225:
	s_waitcnt lgkmcnt(1)
	v_add_co_u32 v1, vcc_lo, v1, v5
	v_add_co_ci_u32_e32 v2, vcc_lo, 0, v2, vcc_lo
	s_delay_alu instid0(VALU_DEP_2) | instskip(SKIP_1) | instid1(VALU_DEP_2)
	v_add_co_u32 v1, vcc_lo, v1, 0
	s_waitcnt lgkmcnt(0)
	v_add_co_ci_u32_e32 v2, vcc_lo, v2, v3, vcc_lo
.LBB16_226:
	s_or_b32 exec_lo, exec_lo, s0
.LBB16_227:
	s_delay_alu instid0(SALU_CYCLE_1) | instskip(SKIP_1) | instid1(VALU_DEP_1)
	s_or_b32 exec_lo, exec_lo, s1
	v_cmp_eq_u32_e64 s0, 0, v0
	s_and_saveexec_b32 s1, s0
	s_cbranch_execnz .LBB16_202
	s_branch .LBB16_203
	.section	.rodata,"a",@progbits
	.p2align	6, 0x0
	.amdhsa_kernel _ZN7rocprim17ROCPRIM_400000_NS6detail17trampoline_kernelINS0_14default_configENS1_22reduce_config_selectorIlEEZNS1_11reduce_implILb1ES3_PlS7_lN6hipcub16HIPCUB_304000_NS6detail34convert_binary_result_type_wrapperINS9_3SumENS9_22TransformInputIteratorIb7NonZeroIaEPalEElEEEE10hipError_tPvRmT1_T2_T3_mT4_P12ihipStream_tbEUlT_E1_NS1_11comp_targetILNS1_3genE9ELNS1_11target_archE1100ELNS1_3gpuE3ELNS1_3repE0EEENS1_30default_config_static_selectorELNS0_4arch9wavefront6targetE0EEEvSM_
		.amdhsa_group_segment_fixed_size 384
		.amdhsa_private_segment_fixed_size 0
		.amdhsa_kernarg_size 48
		.amdhsa_user_sgpr_count 15
		.amdhsa_user_sgpr_dispatch_ptr 0
		.amdhsa_user_sgpr_queue_ptr 0
		.amdhsa_user_sgpr_kernarg_segment_ptr 1
		.amdhsa_user_sgpr_dispatch_id 0
		.amdhsa_user_sgpr_private_segment_size 0
		.amdhsa_wavefront_size32 1
		.amdhsa_uses_dynamic_stack 0
		.amdhsa_enable_private_segment 0
		.amdhsa_system_sgpr_workgroup_id_x 1
		.amdhsa_system_sgpr_workgroup_id_y 0
		.amdhsa_system_sgpr_workgroup_id_z 0
		.amdhsa_system_sgpr_workgroup_info 0
		.amdhsa_system_vgpr_workitem_id 0
		.amdhsa_next_free_vgpr 34
		.amdhsa_next_free_sgpr 30
		.amdhsa_reserve_vcc 1
		.amdhsa_float_round_mode_32 0
		.amdhsa_float_round_mode_16_64 0
		.amdhsa_float_denorm_mode_32 3
		.amdhsa_float_denorm_mode_16_64 3
		.amdhsa_dx10_clamp 1
		.amdhsa_ieee_mode 1
		.amdhsa_fp16_overflow 0
		.amdhsa_workgroup_processor_mode 1
		.amdhsa_memory_ordered 1
		.amdhsa_forward_progress 0
		.amdhsa_shared_vgpr_count 0
		.amdhsa_exception_fp_ieee_invalid_op 0
		.amdhsa_exception_fp_denorm_src 0
		.amdhsa_exception_fp_ieee_div_zero 0
		.amdhsa_exception_fp_ieee_overflow 0
		.amdhsa_exception_fp_ieee_underflow 0
		.amdhsa_exception_fp_ieee_inexact 0
		.amdhsa_exception_int_div_zero 0
	.end_amdhsa_kernel
	.section	.text._ZN7rocprim17ROCPRIM_400000_NS6detail17trampoline_kernelINS0_14default_configENS1_22reduce_config_selectorIlEEZNS1_11reduce_implILb1ES3_PlS7_lN6hipcub16HIPCUB_304000_NS6detail34convert_binary_result_type_wrapperINS9_3SumENS9_22TransformInputIteratorIb7NonZeroIaEPalEElEEEE10hipError_tPvRmT1_T2_T3_mT4_P12ihipStream_tbEUlT_E1_NS1_11comp_targetILNS1_3genE9ELNS1_11target_archE1100ELNS1_3gpuE3ELNS1_3repE0EEENS1_30default_config_static_selectorELNS0_4arch9wavefront6targetE0EEEvSM_,"axG",@progbits,_ZN7rocprim17ROCPRIM_400000_NS6detail17trampoline_kernelINS0_14default_configENS1_22reduce_config_selectorIlEEZNS1_11reduce_implILb1ES3_PlS7_lN6hipcub16HIPCUB_304000_NS6detail34convert_binary_result_type_wrapperINS9_3SumENS9_22TransformInputIteratorIb7NonZeroIaEPalEElEEEE10hipError_tPvRmT1_T2_T3_mT4_P12ihipStream_tbEUlT_E1_NS1_11comp_targetILNS1_3genE9ELNS1_11target_archE1100ELNS1_3gpuE3ELNS1_3repE0EEENS1_30default_config_static_selectorELNS0_4arch9wavefront6targetE0EEEvSM_,comdat
.Lfunc_end16:
	.size	_ZN7rocprim17ROCPRIM_400000_NS6detail17trampoline_kernelINS0_14default_configENS1_22reduce_config_selectorIlEEZNS1_11reduce_implILb1ES3_PlS7_lN6hipcub16HIPCUB_304000_NS6detail34convert_binary_result_type_wrapperINS9_3SumENS9_22TransformInputIteratorIb7NonZeroIaEPalEElEEEE10hipError_tPvRmT1_T2_T3_mT4_P12ihipStream_tbEUlT_E1_NS1_11comp_targetILNS1_3genE9ELNS1_11target_archE1100ELNS1_3gpuE3ELNS1_3repE0EEENS1_30default_config_static_selectorELNS0_4arch9wavefront6targetE0EEEvSM_, .Lfunc_end16-_ZN7rocprim17ROCPRIM_400000_NS6detail17trampoline_kernelINS0_14default_configENS1_22reduce_config_selectorIlEEZNS1_11reduce_implILb1ES3_PlS7_lN6hipcub16HIPCUB_304000_NS6detail34convert_binary_result_type_wrapperINS9_3SumENS9_22TransformInputIteratorIb7NonZeroIaEPalEElEEEE10hipError_tPvRmT1_T2_T3_mT4_P12ihipStream_tbEUlT_E1_NS1_11comp_targetILNS1_3genE9ELNS1_11target_archE1100ELNS1_3gpuE3ELNS1_3repE0EEENS1_30default_config_static_selectorELNS0_4arch9wavefront6targetE0EEEvSM_
                                        ; -- End function
	.section	.AMDGPU.csdata,"",@progbits
; Kernel info:
; codeLenInByte = 11700
; NumSgprs: 32
; NumVgprs: 34
; ScratchSize: 0
; MemoryBound: 0
; FloatMode: 240
; IeeeMode: 1
; LDSByteSize: 384 bytes/workgroup (compile time only)
; SGPRBlocks: 3
; VGPRBlocks: 4
; NumSGPRsForWavesPerEU: 32
; NumVGPRsForWavesPerEU: 34
; Occupancy: 16
; WaveLimiterHint : 1
; COMPUTE_PGM_RSRC2:SCRATCH_EN: 0
; COMPUTE_PGM_RSRC2:USER_SGPR: 15
; COMPUTE_PGM_RSRC2:TRAP_HANDLER: 0
; COMPUTE_PGM_RSRC2:TGID_X_EN: 1
; COMPUTE_PGM_RSRC2:TGID_Y_EN: 0
; COMPUTE_PGM_RSRC2:TGID_Z_EN: 0
; COMPUTE_PGM_RSRC2:TIDIG_COMP_CNT: 0
	.section	.text._ZN7rocprim17ROCPRIM_400000_NS6detail17trampoline_kernelINS0_14default_configENS1_22reduce_config_selectorIlEEZNS1_11reduce_implILb1ES3_PlS7_lN6hipcub16HIPCUB_304000_NS6detail34convert_binary_result_type_wrapperINS9_3SumENS9_22TransformInputIteratorIb7NonZeroIaEPalEElEEEE10hipError_tPvRmT1_T2_T3_mT4_P12ihipStream_tbEUlT_E1_NS1_11comp_targetILNS1_3genE8ELNS1_11target_archE1030ELNS1_3gpuE2ELNS1_3repE0EEENS1_30default_config_static_selectorELNS0_4arch9wavefront6targetE0EEEvSM_,"axG",@progbits,_ZN7rocprim17ROCPRIM_400000_NS6detail17trampoline_kernelINS0_14default_configENS1_22reduce_config_selectorIlEEZNS1_11reduce_implILb1ES3_PlS7_lN6hipcub16HIPCUB_304000_NS6detail34convert_binary_result_type_wrapperINS9_3SumENS9_22TransformInputIteratorIb7NonZeroIaEPalEElEEEE10hipError_tPvRmT1_T2_T3_mT4_P12ihipStream_tbEUlT_E1_NS1_11comp_targetILNS1_3genE8ELNS1_11target_archE1030ELNS1_3gpuE2ELNS1_3repE0EEENS1_30default_config_static_selectorELNS0_4arch9wavefront6targetE0EEEvSM_,comdat
	.protected	_ZN7rocprim17ROCPRIM_400000_NS6detail17trampoline_kernelINS0_14default_configENS1_22reduce_config_selectorIlEEZNS1_11reduce_implILb1ES3_PlS7_lN6hipcub16HIPCUB_304000_NS6detail34convert_binary_result_type_wrapperINS9_3SumENS9_22TransformInputIteratorIb7NonZeroIaEPalEElEEEE10hipError_tPvRmT1_T2_T3_mT4_P12ihipStream_tbEUlT_E1_NS1_11comp_targetILNS1_3genE8ELNS1_11target_archE1030ELNS1_3gpuE2ELNS1_3repE0EEENS1_30default_config_static_selectorELNS0_4arch9wavefront6targetE0EEEvSM_ ; -- Begin function _ZN7rocprim17ROCPRIM_400000_NS6detail17trampoline_kernelINS0_14default_configENS1_22reduce_config_selectorIlEEZNS1_11reduce_implILb1ES3_PlS7_lN6hipcub16HIPCUB_304000_NS6detail34convert_binary_result_type_wrapperINS9_3SumENS9_22TransformInputIteratorIb7NonZeroIaEPalEElEEEE10hipError_tPvRmT1_T2_T3_mT4_P12ihipStream_tbEUlT_E1_NS1_11comp_targetILNS1_3genE8ELNS1_11target_archE1030ELNS1_3gpuE2ELNS1_3repE0EEENS1_30default_config_static_selectorELNS0_4arch9wavefront6targetE0EEEvSM_
	.globl	_ZN7rocprim17ROCPRIM_400000_NS6detail17trampoline_kernelINS0_14default_configENS1_22reduce_config_selectorIlEEZNS1_11reduce_implILb1ES3_PlS7_lN6hipcub16HIPCUB_304000_NS6detail34convert_binary_result_type_wrapperINS9_3SumENS9_22TransformInputIteratorIb7NonZeroIaEPalEElEEEE10hipError_tPvRmT1_T2_T3_mT4_P12ihipStream_tbEUlT_E1_NS1_11comp_targetILNS1_3genE8ELNS1_11target_archE1030ELNS1_3gpuE2ELNS1_3repE0EEENS1_30default_config_static_selectorELNS0_4arch9wavefront6targetE0EEEvSM_
	.p2align	8
	.type	_ZN7rocprim17ROCPRIM_400000_NS6detail17trampoline_kernelINS0_14default_configENS1_22reduce_config_selectorIlEEZNS1_11reduce_implILb1ES3_PlS7_lN6hipcub16HIPCUB_304000_NS6detail34convert_binary_result_type_wrapperINS9_3SumENS9_22TransformInputIteratorIb7NonZeroIaEPalEElEEEE10hipError_tPvRmT1_T2_T3_mT4_P12ihipStream_tbEUlT_E1_NS1_11comp_targetILNS1_3genE8ELNS1_11target_archE1030ELNS1_3gpuE2ELNS1_3repE0EEENS1_30default_config_static_selectorELNS0_4arch9wavefront6targetE0EEEvSM_,@function
_ZN7rocprim17ROCPRIM_400000_NS6detail17trampoline_kernelINS0_14default_configENS1_22reduce_config_selectorIlEEZNS1_11reduce_implILb1ES3_PlS7_lN6hipcub16HIPCUB_304000_NS6detail34convert_binary_result_type_wrapperINS9_3SumENS9_22TransformInputIteratorIb7NonZeroIaEPalEElEEEE10hipError_tPvRmT1_T2_T3_mT4_P12ihipStream_tbEUlT_E1_NS1_11comp_targetILNS1_3genE8ELNS1_11target_archE1030ELNS1_3gpuE2ELNS1_3repE0EEENS1_30default_config_static_selectorELNS0_4arch9wavefront6targetE0EEEvSM_: ; @_ZN7rocprim17ROCPRIM_400000_NS6detail17trampoline_kernelINS0_14default_configENS1_22reduce_config_selectorIlEEZNS1_11reduce_implILb1ES3_PlS7_lN6hipcub16HIPCUB_304000_NS6detail34convert_binary_result_type_wrapperINS9_3SumENS9_22TransformInputIteratorIb7NonZeroIaEPalEElEEEE10hipError_tPvRmT1_T2_T3_mT4_P12ihipStream_tbEUlT_E1_NS1_11comp_targetILNS1_3genE8ELNS1_11target_archE1030ELNS1_3gpuE2ELNS1_3repE0EEENS1_30default_config_static_selectorELNS0_4arch9wavefront6targetE0EEEvSM_
; %bb.0:
	.section	.rodata,"a",@progbits
	.p2align	6, 0x0
	.amdhsa_kernel _ZN7rocprim17ROCPRIM_400000_NS6detail17trampoline_kernelINS0_14default_configENS1_22reduce_config_selectorIlEEZNS1_11reduce_implILb1ES3_PlS7_lN6hipcub16HIPCUB_304000_NS6detail34convert_binary_result_type_wrapperINS9_3SumENS9_22TransformInputIteratorIb7NonZeroIaEPalEElEEEE10hipError_tPvRmT1_T2_T3_mT4_P12ihipStream_tbEUlT_E1_NS1_11comp_targetILNS1_3genE8ELNS1_11target_archE1030ELNS1_3gpuE2ELNS1_3repE0EEENS1_30default_config_static_selectorELNS0_4arch9wavefront6targetE0EEEvSM_
		.amdhsa_group_segment_fixed_size 0
		.amdhsa_private_segment_fixed_size 0
		.amdhsa_kernarg_size 48
		.amdhsa_user_sgpr_count 15
		.amdhsa_user_sgpr_dispatch_ptr 0
		.amdhsa_user_sgpr_queue_ptr 0
		.amdhsa_user_sgpr_kernarg_segment_ptr 1
		.amdhsa_user_sgpr_dispatch_id 0
		.amdhsa_user_sgpr_private_segment_size 0
		.amdhsa_wavefront_size32 1
		.amdhsa_uses_dynamic_stack 0
		.amdhsa_enable_private_segment 0
		.amdhsa_system_sgpr_workgroup_id_x 1
		.amdhsa_system_sgpr_workgroup_id_y 0
		.amdhsa_system_sgpr_workgroup_id_z 0
		.amdhsa_system_sgpr_workgroup_info 0
		.amdhsa_system_vgpr_workitem_id 0
		.amdhsa_next_free_vgpr 1
		.amdhsa_next_free_sgpr 1
		.amdhsa_reserve_vcc 0
		.amdhsa_float_round_mode_32 0
		.amdhsa_float_round_mode_16_64 0
		.amdhsa_float_denorm_mode_32 3
		.amdhsa_float_denorm_mode_16_64 3
		.amdhsa_dx10_clamp 1
		.amdhsa_ieee_mode 1
		.amdhsa_fp16_overflow 0
		.amdhsa_workgroup_processor_mode 1
		.amdhsa_memory_ordered 1
		.amdhsa_forward_progress 0
		.amdhsa_shared_vgpr_count 0
		.amdhsa_exception_fp_ieee_invalid_op 0
		.amdhsa_exception_fp_denorm_src 0
		.amdhsa_exception_fp_ieee_div_zero 0
		.amdhsa_exception_fp_ieee_overflow 0
		.amdhsa_exception_fp_ieee_underflow 0
		.amdhsa_exception_fp_ieee_inexact 0
		.amdhsa_exception_int_div_zero 0
	.end_amdhsa_kernel
	.section	.text._ZN7rocprim17ROCPRIM_400000_NS6detail17trampoline_kernelINS0_14default_configENS1_22reduce_config_selectorIlEEZNS1_11reduce_implILb1ES3_PlS7_lN6hipcub16HIPCUB_304000_NS6detail34convert_binary_result_type_wrapperINS9_3SumENS9_22TransformInputIteratorIb7NonZeroIaEPalEElEEEE10hipError_tPvRmT1_T2_T3_mT4_P12ihipStream_tbEUlT_E1_NS1_11comp_targetILNS1_3genE8ELNS1_11target_archE1030ELNS1_3gpuE2ELNS1_3repE0EEENS1_30default_config_static_selectorELNS0_4arch9wavefront6targetE0EEEvSM_,"axG",@progbits,_ZN7rocprim17ROCPRIM_400000_NS6detail17trampoline_kernelINS0_14default_configENS1_22reduce_config_selectorIlEEZNS1_11reduce_implILb1ES3_PlS7_lN6hipcub16HIPCUB_304000_NS6detail34convert_binary_result_type_wrapperINS9_3SumENS9_22TransformInputIteratorIb7NonZeroIaEPalEElEEEE10hipError_tPvRmT1_T2_T3_mT4_P12ihipStream_tbEUlT_E1_NS1_11comp_targetILNS1_3genE8ELNS1_11target_archE1030ELNS1_3gpuE2ELNS1_3repE0EEENS1_30default_config_static_selectorELNS0_4arch9wavefront6targetE0EEEvSM_,comdat
.Lfunc_end17:
	.size	_ZN7rocprim17ROCPRIM_400000_NS6detail17trampoline_kernelINS0_14default_configENS1_22reduce_config_selectorIlEEZNS1_11reduce_implILb1ES3_PlS7_lN6hipcub16HIPCUB_304000_NS6detail34convert_binary_result_type_wrapperINS9_3SumENS9_22TransformInputIteratorIb7NonZeroIaEPalEElEEEE10hipError_tPvRmT1_T2_T3_mT4_P12ihipStream_tbEUlT_E1_NS1_11comp_targetILNS1_3genE8ELNS1_11target_archE1030ELNS1_3gpuE2ELNS1_3repE0EEENS1_30default_config_static_selectorELNS0_4arch9wavefront6targetE0EEEvSM_, .Lfunc_end17-_ZN7rocprim17ROCPRIM_400000_NS6detail17trampoline_kernelINS0_14default_configENS1_22reduce_config_selectorIlEEZNS1_11reduce_implILb1ES3_PlS7_lN6hipcub16HIPCUB_304000_NS6detail34convert_binary_result_type_wrapperINS9_3SumENS9_22TransformInputIteratorIb7NonZeroIaEPalEElEEEE10hipError_tPvRmT1_T2_T3_mT4_P12ihipStream_tbEUlT_E1_NS1_11comp_targetILNS1_3genE8ELNS1_11target_archE1030ELNS1_3gpuE2ELNS1_3repE0EEENS1_30default_config_static_selectorELNS0_4arch9wavefront6targetE0EEEvSM_
                                        ; -- End function
	.section	.AMDGPU.csdata,"",@progbits
; Kernel info:
; codeLenInByte = 0
; NumSgprs: 0
; NumVgprs: 0
; ScratchSize: 0
; MemoryBound: 0
; FloatMode: 240
; IeeeMode: 1
; LDSByteSize: 0 bytes/workgroup (compile time only)
; SGPRBlocks: 0
; VGPRBlocks: 0
; NumSGPRsForWavesPerEU: 1
; NumVGPRsForWavesPerEU: 1
; Occupancy: 16
; WaveLimiterHint : 0
; COMPUTE_PGM_RSRC2:SCRATCH_EN: 0
; COMPUTE_PGM_RSRC2:USER_SGPR: 15
; COMPUTE_PGM_RSRC2:TRAP_HANDLER: 0
; COMPUTE_PGM_RSRC2:TGID_X_EN: 1
; COMPUTE_PGM_RSRC2:TGID_Y_EN: 0
; COMPUTE_PGM_RSRC2:TGID_Z_EN: 0
; COMPUTE_PGM_RSRC2:TIDIG_COMP_CNT: 0
	.section	.text._ZN7rocprim17ROCPRIM_400000_NS6detail17trampoline_kernelINS0_14default_configENS1_22reduce_config_selectorIbEEZNS1_11reduce_implILb1ES3_N6hipcub16HIPCUB_304000_NS22TransformInputIteratorIb7NonZeroIaEPalEEPllNS8_6detail34convert_binary_result_type_wrapperINS8_3SumESD_lEEEE10hipError_tPvRmT1_T2_T3_mT4_P12ihipStream_tbEUlT_E0_NS1_11comp_targetILNS1_3genE0ELNS1_11target_archE4294967295ELNS1_3gpuE0ELNS1_3repE0EEENS1_30default_config_static_selectorELNS0_4arch9wavefront6targetE0EEEvSM_,"axG",@progbits,_ZN7rocprim17ROCPRIM_400000_NS6detail17trampoline_kernelINS0_14default_configENS1_22reduce_config_selectorIbEEZNS1_11reduce_implILb1ES3_N6hipcub16HIPCUB_304000_NS22TransformInputIteratorIb7NonZeroIaEPalEEPllNS8_6detail34convert_binary_result_type_wrapperINS8_3SumESD_lEEEE10hipError_tPvRmT1_T2_T3_mT4_P12ihipStream_tbEUlT_E0_NS1_11comp_targetILNS1_3genE0ELNS1_11target_archE4294967295ELNS1_3gpuE0ELNS1_3repE0EEENS1_30default_config_static_selectorELNS0_4arch9wavefront6targetE0EEEvSM_,comdat
	.protected	_ZN7rocprim17ROCPRIM_400000_NS6detail17trampoline_kernelINS0_14default_configENS1_22reduce_config_selectorIbEEZNS1_11reduce_implILb1ES3_N6hipcub16HIPCUB_304000_NS22TransformInputIteratorIb7NonZeroIaEPalEEPllNS8_6detail34convert_binary_result_type_wrapperINS8_3SumESD_lEEEE10hipError_tPvRmT1_T2_T3_mT4_P12ihipStream_tbEUlT_E0_NS1_11comp_targetILNS1_3genE0ELNS1_11target_archE4294967295ELNS1_3gpuE0ELNS1_3repE0EEENS1_30default_config_static_selectorELNS0_4arch9wavefront6targetE0EEEvSM_ ; -- Begin function _ZN7rocprim17ROCPRIM_400000_NS6detail17trampoline_kernelINS0_14default_configENS1_22reduce_config_selectorIbEEZNS1_11reduce_implILb1ES3_N6hipcub16HIPCUB_304000_NS22TransformInputIteratorIb7NonZeroIaEPalEEPllNS8_6detail34convert_binary_result_type_wrapperINS8_3SumESD_lEEEE10hipError_tPvRmT1_T2_T3_mT4_P12ihipStream_tbEUlT_E0_NS1_11comp_targetILNS1_3genE0ELNS1_11target_archE4294967295ELNS1_3gpuE0ELNS1_3repE0EEENS1_30default_config_static_selectorELNS0_4arch9wavefront6targetE0EEEvSM_
	.globl	_ZN7rocprim17ROCPRIM_400000_NS6detail17trampoline_kernelINS0_14default_configENS1_22reduce_config_selectorIbEEZNS1_11reduce_implILb1ES3_N6hipcub16HIPCUB_304000_NS22TransformInputIteratorIb7NonZeroIaEPalEEPllNS8_6detail34convert_binary_result_type_wrapperINS8_3SumESD_lEEEE10hipError_tPvRmT1_T2_T3_mT4_P12ihipStream_tbEUlT_E0_NS1_11comp_targetILNS1_3genE0ELNS1_11target_archE4294967295ELNS1_3gpuE0ELNS1_3repE0EEENS1_30default_config_static_selectorELNS0_4arch9wavefront6targetE0EEEvSM_
	.p2align	8
	.type	_ZN7rocprim17ROCPRIM_400000_NS6detail17trampoline_kernelINS0_14default_configENS1_22reduce_config_selectorIbEEZNS1_11reduce_implILb1ES3_N6hipcub16HIPCUB_304000_NS22TransformInputIteratorIb7NonZeroIaEPalEEPllNS8_6detail34convert_binary_result_type_wrapperINS8_3SumESD_lEEEE10hipError_tPvRmT1_T2_T3_mT4_P12ihipStream_tbEUlT_E0_NS1_11comp_targetILNS1_3genE0ELNS1_11target_archE4294967295ELNS1_3gpuE0ELNS1_3repE0EEENS1_30default_config_static_selectorELNS0_4arch9wavefront6targetE0EEEvSM_,@function
_ZN7rocprim17ROCPRIM_400000_NS6detail17trampoline_kernelINS0_14default_configENS1_22reduce_config_selectorIbEEZNS1_11reduce_implILb1ES3_N6hipcub16HIPCUB_304000_NS22TransformInputIteratorIb7NonZeroIaEPalEEPllNS8_6detail34convert_binary_result_type_wrapperINS8_3SumESD_lEEEE10hipError_tPvRmT1_T2_T3_mT4_P12ihipStream_tbEUlT_E0_NS1_11comp_targetILNS1_3genE0ELNS1_11target_archE4294967295ELNS1_3gpuE0ELNS1_3repE0EEENS1_30default_config_static_selectorELNS0_4arch9wavefront6targetE0EEEvSM_: ; @_ZN7rocprim17ROCPRIM_400000_NS6detail17trampoline_kernelINS0_14default_configENS1_22reduce_config_selectorIbEEZNS1_11reduce_implILb1ES3_N6hipcub16HIPCUB_304000_NS22TransformInputIteratorIb7NonZeroIaEPalEEPllNS8_6detail34convert_binary_result_type_wrapperINS8_3SumESD_lEEEE10hipError_tPvRmT1_T2_T3_mT4_P12ihipStream_tbEUlT_E0_NS1_11comp_targetILNS1_3genE0ELNS1_11target_archE4294967295ELNS1_3gpuE0ELNS1_3repE0EEENS1_30default_config_static_selectorELNS0_4arch9wavefront6targetE0EEEvSM_
; %bb.0:
	.section	.rodata,"a",@progbits
	.p2align	6, 0x0
	.amdhsa_kernel _ZN7rocprim17ROCPRIM_400000_NS6detail17trampoline_kernelINS0_14default_configENS1_22reduce_config_selectorIbEEZNS1_11reduce_implILb1ES3_N6hipcub16HIPCUB_304000_NS22TransformInputIteratorIb7NonZeroIaEPalEEPllNS8_6detail34convert_binary_result_type_wrapperINS8_3SumESD_lEEEE10hipError_tPvRmT1_T2_T3_mT4_P12ihipStream_tbEUlT_E0_NS1_11comp_targetILNS1_3genE0ELNS1_11target_archE4294967295ELNS1_3gpuE0ELNS1_3repE0EEENS1_30default_config_static_selectorELNS0_4arch9wavefront6targetE0EEEvSM_
		.amdhsa_group_segment_fixed_size 0
		.amdhsa_private_segment_fixed_size 0
		.amdhsa_kernarg_size 72
		.amdhsa_user_sgpr_count 15
		.amdhsa_user_sgpr_dispatch_ptr 0
		.amdhsa_user_sgpr_queue_ptr 0
		.amdhsa_user_sgpr_kernarg_segment_ptr 1
		.amdhsa_user_sgpr_dispatch_id 0
		.amdhsa_user_sgpr_private_segment_size 0
		.amdhsa_wavefront_size32 1
		.amdhsa_uses_dynamic_stack 0
		.amdhsa_enable_private_segment 0
		.amdhsa_system_sgpr_workgroup_id_x 1
		.amdhsa_system_sgpr_workgroup_id_y 0
		.amdhsa_system_sgpr_workgroup_id_z 0
		.amdhsa_system_sgpr_workgroup_info 0
		.amdhsa_system_vgpr_workitem_id 0
		.amdhsa_next_free_vgpr 1
		.amdhsa_next_free_sgpr 1
		.amdhsa_reserve_vcc 0
		.amdhsa_float_round_mode_32 0
		.amdhsa_float_round_mode_16_64 0
		.amdhsa_float_denorm_mode_32 3
		.amdhsa_float_denorm_mode_16_64 3
		.amdhsa_dx10_clamp 1
		.amdhsa_ieee_mode 1
		.amdhsa_fp16_overflow 0
		.amdhsa_workgroup_processor_mode 1
		.amdhsa_memory_ordered 1
		.amdhsa_forward_progress 0
		.amdhsa_shared_vgpr_count 0
		.amdhsa_exception_fp_ieee_invalid_op 0
		.amdhsa_exception_fp_denorm_src 0
		.amdhsa_exception_fp_ieee_div_zero 0
		.amdhsa_exception_fp_ieee_overflow 0
		.amdhsa_exception_fp_ieee_underflow 0
		.amdhsa_exception_fp_ieee_inexact 0
		.amdhsa_exception_int_div_zero 0
	.end_amdhsa_kernel
	.section	.text._ZN7rocprim17ROCPRIM_400000_NS6detail17trampoline_kernelINS0_14default_configENS1_22reduce_config_selectorIbEEZNS1_11reduce_implILb1ES3_N6hipcub16HIPCUB_304000_NS22TransformInputIteratorIb7NonZeroIaEPalEEPllNS8_6detail34convert_binary_result_type_wrapperINS8_3SumESD_lEEEE10hipError_tPvRmT1_T2_T3_mT4_P12ihipStream_tbEUlT_E0_NS1_11comp_targetILNS1_3genE0ELNS1_11target_archE4294967295ELNS1_3gpuE0ELNS1_3repE0EEENS1_30default_config_static_selectorELNS0_4arch9wavefront6targetE0EEEvSM_,"axG",@progbits,_ZN7rocprim17ROCPRIM_400000_NS6detail17trampoline_kernelINS0_14default_configENS1_22reduce_config_selectorIbEEZNS1_11reduce_implILb1ES3_N6hipcub16HIPCUB_304000_NS22TransformInputIteratorIb7NonZeroIaEPalEEPllNS8_6detail34convert_binary_result_type_wrapperINS8_3SumESD_lEEEE10hipError_tPvRmT1_T2_T3_mT4_P12ihipStream_tbEUlT_E0_NS1_11comp_targetILNS1_3genE0ELNS1_11target_archE4294967295ELNS1_3gpuE0ELNS1_3repE0EEENS1_30default_config_static_selectorELNS0_4arch9wavefront6targetE0EEEvSM_,comdat
.Lfunc_end18:
	.size	_ZN7rocprim17ROCPRIM_400000_NS6detail17trampoline_kernelINS0_14default_configENS1_22reduce_config_selectorIbEEZNS1_11reduce_implILb1ES3_N6hipcub16HIPCUB_304000_NS22TransformInputIteratorIb7NonZeroIaEPalEEPllNS8_6detail34convert_binary_result_type_wrapperINS8_3SumESD_lEEEE10hipError_tPvRmT1_T2_T3_mT4_P12ihipStream_tbEUlT_E0_NS1_11comp_targetILNS1_3genE0ELNS1_11target_archE4294967295ELNS1_3gpuE0ELNS1_3repE0EEENS1_30default_config_static_selectorELNS0_4arch9wavefront6targetE0EEEvSM_, .Lfunc_end18-_ZN7rocprim17ROCPRIM_400000_NS6detail17trampoline_kernelINS0_14default_configENS1_22reduce_config_selectorIbEEZNS1_11reduce_implILb1ES3_N6hipcub16HIPCUB_304000_NS22TransformInputIteratorIb7NonZeroIaEPalEEPllNS8_6detail34convert_binary_result_type_wrapperINS8_3SumESD_lEEEE10hipError_tPvRmT1_T2_T3_mT4_P12ihipStream_tbEUlT_E0_NS1_11comp_targetILNS1_3genE0ELNS1_11target_archE4294967295ELNS1_3gpuE0ELNS1_3repE0EEENS1_30default_config_static_selectorELNS0_4arch9wavefront6targetE0EEEvSM_
                                        ; -- End function
	.section	.AMDGPU.csdata,"",@progbits
; Kernel info:
; codeLenInByte = 0
; NumSgprs: 0
; NumVgprs: 0
; ScratchSize: 0
; MemoryBound: 0
; FloatMode: 240
; IeeeMode: 1
; LDSByteSize: 0 bytes/workgroup (compile time only)
; SGPRBlocks: 0
; VGPRBlocks: 0
; NumSGPRsForWavesPerEU: 1
; NumVGPRsForWavesPerEU: 1
; Occupancy: 16
; WaveLimiterHint : 0
; COMPUTE_PGM_RSRC2:SCRATCH_EN: 0
; COMPUTE_PGM_RSRC2:USER_SGPR: 15
; COMPUTE_PGM_RSRC2:TRAP_HANDLER: 0
; COMPUTE_PGM_RSRC2:TGID_X_EN: 1
; COMPUTE_PGM_RSRC2:TGID_Y_EN: 0
; COMPUTE_PGM_RSRC2:TGID_Z_EN: 0
; COMPUTE_PGM_RSRC2:TIDIG_COMP_CNT: 0
	.section	.text._ZN7rocprim17ROCPRIM_400000_NS6detail17trampoline_kernelINS0_14default_configENS1_22reduce_config_selectorIbEEZNS1_11reduce_implILb1ES3_N6hipcub16HIPCUB_304000_NS22TransformInputIteratorIb7NonZeroIaEPalEEPllNS8_6detail34convert_binary_result_type_wrapperINS8_3SumESD_lEEEE10hipError_tPvRmT1_T2_T3_mT4_P12ihipStream_tbEUlT_E0_NS1_11comp_targetILNS1_3genE5ELNS1_11target_archE942ELNS1_3gpuE9ELNS1_3repE0EEENS1_30default_config_static_selectorELNS0_4arch9wavefront6targetE0EEEvSM_,"axG",@progbits,_ZN7rocprim17ROCPRIM_400000_NS6detail17trampoline_kernelINS0_14default_configENS1_22reduce_config_selectorIbEEZNS1_11reduce_implILb1ES3_N6hipcub16HIPCUB_304000_NS22TransformInputIteratorIb7NonZeroIaEPalEEPllNS8_6detail34convert_binary_result_type_wrapperINS8_3SumESD_lEEEE10hipError_tPvRmT1_T2_T3_mT4_P12ihipStream_tbEUlT_E0_NS1_11comp_targetILNS1_3genE5ELNS1_11target_archE942ELNS1_3gpuE9ELNS1_3repE0EEENS1_30default_config_static_selectorELNS0_4arch9wavefront6targetE0EEEvSM_,comdat
	.protected	_ZN7rocprim17ROCPRIM_400000_NS6detail17trampoline_kernelINS0_14default_configENS1_22reduce_config_selectorIbEEZNS1_11reduce_implILb1ES3_N6hipcub16HIPCUB_304000_NS22TransformInputIteratorIb7NonZeroIaEPalEEPllNS8_6detail34convert_binary_result_type_wrapperINS8_3SumESD_lEEEE10hipError_tPvRmT1_T2_T3_mT4_P12ihipStream_tbEUlT_E0_NS1_11comp_targetILNS1_3genE5ELNS1_11target_archE942ELNS1_3gpuE9ELNS1_3repE0EEENS1_30default_config_static_selectorELNS0_4arch9wavefront6targetE0EEEvSM_ ; -- Begin function _ZN7rocprim17ROCPRIM_400000_NS6detail17trampoline_kernelINS0_14default_configENS1_22reduce_config_selectorIbEEZNS1_11reduce_implILb1ES3_N6hipcub16HIPCUB_304000_NS22TransformInputIteratorIb7NonZeroIaEPalEEPllNS8_6detail34convert_binary_result_type_wrapperINS8_3SumESD_lEEEE10hipError_tPvRmT1_T2_T3_mT4_P12ihipStream_tbEUlT_E0_NS1_11comp_targetILNS1_3genE5ELNS1_11target_archE942ELNS1_3gpuE9ELNS1_3repE0EEENS1_30default_config_static_selectorELNS0_4arch9wavefront6targetE0EEEvSM_
	.globl	_ZN7rocprim17ROCPRIM_400000_NS6detail17trampoline_kernelINS0_14default_configENS1_22reduce_config_selectorIbEEZNS1_11reduce_implILb1ES3_N6hipcub16HIPCUB_304000_NS22TransformInputIteratorIb7NonZeroIaEPalEEPllNS8_6detail34convert_binary_result_type_wrapperINS8_3SumESD_lEEEE10hipError_tPvRmT1_T2_T3_mT4_P12ihipStream_tbEUlT_E0_NS1_11comp_targetILNS1_3genE5ELNS1_11target_archE942ELNS1_3gpuE9ELNS1_3repE0EEENS1_30default_config_static_selectorELNS0_4arch9wavefront6targetE0EEEvSM_
	.p2align	8
	.type	_ZN7rocprim17ROCPRIM_400000_NS6detail17trampoline_kernelINS0_14default_configENS1_22reduce_config_selectorIbEEZNS1_11reduce_implILb1ES3_N6hipcub16HIPCUB_304000_NS22TransformInputIteratorIb7NonZeroIaEPalEEPllNS8_6detail34convert_binary_result_type_wrapperINS8_3SumESD_lEEEE10hipError_tPvRmT1_T2_T3_mT4_P12ihipStream_tbEUlT_E0_NS1_11comp_targetILNS1_3genE5ELNS1_11target_archE942ELNS1_3gpuE9ELNS1_3repE0EEENS1_30default_config_static_selectorELNS0_4arch9wavefront6targetE0EEEvSM_,@function
_ZN7rocprim17ROCPRIM_400000_NS6detail17trampoline_kernelINS0_14default_configENS1_22reduce_config_selectorIbEEZNS1_11reduce_implILb1ES3_N6hipcub16HIPCUB_304000_NS22TransformInputIteratorIb7NonZeroIaEPalEEPllNS8_6detail34convert_binary_result_type_wrapperINS8_3SumESD_lEEEE10hipError_tPvRmT1_T2_T3_mT4_P12ihipStream_tbEUlT_E0_NS1_11comp_targetILNS1_3genE5ELNS1_11target_archE942ELNS1_3gpuE9ELNS1_3repE0EEENS1_30default_config_static_selectorELNS0_4arch9wavefront6targetE0EEEvSM_: ; @_ZN7rocprim17ROCPRIM_400000_NS6detail17trampoline_kernelINS0_14default_configENS1_22reduce_config_selectorIbEEZNS1_11reduce_implILb1ES3_N6hipcub16HIPCUB_304000_NS22TransformInputIteratorIb7NonZeroIaEPalEEPllNS8_6detail34convert_binary_result_type_wrapperINS8_3SumESD_lEEEE10hipError_tPvRmT1_T2_T3_mT4_P12ihipStream_tbEUlT_E0_NS1_11comp_targetILNS1_3genE5ELNS1_11target_archE942ELNS1_3gpuE9ELNS1_3repE0EEENS1_30default_config_static_selectorELNS0_4arch9wavefront6targetE0EEEvSM_
; %bb.0:
	.section	.rodata,"a",@progbits
	.p2align	6, 0x0
	.amdhsa_kernel _ZN7rocprim17ROCPRIM_400000_NS6detail17trampoline_kernelINS0_14default_configENS1_22reduce_config_selectorIbEEZNS1_11reduce_implILb1ES3_N6hipcub16HIPCUB_304000_NS22TransformInputIteratorIb7NonZeroIaEPalEEPllNS8_6detail34convert_binary_result_type_wrapperINS8_3SumESD_lEEEE10hipError_tPvRmT1_T2_T3_mT4_P12ihipStream_tbEUlT_E0_NS1_11comp_targetILNS1_3genE5ELNS1_11target_archE942ELNS1_3gpuE9ELNS1_3repE0EEENS1_30default_config_static_selectorELNS0_4arch9wavefront6targetE0EEEvSM_
		.amdhsa_group_segment_fixed_size 0
		.amdhsa_private_segment_fixed_size 0
		.amdhsa_kernarg_size 72
		.amdhsa_user_sgpr_count 15
		.amdhsa_user_sgpr_dispatch_ptr 0
		.amdhsa_user_sgpr_queue_ptr 0
		.amdhsa_user_sgpr_kernarg_segment_ptr 1
		.amdhsa_user_sgpr_dispatch_id 0
		.amdhsa_user_sgpr_private_segment_size 0
		.amdhsa_wavefront_size32 1
		.amdhsa_uses_dynamic_stack 0
		.amdhsa_enable_private_segment 0
		.amdhsa_system_sgpr_workgroup_id_x 1
		.amdhsa_system_sgpr_workgroup_id_y 0
		.amdhsa_system_sgpr_workgroup_id_z 0
		.amdhsa_system_sgpr_workgroup_info 0
		.amdhsa_system_vgpr_workitem_id 0
		.amdhsa_next_free_vgpr 1
		.amdhsa_next_free_sgpr 1
		.amdhsa_reserve_vcc 0
		.amdhsa_float_round_mode_32 0
		.amdhsa_float_round_mode_16_64 0
		.amdhsa_float_denorm_mode_32 3
		.amdhsa_float_denorm_mode_16_64 3
		.amdhsa_dx10_clamp 1
		.amdhsa_ieee_mode 1
		.amdhsa_fp16_overflow 0
		.amdhsa_workgroup_processor_mode 1
		.amdhsa_memory_ordered 1
		.amdhsa_forward_progress 0
		.amdhsa_shared_vgpr_count 0
		.amdhsa_exception_fp_ieee_invalid_op 0
		.amdhsa_exception_fp_denorm_src 0
		.amdhsa_exception_fp_ieee_div_zero 0
		.amdhsa_exception_fp_ieee_overflow 0
		.amdhsa_exception_fp_ieee_underflow 0
		.amdhsa_exception_fp_ieee_inexact 0
		.amdhsa_exception_int_div_zero 0
	.end_amdhsa_kernel
	.section	.text._ZN7rocprim17ROCPRIM_400000_NS6detail17trampoline_kernelINS0_14default_configENS1_22reduce_config_selectorIbEEZNS1_11reduce_implILb1ES3_N6hipcub16HIPCUB_304000_NS22TransformInputIteratorIb7NonZeroIaEPalEEPllNS8_6detail34convert_binary_result_type_wrapperINS8_3SumESD_lEEEE10hipError_tPvRmT1_T2_T3_mT4_P12ihipStream_tbEUlT_E0_NS1_11comp_targetILNS1_3genE5ELNS1_11target_archE942ELNS1_3gpuE9ELNS1_3repE0EEENS1_30default_config_static_selectorELNS0_4arch9wavefront6targetE0EEEvSM_,"axG",@progbits,_ZN7rocprim17ROCPRIM_400000_NS6detail17trampoline_kernelINS0_14default_configENS1_22reduce_config_selectorIbEEZNS1_11reduce_implILb1ES3_N6hipcub16HIPCUB_304000_NS22TransformInputIteratorIb7NonZeroIaEPalEEPllNS8_6detail34convert_binary_result_type_wrapperINS8_3SumESD_lEEEE10hipError_tPvRmT1_T2_T3_mT4_P12ihipStream_tbEUlT_E0_NS1_11comp_targetILNS1_3genE5ELNS1_11target_archE942ELNS1_3gpuE9ELNS1_3repE0EEENS1_30default_config_static_selectorELNS0_4arch9wavefront6targetE0EEEvSM_,comdat
.Lfunc_end19:
	.size	_ZN7rocprim17ROCPRIM_400000_NS6detail17trampoline_kernelINS0_14default_configENS1_22reduce_config_selectorIbEEZNS1_11reduce_implILb1ES3_N6hipcub16HIPCUB_304000_NS22TransformInputIteratorIb7NonZeroIaEPalEEPllNS8_6detail34convert_binary_result_type_wrapperINS8_3SumESD_lEEEE10hipError_tPvRmT1_T2_T3_mT4_P12ihipStream_tbEUlT_E0_NS1_11comp_targetILNS1_3genE5ELNS1_11target_archE942ELNS1_3gpuE9ELNS1_3repE0EEENS1_30default_config_static_selectorELNS0_4arch9wavefront6targetE0EEEvSM_, .Lfunc_end19-_ZN7rocprim17ROCPRIM_400000_NS6detail17trampoline_kernelINS0_14default_configENS1_22reduce_config_selectorIbEEZNS1_11reduce_implILb1ES3_N6hipcub16HIPCUB_304000_NS22TransformInputIteratorIb7NonZeroIaEPalEEPllNS8_6detail34convert_binary_result_type_wrapperINS8_3SumESD_lEEEE10hipError_tPvRmT1_T2_T3_mT4_P12ihipStream_tbEUlT_E0_NS1_11comp_targetILNS1_3genE5ELNS1_11target_archE942ELNS1_3gpuE9ELNS1_3repE0EEENS1_30default_config_static_selectorELNS0_4arch9wavefront6targetE0EEEvSM_
                                        ; -- End function
	.section	.AMDGPU.csdata,"",@progbits
; Kernel info:
; codeLenInByte = 0
; NumSgprs: 0
; NumVgprs: 0
; ScratchSize: 0
; MemoryBound: 0
; FloatMode: 240
; IeeeMode: 1
; LDSByteSize: 0 bytes/workgroup (compile time only)
; SGPRBlocks: 0
; VGPRBlocks: 0
; NumSGPRsForWavesPerEU: 1
; NumVGPRsForWavesPerEU: 1
; Occupancy: 16
; WaveLimiterHint : 0
; COMPUTE_PGM_RSRC2:SCRATCH_EN: 0
; COMPUTE_PGM_RSRC2:USER_SGPR: 15
; COMPUTE_PGM_RSRC2:TRAP_HANDLER: 0
; COMPUTE_PGM_RSRC2:TGID_X_EN: 1
; COMPUTE_PGM_RSRC2:TGID_Y_EN: 0
; COMPUTE_PGM_RSRC2:TGID_Z_EN: 0
; COMPUTE_PGM_RSRC2:TIDIG_COMP_CNT: 0
	.section	.text._ZN7rocprim17ROCPRIM_400000_NS6detail17trampoline_kernelINS0_14default_configENS1_22reduce_config_selectorIbEEZNS1_11reduce_implILb1ES3_N6hipcub16HIPCUB_304000_NS22TransformInputIteratorIb7NonZeroIaEPalEEPllNS8_6detail34convert_binary_result_type_wrapperINS8_3SumESD_lEEEE10hipError_tPvRmT1_T2_T3_mT4_P12ihipStream_tbEUlT_E0_NS1_11comp_targetILNS1_3genE4ELNS1_11target_archE910ELNS1_3gpuE8ELNS1_3repE0EEENS1_30default_config_static_selectorELNS0_4arch9wavefront6targetE0EEEvSM_,"axG",@progbits,_ZN7rocprim17ROCPRIM_400000_NS6detail17trampoline_kernelINS0_14default_configENS1_22reduce_config_selectorIbEEZNS1_11reduce_implILb1ES3_N6hipcub16HIPCUB_304000_NS22TransformInputIteratorIb7NonZeroIaEPalEEPllNS8_6detail34convert_binary_result_type_wrapperINS8_3SumESD_lEEEE10hipError_tPvRmT1_T2_T3_mT4_P12ihipStream_tbEUlT_E0_NS1_11comp_targetILNS1_3genE4ELNS1_11target_archE910ELNS1_3gpuE8ELNS1_3repE0EEENS1_30default_config_static_selectorELNS0_4arch9wavefront6targetE0EEEvSM_,comdat
	.protected	_ZN7rocprim17ROCPRIM_400000_NS6detail17trampoline_kernelINS0_14default_configENS1_22reduce_config_selectorIbEEZNS1_11reduce_implILb1ES3_N6hipcub16HIPCUB_304000_NS22TransformInputIteratorIb7NonZeroIaEPalEEPllNS8_6detail34convert_binary_result_type_wrapperINS8_3SumESD_lEEEE10hipError_tPvRmT1_T2_T3_mT4_P12ihipStream_tbEUlT_E0_NS1_11comp_targetILNS1_3genE4ELNS1_11target_archE910ELNS1_3gpuE8ELNS1_3repE0EEENS1_30default_config_static_selectorELNS0_4arch9wavefront6targetE0EEEvSM_ ; -- Begin function _ZN7rocprim17ROCPRIM_400000_NS6detail17trampoline_kernelINS0_14default_configENS1_22reduce_config_selectorIbEEZNS1_11reduce_implILb1ES3_N6hipcub16HIPCUB_304000_NS22TransformInputIteratorIb7NonZeroIaEPalEEPllNS8_6detail34convert_binary_result_type_wrapperINS8_3SumESD_lEEEE10hipError_tPvRmT1_T2_T3_mT4_P12ihipStream_tbEUlT_E0_NS1_11comp_targetILNS1_3genE4ELNS1_11target_archE910ELNS1_3gpuE8ELNS1_3repE0EEENS1_30default_config_static_selectorELNS0_4arch9wavefront6targetE0EEEvSM_
	.globl	_ZN7rocprim17ROCPRIM_400000_NS6detail17trampoline_kernelINS0_14default_configENS1_22reduce_config_selectorIbEEZNS1_11reduce_implILb1ES3_N6hipcub16HIPCUB_304000_NS22TransformInputIteratorIb7NonZeroIaEPalEEPllNS8_6detail34convert_binary_result_type_wrapperINS8_3SumESD_lEEEE10hipError_tPvRmT1_T2_T3_mT4_P12ihipStream_tbEUlT_E0_NS1_11comp_targetILNS1_3genE4ELNS1_11target_archE910ELNS1_3gpuE8ELNS1_3repE0EEENS1_30default_config_static_selectorELNS0_4arch9wavefront6targetE0EEEvSM_
	.p2align	8
	.type	_ZN7rocprim17ROCPRIM_400000_NS6detail17trampoline_kernelINS0_14default_configENS1_22reduce_config_selectorIbEEZNS1_11reduce_implILb1ES3_N6hipcub16HIPCUB_304000_NS22TransformInputIteratorIb7NonZeroIaEPalEEPllNS8_6detail34convert_binary_result_type_wrapperINS8_3SumESD_lEEEE10hipError_tPvRmT1_T2_T3_mT4_P12ihipStream_tbEUlT_E0_NS1_11comp_targetILNS1_3genE4ELNS1_11target_archE910ELNS1_3gpuE8ELNS1_3repE0EEENS1_30default_config_static_selectorELNS0_4arch9wavefront6targetE0EEEvSM_,@function
_ZN7rocprim17ROCPRIM_400000_NS6detail17trampoline_kernelINS0_14default_configENS1_22reduce_config_selectorIbEEZNS1_11reduce_implILb1ES3_N6hipcub16HIPCUB_304000_NS22TransformInputIteratorIb7NonZeroIaEPalEEPllNS8_6detail34convert_binary_result_type_wrapperINS8_3SumESD_lEEEE10hipError_tPvRmT1_T2_T3_mT4_P12ihipStream_tbEUlT_E0_NS1_11comp_targetILNS1_3genE4ELNS1_11target_archE910ELNS1_3gpuE8ELNS1_3repE0EEENS1_30default_config_static_selectorELNS0_4arch9wavefront6targetE0EEEvSM_: ; @_ZN7rocprim17ROCPRIM_400000_NS6detail17trampoline_kernelINS0_14default_configENS1_22reduce_config_selectorIbEEZNS1_11reduce_implILb1ES3_N6hipcub16HIPCUB_304000_NS22TransformInputIteratorIb7NonZeroIaEPalEEPllNS8_6detail34convert_binary_result_type_wrapperINS8_3SumESD_lEEEE10hipError_tPvRmT1_T2_T3_mT4_P12ihipStream_tbEUlT_E0_NS1_11comp_targetILNS1_3genE4ELNS1_11target_archE910ELNS1_3gpuE8ELNS1_3repE0EEENS1_30default_config_static_selectorELNS0_4arch9wavefront6targetE0EEEvSM_
; %bb.0:
	.section	.rodata,"a",@progbits
	.p2align	6, 0x0
	.amdhsa_kernel _ZN7rocprim17ROCPRIM_400000_NS6detail17trampoline_kernelINS0_14default_configENS1_22reduce_config_selectorIbEEZNS1_11reduce_implILb1ES3_N6hipcub16HIPCUB_304000_NS22TransformInputIteratorIb7NonZeroIaEPalEEPllNS8_6detail34convert_binary_result_type_wrapperINS8_3SumESD_lEEEE10hipError_tPvRmT1_T2_T3_mT4_P12ihipStream_tbEUlT_E0_NS1_11comp_targetILNS1_3genE4ELNS1_11target_archE910ELNS1_3gpuE8ELNS1_3repE0EEENS1_30default_config_static_selectorELNS0_4arch9wavefront6targetE0EEEvSM_
		.amdhsa_group_segment_fixed_size 0
		.amdhsa_private_segment_fixed_size 0
		.amdhsa_kernarg_size 72
		.amdhsa_user_sgpr_count 15
		.amdhsa_user_sgpr_dispatch_ptr 0
		.amdhsa_user_sgpr_queue_ptr 0
		.amdhsa_user_sgpr_kernarg_segment_ptr 1
		.amdhsa_user_sgpr_dispatch_id 0
		.amdhsa_user_sgpr_private_segment_size 0
		.amdhsa_wavefront_size32 1
		.amdhsa_uses_dynamic_stack 0
		.amdhsa_enable_private_segment 0
		.amdhsa_system_sgpr_workgroup_id_x 1
		.amdhsa_system_sgpr_workgroup_id_y 0
		.amdhsa_system_sgpr_workgroup_id_z 0
		.amdhsa_system_sgpr_workgroup_info 0
		.amdhsa_system_vgpr_workitem_id 0
		.amdhsa_next_free_vgpr 1
		.amdhsa_next_free_sgpr 1
		.amdhsa_reserve_vcc 0
		.amdhsa_float_round_mode_32 0
		.amdhsa_float_round_mode_16_64 0
		.amdhsa_float_denorm_mode_32 3
		.amdhsa_float_denorm_mode_16_64 3
		.amdhsa_dx10_clamp 1
		.amdhsa_ieee_mode 1
		.amdhsa_fp16_overflow 0
		.amdhsa_workgroup_processor_mode 1
		.amdhsa_memory_ordered 1
		.amdhsa_forward_progress 0
		.amdhsa_shared_vgpr_count 0
		.amdhsa_exception_fp_ieee_invalid_op 0
		.amdhsa_exception_fp_denorm_src 0
		.amdhsa_exception_fp_ieee_div_zero 0
		.amdhsa_exception_fp_ieee_overflow 0
		.amdhsa_exception_fp_ieee_underflow 0
		.amdhsa_exception_fp_ieee_inexact 0
		.amdhsa_exception_int_div_zero 0
	.end_amdhsa_kernel
	.section	.text._ZN7rocprim17ROCPRIM_400000_NS6detail17trampoline_kernelINS0_14default_configENS1_22reduce_config_selectorIbEEZNS1_11reduce_implILb1ES3_N6hipcub16HIPCUB_304000_NS22TransformInputIteratorIb7NonZeroIaEPalEEPllNS8_6detail34convert_binary_result_type_wrapperINS8_3SumESD_lEEEE10hipError_tPvRmT1_T2_T3_mT4_P12ihipStream_tbEUlT_E0_NS1_11comp_targetILNS1_3genE4ELNS1_11target_archE910ELNS1_3gpuE8ELNS1_3repE0EEENS1_30default_config_static_selectorELNS0_4arch9wavefront6targetE0EEEvSM_,"axG",@progbits,_ZN7rocprim17ROCPRIM_400000_NS6detail17trampoline_kernelINS0_14default_configENS1_22reduce_config_selectorIbEEZNS1_11reduce_implILb1ES3_N6hipcub16HIPCUB_304000_NS22TransformInputIteratorIb7NonZeroIaEPalEEPllNS8_6detail34convert_binary_result_type_wrapperINS8_3SumESD_lEEEE10hipError_tPvRmT1_T2_T3_mT4_P12ihipStream_tbEUlT_E0_NS1_11comp_targetILNS1_3genE4ELNS1_11target_archE910ELNS1_3gpuE8ELNS1_3repE0EEENS1_30default_config_static_selectorELNS0_4arch9wavefront6targetE0EEEvSM_,comdat
.Lfunc_end20:
	.size	_ZN7rocprim17ROCPRIM_400000_NS6detail17trampoline_kernelINS0_14default_configENS1_22reduce_config_selectorIbEEZNS1_11reduce_implILb1ES3_N6hipcub16HIPCUB_304000_NS22TransformInputIteratorIb7NonZeroIaEPalEEPllNS8_6detail34convert_binary_result_type_wrapperINS8_3SumESD_lEEEE10hipError_tPvRmT1_T2_T3_mT4_P12ihipStream_tbEUlT_E0_NS1_11comp_targetILNS1_3genE4ELNS1_11target_archE910ELNS1_3gpuE8ELNS1_3repE0EEENS1_30default_config_static_selectorELNS0_4arch9wavefront6targetE0EEEvSM_, .Lfunc_end20-_ZN7rocprim17ROCPRIM_400000_NS6detail17trampoline_kernelINS0_14default_configENS1_22reduce_config_selectorIbEEZNS1_11reduce_implILb1ES3_N6hipcub16HIPCUB_304000_NS22TransformInputIteratorIb7NonZeroIaEPalEEPllNS8_6detail34convert_binary_result_type_wrapperINS8_3SumESD_lEEEE10hipError_tPvRmT1_T2_T3_mT4_P12ihipStream_tbEUlT_E0_NS1_11comp_targetILNS1_3genE4ELNS1_11target_archE910ELNS1_3gpuE8ELNS1_3repE0EEENS1_30default_config_static_selectorELNS0_4arch9wavefront6targetE0EEEvSM_
                                        ; -- End function
	.section	.AMDGPU.csdata,"",@progbits
; Kernel info:
; codeLenInByte = 0
; NumSgprs: 0
; NumVgprs: 0
; ScratchSize: 0
; MemoryBound: 0
; FloatMode: 240
; IeeeMode: 1
; LDSByteSize: 0 bytes/workgroup (compile time only)
; SGPRBlocks: 0
; VGPRBlocks: 0
; NumSGPRsForWavesPerEU: 1
; NumVGPRsForWavesPerEU: 1
; Occupancy: 16
; WaveLimiterHint : 0
; COMPUTE_PGM_RSRC2:SCRATCH_EN: 0
; COMPUTE_PGM_RSRC2:USER_SGPR: 15
; COMPUTE_PGM_RSRC2:TRAP_HANDLER: 0
; COMPUTE_PGM_RSRC2:TGID_X_EN: 1
; COMPUTE_PGM_RSRC2:TGID_Y_EN: 0
; COMPUTE_PGM_RSRC2:TGID_Z_EN: 0
; COMPUTE_PGM_RSRC2:TIDIG_COMP_CNT: 0
	.section	.text._ZN7rocprim17ROCPRIM_400000_NS6detail17trampoline_kernelINS0_14default_configENS1_22reduce_config_selectorIbEEZNS1_11reduce_implILb1ES3_N6hipcub16HIPCUB_304000_NS22TransformInputIteratorIb7NonZeroIaEPalEEPllNS8_6detail34convert_binary_result_type_wrapperINS8_3SumESD_lEEEE10hipError_tPvRmT1_T2_T3_mT4_P12ihipStream_tbEUlT_E0_NS1_11comp_targetILNS1_3genE3ELNS1_11target_archE908ELNS1_3gpuE7ELNS1_3repE0EEENS1_30default_config_static_selectorELNS0_4arch9wavefront6targetE0EEEvSM_,"axG",@progbits,_ZN7rocprim17ROCPRIM_400000_NS6detail17trampoline_kernelINS0_14default_configENS1_22reduce_config_selectorIbEEZNS1_11reduce_implILb1ES3_N6hipcub16HIPCUB_304000_NS22TransformInputIteratorIb7NonZeroIaEPalEEPllNS8_6detail34convert_binary_result_type_wrapperINS8_3SumESD_lEEEE10hipError_tPvRmT1_T2_T3_mT4_P12ihipStream_tbEUlT_E0_NS1_11comp_targetILNS1_3genE3ELNS1_11target_archE908ELNS1_3gpuE7ELNS1_3repE0EEENS1_30default_config_static_selectorELNS0_4arch9wavefront6targetE0EEEvSM_,comdat
	.protected	_ZN7rocprim17ROCPRIM_400000_NS6detail17trampoline_kernelINS0_14default_configENS1_22reduce_config_selectorIbEEZNS1_11reduce_implILb1ES3_N6hipcub16HIPCUB_304000_NS22TransformInputIteratorIb7NonZeroIaEPalEEPllNS8_6detail34convert_binary_result_type_wrapperINS8_3SumESD_lEEEE10hipError_tPvRmT1_T2_T3_mT4_P12ihipStream_tbEUlT_E0_NS1_11comp_targetILNS1_3genE3ELNS1_11target_archE908ELNS1_3gpuE7ELNS1_3repE0EEENS1_30default_config_static_selectorELNS0_4arch9wavefront6targetE0EEEvSM_ ; -- Begin function _ZN7rocprim17ROCPRIM_400000_NS6detail17trampoline_kernelINS0_14default_configENS1_22reduce_config_selectorIbEEZNS1_11reduce_implILb1ES3_N6hipcub16HIPCUB_304000_NS22TransformInputIteratorIb7NonZeroIaEPalEEPllNS8_6detail34convert_binary_result_type_wrapperINS8_3SumESD_lEEEE10hipError_tPvRmT1_T2_T3_mT4_P12ihipStream_tbEUlT_E0_NS1_11comp_targetILNS1_3genE3ELNS1_11target_archE908ELNS1_3gpuE7ELNS1_3repE0EEENS1_30default_config_static_selectorELNS0_4arch9wavefront6targetE0EEEvSM_
	.globl	_ZN7rocprim17ROCPRIM_400000_NS6detail17trampoline_kernelINS0_14default_configENS1_22reduce_config_selectorIbEEZNS1_11reduce_implILb1ES3_N6hipcub16HIPCUB_304000_NS22TransformInputIteratorIb7NonZeroIaEPalEEPllNS8_6detail34convert_binary_result_type_wrapperINS8_3SumESD_lEEEE10hipError_tPvRmT1_T2_T3_mT4_P12ihipStream_tbEUlT_E0_NS1_11comp_targetILNS1_3genE3ELNS1_11target_archE908ELNS1_3gpuE7ELNS1_3repE0EEENS1_30default_config_static_selectorELNS0_4arch9wavefront6targetE0EEEvSM_
	.p2align	8
	.type	_ZN7rocprim17ROCPRIM_400000_NS6detail17trampoline_kernelINS0_14default_configENS1_22reduce_config_selectorIbEEZNS1_11reduce_implILb1ES3_N6hipcub16HIPCUB_304000_NS22TransformInputIteratorIb7NonZeroIaEPalEEPllNS8_6detail34convert_binary_result_type_wrapperINS8_3SumESD_lEEEE10hipError_tPvRmT1_T2_T3_mT4_P12ihipStream_tbEUlT_E0_NS1_11comp_targetILNS1_3genE3ELNS1_11target_archE908ELNS1_3gpuE7ELNS1_3repE0EEENS1_30default_config_static_selectorELNS0_4arch9wavefront6targetE0EEEvSM_,@function
_ZN7rocprim17ROCPRIM_400000_NS6detail17trampoline_kernelINS0_14default_configENS1_22reduce_config_selectorIbEEZNS1_11reduce_implILb1ES3_N6hipcub16HIPCUB_304000_NS22TransformInputIteratorIb7NonZeroIaEPalEEPllNS8_6detail34convert_binary_result_type_wrapperINS8_3SumESD_lEEEE10hipError_tPvRmT1_T2_T3_mT4_P12ihipStream_tbEUlT_E0_NS1_11comp_targetILNS1_3genE3ELNS1_11target_archE908ELNS1_3gpuE7ELNS1_3repE0EEENS1_30default_config_static_selectorELNS0_4arch9wavefront6targetE0EEEvSM_: ; @_ZN7rocprim17ROCPRIM_400000_NS6detail17trampoline_kernelINS0_14default_configENS1_22reduce_config_selectorIbEEZNS1_11reduce_implILb1ES3_N6hipcub16HIPCUB_304000_NS22TransformInputIteratorIb7NonZeroIaEPalEEPllNS8_6detail34convert_binary_result_type_wrapperINS8_3SumESD_lEEEE10hipError_tPvRmT1_T2_T3_mT4_P12ihipStream_tbEUlT_E0_NS1_11comp_targetILNS1_3genE3ELNS1_11target_archE908ELNS1_3gpuE7ELNS1_3repE0EEENS1_30default_config_static_selectorELNS0_4arch9wavefront6targetE0EEEvSM_
; %bb.0:
	.section	.rodata,"a",@progbits
	.p2align	6, 0x0
	.amdhsa_kernel _ZN7rocprim17ROCPRIM_400000_NS6detail17trampoline_kernelINS0_14default_configENS1_22reduce_config_selectorIbEEZNS1_11reduce_implILb1ES3_N6hipcub16HIPCUB_304000_NS22TransformInputIteratorIb7NonZeroIaEPalEEPllNS8_6detail34convert_binary_result_type_wrapperINS8_3SumESD_lEEEE10hipError_tPvRmT1_T2_T3_mT4_P12ihipStream_tbEUlT_E0_NS1_11comp_targetILNS1_3genE3ELNS1_11target_archE908ELNS1_3gpuE7ELNS1_3repE0EEENS1_30default_config_static_selectorELNS0_4arch9wavefront6targetE0EEEvSM_
		.amdhsa_group_segment_fixed_size 0
		.amdhsa_private_segment_fixed_size 0
		.amdhsa_kernarg_size 72
		.amdhsa_user_sgpr_count 15
		.amdhsa_user_sgpr_dispatch_ptr 0
		.amdhsa_user_sgpr_queue_ptr 0
		.amdhsa_user_sgpr_kernarg_segment_ptr 1
		.amdhsa_user_sgpr_dispatch_id 0
		.amdhsa_user_sgpr_private_segment_size 0
		.amdhsa_wavefront_size32 1
		.amdhsa_uses_dynamic_stack 0
		.amdhsa_enable_private_segment 0
		.amdhsa_system_sgpr_workgroup_id_x 1
		.amdhsa_system_sgpr_workgroup_id_y 0
		.amdhsa_system_sgpr_workgroup_id_z 0
		.amdhsa_system_sgpr_workgroup_info 0
		.amdhsa_system_vgpr_workitem_id 0
		.amdhsa_next_free_vgpr 1
		.amdhsa_next_free_sgpr 1
		.amdhsa_reserve_vcc 0
		.amdhsa_float_round_mode_32 0
		.amdhsa_float_round_mode_16_64 0
		.amdhsa_float_denorm_mode_32 3
		.amdhsa_float_denorm_mode_16_64 3
		.amdhsa_dx10_clamp 1
		.amdhsa_ieee_mode 1
		.amdhsa_fp16_overflow 0
		.amdhsa_workgroup_processor_mode 1
		.amdhsa_memory_ordered 1
		.amdhsa_forward_progress 0
		.amdhsa_shared_vgpr_count 0
		.amdhsa_exception_fp_ieee_invalid_op 0
		.amdhsa_exception_fp_denorm_src 0
		.amdhsa_exception_fp_ieee_div_zero 0
		.amdhsa_exception_fp_ieee_overflow 0
		.amdhsa_exception_fp_ieee_underflow 0
		.amdhsa_exception_fp_ieee_inexact 0
		.amdhsa_exception_int_div_zero 0
	.end_amdhsa_kernel
	.section	.text._ZN7rocprim17ROCPRIM_400000_NS6detail17trampoline_kernelINS0_14default_configENS1_22reduce_config_selectorIbEEZNS1_11reduce_implILb1ES3_N6hipcub16HIPCUB_304000_NS22TransformInputIteratorIb7NonZeroIaEPalEEPllNS8_6detail34convert_binary_result_type_wrapperINS8_3SumESD_lEEEE10hipError_tPvRmT1_T2_T3_mT4_P12ihipStream_tbEUlT_E0_NS1_11comp_targetILNS1_3genE3ELNS1_11target_archE908ELNS1_3gpuE7ELNS1_3repE0EEENS1_30default_config_static_selectorELNS0_4arch9wavefront6targetE0EEEvSM_,"axG",@progbits,_ZN7rocprim17ROCPRIM_400000_NS6detail17trampoline_kernelINS0_14default_configENS1_22reduce_config_selectorIbEEZNS1_11reduce_implILb1ES3_N6hipcub16HIPCUB_304000_NS22TransformInputIteratorIb7NonZeroIaEPalEEPllNS8_6detail34convert_binary_result_type_wrapperINS8_3SumESD_lEEEE10hipError_tPvRmT1_T2_T3_mT4_P12ihipStream_tbEUlT_E0_NS1_11comp_targetILNS1_3genE3ELNS1_11target_archE908ELNS1_3gpuE7ELNS1_3repE0EEENS1_30default_config_static_selectorELNS0_4arch9wavefront6targetE0EEEvSM_,comdat
.Lfunc_end21:
	.size	_ZN7rocprim17ROCPRIM_400000_NS6detail17trampoline_kernelINS0_14default_configENS1_22reduce_config_selectorIbEEZNS1_11reduce_implILb1ES3_N6hipcub16HIPCUB_304000_NS22TransformInputIteratorIb7NonZeroIaEPalEEPllNS8_6detail34convert_binary_result_type_wrapperINS8_3SumESD_lEEEE10hipError_tPvRmT1_T2_T3_mT4_P12ihipStream_tbEUlT_E0_NS1_11comp_targetILNS1_3genE3ELNS1_11target_archE908ELNS1_3gpuE7ELNS1_3repE0EEENS1_30default_config_static_selectorELNS0_4arch9wavefront6targetE0EEEvSM_, .Lfunc_end21-_ZN7rocprim17ROCPRIM_400000_NS6detail17trampoline_kernelINS0_14default_configENS1_22reduce_config_selectorIbEEZNS1_11reduce_implILb1ES3_N6hipcub16HIPCUB_304000_NS22TransformInputIteratorIb7NonZeroIaEPalEEPllNS8_6detail34convert_binary_result_type_wrapperINS8_3SumESD_lEEEE10hipError_tPvRmT1_T2_T3_mT4_P12ihipStream_tbEUlT_E0_NS1_11comp_targetILNS1_3genE3ELNS1_11target_archE908ELNS1_3gpuE7ELNS1_3repE0EEENS1_30default_config_static_selectorELNS0_4arch9wavefront6targetE0EEEvSM_
                                        ; -- End function
	.section	.AMDGPU.csdata,"",@progbits
; Kernel info:
; codeLenInByte = 0
; NumSgprs: 0
; NumVgprs: 0
; ScratchSize: 0
; MemoryBound: 0
; FloatMode: 240
; IeeeMode: 1
; LDSByteSize: 0 bytes/workgroup (compile time only)
; SGPRBlocks: 0
; VGPRBlocks: 0
; NumSGPRsForWavesPerEU: 1
; NumVGPRsForWavesPerEU: 1
; Occupancy: 16
; WaveLimiterHint : 0
; COMPUTE_PGM_RSRC2:SCRATCH_EN: 0
; COMPUTE_PGM_RSRC2:USER_SGPR: 15
; COMPUTE_PGM_RSRC2:TRAP_HANDLER: 0
; COMPUTE_PGM_RSRC2:TGID_X_EN: 1
; COMPUTE_PGM_RSRC2:TGID_Y_EN: 0
; COMPUTE_PGM_RSRC2:TGID_Z_EN: 0
; COMPUTE_PGM_RSRC2:TIDIG_COMP_CNT: 0
	.section	.text._ZN7rocprim17ROCPRIM_400000_NS6detail17trampoline_kernelINS0_14default_configENS1_22reduce_config_selectorIbEEZNS1_11reduce_implILb1ES3_N6hipcub16HIPCUB_304000_NS22TransformInputIteratorIb7NonZeroIaEPalEEPllNS8_6detail34convert_binary_result_type_wrapperINS8_3SumESD_lEEEE10hipError_tPvRmT1_T2_T3_mT4_P12ihipStream_tbEUlT_E0_NS1_11comp_targetILNS1_3genE2ELNS1_11target_archE906ELNS1_3gpuE6ELNS1_3repE0EEENS1_30default_config_static_selectorELNS0_4arch9wavefront6targetE0EEEvSM_,"axG",@progbits,_ZN7rocprim17ROCPRIM_400000_NS6detail17trampoline_kernelINS0_14default_configENS1_22reduce_config_selectorIbEEZNS1_11reduce_implILb1ES3_N6hipcub16HIPCUB_304000_NS22TransformInputIteratorIb7NonZeroIaEPalEEPllNS8_6detail34convert_binary_result_type_wrapperINS8_3SumESD_lEEEE10hipError_tPvRmT1_T2_T3_mT4_P12ihipStream_tbEUlT_E0_NS1_11comp_targetILNS1_3genE2ELNS1_11target_archE906ELNS1_3gpuE6ELNS1_3repE0EEENS1_30default_config_static_selectorELNS0_4arch9wavefront6targetE0EEEvSM_,comdat
	.protected	_ZN7rocprim17ROCPRIM_400000_NS6detail17trampoline_kernelINS0_14default_configENS1_22reduce_config_selectorIbEEZNS1_11reduce_implILb1ES3_N6hipcub16HIPCUB_304000_NS22TransformInputIteratorIb7NonZeroIaEPalEEPllNS8_6detail34convert_binary_result_type_wrapperINS8_3SumESD_lEEEE10hipError_tPvRmT1_T2_T3_mT4_P12ihipStream_tbEUlT_E0_NS1_11comp_targetILNS1_3genE2ELNS1_11target_archE906ELNS1_3gpuE6ELNS1_3repE0EEENS1_30default_config_static_selectorELNS0_4arch9wavefront6targetE0EEEvSM_ ; -- Begin function _ZN7rocprim17ROCPRIM_400000_NS6detail17trampoline_kernelINS0_14default_configENS1_22reduce_config_selectorIbEEZNS1_11reduce_implILb1ES3_N6hipcub16HIPCUB_304000_NS22TransformInputIteratorIb7NonZeroIaEPalEEPllNS8_6detail34convert_binary_result_type_wrapperINS8_3SumESD_lEEEE10hipError_tPvRmT1_T2_T3_mT4_P12ihipStream_tbEUlT_E0_NS1_11comp_targetILNS1_3genE2ELNS1_11target_archE906ELNS1_3gpuE6ELNS1_3repE0EEENS1_30default_config_static_selectorELNS0_4arch9wavefront6targetE0EEEvSM_
	.globl	_ZN7rocprim17ROCPRIM_400000_NS6detail17trampoline_kernelINS0_14default_configENS1_22reduce_config_selectorIbEEZNS1_11reduce_implILb1ES3_N6hipcub16HIPCUB_304000_NS22TransformInputIteratorIb7NonZeroIaEPalEEPllNS8_6detail34convert_binary_result_type_wrapperINS8_3SumESD_lEEEE10hipError_tPvRmT1_T2_T3_mT4_P12ihipStream_tbEUlT_E0_NS1_11comp_targetILNS1_3genE2ELNS1_11target_archE906ELNS1_3gpuE6ELNS1_3repE0EEENS1_30default_config_static_selectorELNS0_4arch9wavefront6targetE0EEEvSM_
	.p2align	8
	.type	_ZN7rocprim17ROCPRIM_400000_NS6detail17trampoline_kernelINS0_14default_configENS1_22reduce_config_selectorIbEEZNS1_11reduce_implILb1ES3_N6hipcub16HIPCUB_304000_NS22TransformInputIteratorIb7NonZeroIaEPalEEPllNS8_6detail34convert_binary_result_type_wrapperINS8_3SumESD_lEEEE10hipError_tPvRmT1_T2_T3_mT4_P12ihipStream_tbEUlT_E0_NS1_11comp_targetILNS1_3genE2ELNS1_11target_archE906ELNS1_3gpuE6ELNS1_3repE0EEENS1_30default_config_static_selectorELNS0_4arch9wavefront6targetE0EEEvSM_,@function
_ZN7rocprim17ROCPRIM_400000_NS6detail17trampoline_kernelINS0_14default_configENS1_22reduce_config_selectorIbEEZNS1_11reduce_implILb1ES3_N6hipcub16HIPCUB_304000_NS22TransformInputIteratorIb7NonZeroIaEPalEEPllNS8_6detail34convert_binary_result_type_wrapperINS8_3SumESD_lEEEE10hipError_tPvRmT1_T2_T3_mT4_P12ihipStream_tbEUlT_E0_NS1_11comp_targetILNS1_3genE2ELNS1_11target_archE906ELNS1_3gpuE6ELNS1_3repE0EEENS1_30default_config_static_selectorELNS0_4arch9wavefront6targetE0EEEvSM_: ; @_ZN7rocprim17ROCPRIM_400000_NS6detail17trampoline_kernelINS0_14default_configENS1_22reduce_config_selectorIbEEZNS1_11reduce_implILb1ES3_N6hipcub16HIPCUB_304000_NS22TransformInputIteratorIb7NonZeroIaEPalEEPllNS8_6detail34convert_binary_result_type_wrapperINS8_3SumESD_lEEEE10hipError_tPvRmT1_T2_T3_mT4_P12ihipStream_tbEUlT_E0_NS1_11comp_targetILNS1_3genE2ELNS1_11target_archE906ELNS1_3gpuE6ELNS1_3repE0EEENS1_30default_config_static_selectorELNS0_4arch9wavefront6targetE0EEEvSM_
; %bb.0:
	.section	.rodata,"a",@progbits
	.p2align	6, 0x0
	.amdhsa_kernel _ZN7rocprim17ROCPRIM_400000_NS6detail17trampoline_kernelINS0_14default_configENS1_22reduce_config_selectorIbEEZNS1_11reduce_implILb1ES3_N6hipcub16HIPCUB_304000_NS22TransformInputIteratorIb7NonZeroIaEPalEEPllNS8_6detail34convert_binary_result_type_wrapperINS8_3SumESD_lEEEE10hipError_tPvRmT1_T2_T3_mT4_P12ihipStream_tbEUlT_E0_NS1_11comp_targetILNS1_3genE2ELNS1_11target_archE906ELNS1_3gpuE6ELNS1_3repE0EEENS1_30default_config_static_selectorELNS0_4arch9wavefront6targetE0EEEvSM_
		.amdhsa_group_segment_fixed_size 0
		.amdhsa_private_segment_fixed_size 0
		.amdhsa_kernarg_size 72
		.amdhsa_user_sgpr_count 15
		.amdhsa_user_sgpr_dispatch_ptr 0
		.amdhsa_user_sgpr_queue_ptr 0
		.amdhsa_user_sgpr_kernarg_segment_ptr 1
		.amdhsa_user_sgpr_dispatch_id 0
		.amdhsa_user_sgpr_private_segment_size 0
		.amdhsa_wavefront_size32 1
		.amdhsa_uses_dynamic_stack 0
		.amdhsa_enable_private_segment 0
		.amdhsa_system_sgpr_workgroup_id_x 1
		.amdhsa_system_sgpr_workgroup_id_y 0
		.amdhsa_system_sgpr_workgroup_id_z 0
		.amdhsa_system_sgpr_workgroup_info 0
		.amdhsa_system_vgpr_workitem_id 0
		.amdhsa_next_free_vgpr 1
		.amdhsa_next_free_sgpr 1
		.amdhsa_reserve_vcc 0
		.amdhsa_float_round_mode_32 0
		.amdhsa_float_round_mode_16_64 0
		.amdhsa_float_denorm_mode_32 3
		.amdhsa_float_denorm_mode_16_64 3
		.amdhsa_dx10_clamp 1
		.amdhsa_ieee_mode 1
		.amdhsa_fp16_overflow 0
		.amdhsa_workgroup_processor_mode 1
		.amdhsa_memory_ordered 1
		.amdhsa_forward_progress 0
		.amdhsa_shared_vgpr_count 0
		.amdhsa_exception_fp_ieee_invalid_op 0
		.amdhsa_exception_fp_denorm_src 0
		.amdhsa_exception_fp_ieee_div_zero 0
		.amdhsa_exception_fp_ieee_overflow 0
		.amdhsa_exception_fp_ieee_underflow 0
		.amdhsa_exception_fp_ieee_inexact 0
		.amdhsa_exception_int_div_zero 0
	.end_amdhsa_kernel
	.section	.text._ZN7rocprim17ROCPRIM_400000_NS6detail17trampoline_kernelINS0_14default_configENS1_22reduce_config_selectorIbEEZNS1_11reduce_implILb1ES3_N6hipcub16HIPCUB_304000_NS22TransformInputIteratorIb7NonZeroIaEPalEEPllNS8_6detail34convert_binary_result_type_wrapperINS8_3SumESD_lEEEE10hipError_tPvRmT1_T2_T3_mT4_P12ihipStream_tbEUlT_E0_NS1_11comp_targetILNS1_3genE2ELNS1_11target_archE906ELNS1_3gpuE6ELNS1_3repE0EEENS1_30default_config_static_selectorELNS0_4arch9wavefront6targetE0EEEvSM_,"axG",@progbits,_ZN7rocprim17ROCPRIM_400000_NS6detail17trampoline_kernelINS0_14default_configENS1_22reduce_config_selectorIbEEZNS1_11reduce_implILb1ES3_N6hipcub16HIPCUB_304000_NS22TransformInputIteratorIb7NonZeroIaEPalEEPllNS8_6detail34convert_binary_result_type_wrapperINS8_3SumESD_lEEEE10hipError_tPvRmT1_T2_T3_mT4_P12ihipStream_tbEUlT_E0_NS1_11comp_targetILNS1_3genE2ELNS1_11target_archE906ELNS1_3gpuE6ELNS1_3repE0EEENS1_30default_config_static_selectorELNS0_4arch9wavefront6targetE0EEEvSM_,comdat
.Lfunc_end22:
	.size	_ZN7rocprim17ROCPRIM_400000_NS6detail17trampoline_kernelINS0_14default_configENS1_22reduce_config_selectorIbEEZNS1_11reduce_implILb1ES3_N6hipcub16HIPCUB_304000_NS22TransformInputIteratorIb7NonZeroIaEPalEEPllNS8_6detail34convert_binary_result_type_wrapperINS8_3SumESD_lEEEE10hipError_tPvRmT1_T2_T3_mT4_P12ihipStream_tbEUlT_E0_NS1_11comp_targetILNS1_3genE2ELNS1_11target_archE906ELNS1_3gpuE6ELNS1_3repE0EEENS1_30default_config_static_selectorELNS0_4arch9wavefront6targetE0EEEvSM_, .Lfunc_end22-_ZN7rocprim17ROCPRIM_400000_NS6detail17trampoline_kernelINS0_14default_configENS1_22reduce_config_selectorIbEEZNS1_11reduce_implILb1ES3_N6hipcub16HIPCUB_304000_NS22TransformInputIteratorIb7NonZeroIaEPalEEPllNS8_6detail34convert_binary_result_type_wrapperINS8_3SumESD_lEEEE10hipError_tPvRmT1_T2_T3_mT4_P12ihipStream_tbEUlT_E0_NS1_11comp_targetILNS1_3genE2ELNS1_11target_archE906ELNS1_3gpuE6ELNS1_3repE0EEENS1_30default_config_static_selectorELNS0_4arch9wavefront6targetE0EEEvSM_
                                        ; -- End function
	.section	.AMDGPU.csdata,"",@progbits
; Kernel info:
; codeLenInByte = 0
; NumSgprs: 0
; NumVgprs: 0
; ScratchSize: 0
; MemoryBound: 0
; FloatMode: 240
; IeeeMode: 1
; LDSByteSize: 0 bytes/workgroup (compile time only)
; SGPRBlocks: 0
; VGPRBlocks: 0
; NumSGPRsForWavesPerEU: 1
; NumVGPRsForWavesPerEU: 1
; Occupancy: 16
; WaveLimiterHint : 0
; COMPUTE_PGM_RSRC2:SCRATCH_EN: 0
; COMPUTE_PGM_RSRC2:USER_SGPR: 15
; COMPUTE_PGM_RSRC2:TRAP_HANDLER: 0
; COMPUTE_PGM_RSRC2:TGID_X_EN: 1
; COMPUTE_PGM_RSRC2:TGID_Y_EN: 0
; COMPUTE_PGM_RSRC2:TGID_Z_EN: 0
; COMPUTE_PGM_RSRC2:TIDIG_COMP_CNT: 0
	.section	.text._ZN7rocprim17ROCPRIM_400000_NS6detail17trampoline_kernelINS0_14default_configENS1_22reduce_config_selectorIbEEZNS1_11reduce_implILb1ES3_N6hipcub16HIPCUB_304000_NS22TransformInputIteratorIb7NonZeroIaEPalEEPllNS8_6detail34convert_binary_result_type_wrapperINS8_3SumESD_lEEEE10hipError_tPvRmT1_T2_T3_mT4_P12ihipStream_tbEUlT_E0_NS1_11comp_targetILNS1_3genE10ELNS1_11target_archE1201ELNS1_3gpuE5ELNS1_3repE0EEENS1_30default_config_static_selectorELNS0_4arch9wavefront6targetE0EEEvSM_,"axG",@progbits,_ZN7rocprim17ROCPRIM_400000_NS6detail17trampoline_kernelINS0_14default_configENS1_22reduce_config_selectorIbEEZNS1_11reduce_implILb1ES3_N6hipcub16HIPCUB_304000_NS22TransformInputIteratorIb7NonZeroIaEPalEEPllNS8_6detail34convert_binary_result_type_wrapperINS8_3SumESD_lEEEE10hipError_tPvRmT1_T2_T3_mT4_P12ihipStream_tbEUlT_E0_NS1_11comp_targetILNS1_3genE10ELNS1_11target_archE1201ELNS1_3gpuE5ELNS1_3repE0EEENS1_30default_config_static_selectorELNS0_4arch9wavefront6targetE0EEEvSM_,comdat
	.protected	_ZN7rocprim17ROCPRIM_400000_NS6detail17trampoline_kernelINS0_14default_configENS1_22reduce_config_selectorIbEEZNS1_11reduce_implILb1ES3_N6hipcub16HIPCUB_304000_NS22TransformInputIteratorIb7NonZeroIaEPalEEPllNS8_6detail34convert_binary_result_type_wrapperINS8_3SumESD_lEEEE10hipError_tPvRmT1_T2_T3_mT4_P12ihipStream_tbEUlT_E0_NS1_11comp_targetILNS1_3genE10ELNS1_11target_archE1201ELNS1_3gpuE5ELNS1_3repE0EEENS1_30default_config_static_selectorELNS0_4arch9wavefront6targetE0EEEvSM_ ; -- Begin function _ZN7rocprim17ROCPRIM_400000_NS6detail17trampoline_kernelINS0_14default_configENS1_22reduce_config_selectorIbEEZNS1_11reduce_implILb1ES3_N6hipcub16HIPCUB_304000_NS22TransformInputIteratorIb7NonZeroIaEPalEEPllNS8_6detail34convert_binary_result_type_wrapperINS8_3SumESD_lEEEE10hipError_tPvRmT1_T2_T3_mT4_P12ihipStream_tbEUlT_E0_NS1_11comp_targetILNS1_3genE10ELNS1_11target_archE1201ELNS1_3gpuE5ELNS1_3repE0EEENS1_30default_config_static_selectorELNS0_4arch9wavefront6targetE0EEEvSM_
	.globl	_ZN7rocprim17ROCPRIM_400000_NS6detail17trampoline_kernelINS0_14default_configENS1_22reduce_config_selectorIbEEZNS1_11reduce_implILb1ES3_N6hipcub16HIPCUB_304000_NS22TransformInputIteratorIb7NonZeroIaEPalEEPllNS8_6detail34convert_binary_result_type_wrapperINS8_3SumESD_lEEEE10hipError_tPvRmT1_T2_T3_mT4_P12ihipStream_tbEUlT_E0_NS1_11comp_targetILNS1_3genE10ELNS1_11target_archE1201ELNS1_3gpuE5ELNS1_3repE0EEENS1_30default_config_static_selectorELNS0_4arch9wavefront6targetE0EEEvSM_
	.p2align	8
	.type	_ZN7rocprim17ROCPRIM_400000_NS6detail17trampoline_kernelINS0_14default_configENS1_22reduce_config_selectorIbEEZNS1_11reduce_implILb1ES3_N6hipcub16HIPCUB_304000_NS22TransformInputIteratorIb7NonZeroIaEPalEEPllNS8_6detail34convert_binary_result_type_wrapperINS8_3SumESD_lEEEE10hipError_tPvRmT1_T2_T3_mT4_P12ihipStream_tbEUlT_E0_NS1_11comp_targetILNS1_3genE10ELNS1_11target_archE1201ELNS1_3gpuE5ELNS1_3repE0EEENS1_30default_config_static_selectorELNS0_4arch9wavefront6targetE0EEEvSM_,@function
_ZN7rocprim17ROCPRIM_400000_NS6detail17trampoline_kernelINS0_14default_configENS1_22reduce_config_selectorIbEEZNS1_11reduce_implILb1ES3_N6hipcub16HIPCUB_304000_NS22TransformInputIteratorIb7NonZeroIaEPalEEPllNS8_6detail34convert_binary_result_type_wrapperINS8_3SumESD_lEEEE10hipError_tPvRmT1_T2_T3_mT4_P12ihipStream_tbEUlT_E0_NS1_11comp_targetILNS1_3genE10ELNS1_11target_archE1201ELNS1_3gpuE5ELNS1_3repE0EEENS1_30default_config_static_selectorELNS0_4arch9wavefront6targetE0EEEvSM_: ; @_ZN7rocprim17ROCPRIM_400000_NS6detail17trampoline_kernelINS0_14default_configENS1_22reduce_config_selectorIbEEZNS1_11reduce_implILb1ES3_N6hipcub16HIPCUB_304000_NS22TransformInputIteratorIb7NonZeroIaEPalEEPllNS8_6detail34convert_binary_result_type_wrapperINS8_3SumESD_lEEEE10hipError_tPvRmT1_T2_T3_mT4_P12ihipStream_tbEUlT_E0_NS1_11comp_targetILNS1_3genE10ELNS1_11target_archE1201ELNS1_3gpuE5ELNS1_3repE0EEENS1_30default_config_static_selectorELNS0_4arch9wavefront6targetE0EEEvSM_
; %bb.0:
	.section	.rodata,"a",@progbits
	.p2align	6, 0x0
	.amdhsa_kernel _ZN7rocprim17ROCPRIM_400000_NS6detail17trampoline_kernelINS0_14default_configENS1_22reduce_config_selectorIbEEZNS1_11reduce_implILb1ES3_N6hipcub16HIPCUB_304000_NS22TransformInputIteratorIb7NonZeroIaEPalEEPllNS8_6detail34convert_binary_result_type_wrapperINS8_3SumESD_lEEEE10hipError_tPvRmT1_T2_T3_mT4_P12ihipStream_tbEUlT_E0_NS1_11comp_targetILNS1_3genE10ELNS1_11target_archE1201ELNS1_3gpuE5ELNS1_3repE0EEENS1_30default_config_static_selectorELNS0_4arch9wavefront6targetE0EEEvSM_
		.amdhsa_group_segment_fixed_size 0
		.amdhsa_private_segment_fixed_size 0
		.amdhsa_kernarg_size 72
		.amdhsa_user_sgpr_count 15
		.amdhsa_user_sgpr_dispatch_ptr 0
		.amdhsa_user_sgpr_queue_ptr 0
		.amdhsa_user_sgpr_kernarg_segment_ptr 1
		.amdhsa_user_sgpr_dispatch_id 0
		.amdhsa_user_sgpr_private_segment_size 0
		.amdhsa_wavefront_size32 1
		.amdhsa_uses_dynamic_stack 0
		.amdhsa_enable_private_segment 0
		.amdhsa_system_sgpr_workgroup_id_x 1
		.amdhsa_system_sgpr_workgroup_id_y 0
		.amdhsa_system_sgpr_workgroup_id_z 0
		.amdhsa_system_sgpr_workgroup_info 0
		.amdhsa_system_vgpr_workitem_id 0
		.amdhsa_next_free_vgpr 1
		.amdhsa_next_free_sgpr 1
		.amdhsa_reserve_vcc 0
		.amdhsa_float_round_mode_32 0
		.amdhsa_float_round_mode_16_64 0
		.amdhsa_float_denorm_mode_32 3
		.amdhsa_float_denorm_mode_16_64 3
		.amdhsa_dx10_clamp 1
		.amdhsa_ieee_mode 1
		.amdhsa_fp16_overflow 0
		.amdhsa_workgroup_processor_mode 1
		.amdhsa_memory_ordered 1
		.amdhsa_forward_progress 0
		.amdhsa_shared_vgpr_count 0
		.amdhsa_exception_fp_ieee_invalid_op 0
		.amdhsa_exception_fp_denorm_src 0
		.amdhsa_exception_fp_ieee_div_zero 0
		.amdhsa_exception_fp_ieee_overflow 0
		.amdhsa_exception_fp_ieee_underflow 0
		.amdhsa_exception_fp_ieee_inexact 0
		.amdhsa_exception_int_div_zero 0
	.end_amdhsa_kernel
	.section	.text._ZN7rocprim17ROCPRIM_400000_NS6detail17trampoline_kernelINS0_14default_configENS1_22reduce_config_selectorIbEEZNS1_11reduce_implILb1ES3_N6hipcub16HIPCUB_304000_NS22TransformInputIteratorIb7NonZeroIaEPalEEPllNS8_6detail34convert_binary_result_type_wrapperINS8_3SumESD_lEEEE10hipError_tPvRmT1_T2_T3_mT4_P12ihipStream_tbEUlT_E0_NS1_11comp_targetILNS1_3genE10ELNS1_11target_archE1201ELNS1_3gpuE5ELNS1_3repE0EEENS1_30default_config_static_selectorELNS0_4arch9wavefront6targetE0EEEvSM_,"axG",@progbits,_ZN7rocprim17ROCPRIM_400000_NS6detail17trampoline_kernelINS0_14default_configENS1_22reduce_config_selectorIbEEZNS1_11reduce_implILb1ES3_N6hipcub16HIPCUB_304000_NS22TransformInputIteratorIb7NonZeroIaEPalEEPllNS8_6detail34convert_binary_result_type_wrapperINS8_3SumESD_lEEEE10hipError_tPvRmT1_T2_T3_mT4_P12ihipStream_tbEUlT_E0_NS1_11comp_targetILNS1_3genE10ELNS1_11target_archE1201ELNS1_3gpuE5ELNS1_3repE0EEENS1_30default_config_static_selectorELNS0_4arch9wavefront6targetE0EEEvSM_,comdat
.Lfunc_end23:
	.size	_ZN7rocprim17ROCPRIM_400000_NS6detail17trampoline_kernelINS0_14default_configENS1_22reduce_config_selectorIbEEZNS1_11reduce_implILb1ES3_N6hipcub16HIPCUB_304000_NS22TransformInputIteratorIb7NonZeroIaEPalEEPllNS8_6detail34convert_binary_result_type_wrapperINS8_3SumESD_lEEEE10hipError_tPvRmT1_T2_T3_mT4_P12ihipStream_tbEUlT_E0_NS1_11comp_targetILNS1_3genE10ELNS1_11target_archE1201ELNS1_3gpuE5ELNS1_3repE0EEENS1_30default_config_static_selectorELNS0_4arch9wavefront6targetE0EEEvSM_, .Lfunc_end23-_ZN7rocprim17ROCPRIM_400000_NS6detail17trampoline_kernelINS0_14default_configENS1_22reduce_config_selectorIbEEZNS1_11reduce_implILb1ES3_N6hipcub16HIPCUB_304000_NS22TransformInputIteratorIb7NonZeroIaEPalEEPllNS8_6detail34convert_binary_result_type_wrapperINS8_3SumESD_lEEEE10hipError_tPvRmT1_T2_T3_mT4_P12ihipStream_tbEUlT_E0_NS1_11comp_targetILNS1_3genE10ELNS1_11target_archE1201ELNS1_3gpuE5ELNS1_3repE0EEENS1_30default_config_static_selectorELNS0_4arch9wavefront6targetE0EEEvSM_
                                        ; -- End function
	.section	.AMDGPU.csdata,"",@progbits
; Kernel info:
; codeLenInByte = 0
; NumSgprs: 0
; NumVgprs: 0
; ScratchSize: 0
; MemoryBound: 0
; FloatMode: 240
; IeeeMode: 1
; LDSByteSize: 0 bytes/workgroup (compile time only)
; SGPRBlocks: 0
; VGPRBlocks: 0
; NumSGPRsForWavesPerEU: 1
; NumVGPRsForWavesPerEU: 1
; Occupancy: 16
; WaveLimiterHint : 0
; COMPUTE_PGM_RSRC2:SCRATCH_EN: 0
; COMPUTE_PGM_RSRC2:USER_SGPR: 15
; COMPUTE_PGM_RSRC2:TRAP_HANDLER: 0
; COMPUTE_PGM_RSRC2:TGID_X_EN: 1
; COMPUTE_PGM_RSRC2:TGID_Y_EN: 0
; COMPUTE_PGM_RSRC2:TGID_Z_EN: 0
; COMPUTE_PGM_RSRC2:TIDIG_COMP_CNT: 0
	.section	.text._ZN7rocprim17ROCPRIM_400000_NS6detail17trampoline_kernelINS0_14default_configENS1_22reduce_config_selectorIbEEZNS1_11reduce_implILb1ES3_N6hipcub16HIPCUB_304000_NS22TransformInputIteratorIb7NonZeroIaEPalEEPllNS8_6detail34convert_binary_result_type_wrapperINS8_3SumESD_lEEEE10hipError_tPvRmT1_T2_T3_mT4_P12ihipStream_tbEUlT_E0_NS1_11comp_targetILNS1_3genE10ELNS1_11target_archE1200ELNS1_3gpuE4ELNS1_3repE0EEENS1_30default_config_static_selectorELNS0_4arch9wavefront6targetE0EEEvSM_,"axG",@progbits,_ZN7rocprim17ROCPRIM_400000_NS6detail17trampoline_kernelINS0_14default_configENS1_22reduce_config_selectorIbEEZNS1_11reduce_implILb1ES3_N6hipcub16HIPCUB_304000_NS22TransformInputIteratorIb7NonZeroIaEPalEEPllNS8_6detail34convert_binary_result_type_wrapperINS8_3SumESD_lEEEE10hipError_tPvRmT1_T2_T3_mT4_P12ihipStream_tbEUlT_E0_NS1_11comp_targetILNS1_3genE10ELNS1_11target_archE1200ELNS1_3gpuE4ELNS1_3repE0EEENS1_30default_config_static_selectorELNS0_4arch9wavefront6targetE0EEEvSM_,comdat
	.protected	_ZN7rocprim17ROCPRIM_400000_NS6detail17trampoline_kernelINS0_14default_configENS1_22reduce_config_selectorIbEEZNS1_11reduce_implILb1ES3_N6hipcub16HIPCUB_304000_NS22TransformInputIteratorIb7NonZeroIaEPalEEPllNS8_6detail34convert_binary_result_type_wrapperINS8_3SumESD_lEEEE10hipError_tPvRmT1_T2_T3_mT4_P12ihipStream_tbEUlT_E0_NS1_11comp_targetILNS1_3genE10ELNS1_11target_archE1200ELNS1_3gpuE4ELNS1_3repE0EEENS1_30default_config_static_selectorELNS0_4arch9wavefront6targetE0EEEvSM_ ; -- Begin function _ZN7rocprim17ROCPRIM_400000_NS6detail17trampoline_kernelINS0_14default_configENS1_22reduce_config_selectorIbEEZNS1_11reduce_implILb1ES3_N6hipcub16HIPCUB_304000_NS22TransformInputIteratorIb7NonZeroIaEPalEEPllNS8_6detail34convert_binary_result_type_wrapperINS8_3SumESD_lEEEE10hipError_tPvRmT1_T2_T3_mT4_P12ihipStream_tbEUlT_E0_NS1_11comp_targetILNS1_3genE10ELNS1_11target_archE1200ELNS1_3gpuE4ELNS1_3repE0EEENS1_30default_config_static_selectorELNS0_4arch9wavefront6targetE0EEEvSM_
	.globl	_ZN7rocprim17ROCPRIM_400000_NS6detail17trampoline_kernelINS0_14default_configENS1_22reduce_config_selectorIbEEZNS1_11reduce_implILb1ES3_N6hipcub16HIPCUB_304000_NS22TransformInputIteratorIb7NonZeroIaEPalEEPllNS8_6detail34convert_binary_result_type_wrapperINS8_3SumESD_lEEEE10hipError_tPvRmT1_T2_T3_mT4_P12ihipStream_tbEUlT_E0_NS1_11comp_targetILNS1_3genE10ELNS1_11target_archE1200ELNS1_3gpuE4ELNS1_3repE0EEENS1_30default_config_static_selectorELNS0_4arch9wavefront6targetE0EEEvSM_
	.p2align	8
	.type	_ZN7rocprim17ROCPRIM_400000_NS6detail17trampoline_kernelINS0_14default_configENS1_22reduce_config_selectorIbEEZNS1_11reduce_implILb1ES3_N6hipcub16HIPCUB_304000_NS22TransformInputIteratorIb7NonZeroIaEPalEEPllNS8_6detail34convert_binary_result_type_wrapperINS8_3SumESD_lEEEE10hipError_tPvRmT1_T2_T3_mT4_P12ihipStream_tbEUlT_E0_NS1_11comp_targetILNS1_3genE10ELNS1_11target_archE1200ELNS1_3gpuE4ELNS1_3repE0EEENS1_30default_config_static_selectorELNS0_4arch9wavefront6targetE0EEEvSM_,@function
_ZN7rocprim17ROCPRIM_400000_NS6detail17trampoline_kernelINS0_14default_configENS1_22reduce_config_selectorIbEEZNS1_11reduce_implILb1ES3_N6hipcub16HIPCUB_304000_NS22TransformInputIteratorIb7NonZeroIaEPalEEPllNS8_6detail34convert_binary_result_type_wrapperINS8_3SumESD_lEEEE10hipError_tPvRmT1_T2_T3_mT4_P12ihipStream_tbEUlT_E0_NS1_11comp_targetILNS1_3genE10ELNS1_11target_archE1200ELNS1_3gpuE4ELNS1_3repE0EEENS1_30default_config_static_selectorELNS0_4arch9wavefront6targetE0EEEvSM_: ; @_ZN7rocprim17ROCPRIM_400000_NS6detail17trampoline_kernelINS0_14default_configENS1_22reduce_config_selectorIbEEZNS1_11reduce_implILb1ES3_N6hipcub16HIPCUB_304000_NS22TransformInputIteratorIb7NonZeroIaEPalEEPllNS8_6detail34convert_binary_result_type_wrapperINS8_3SumESD_lEEEE10hipError_tPvRmT1_T2_T3_mT4_P12ihipStream_tbEUlT_E0_NS1_11comp_targetILNS1_3genE10ELNS1_11target_archE1200ELNS1_3gpuE4ELNS1_3repE0EEENS1_30default_config_static_selectorELNS0_4arch9wavefront6targetE0EEEvSM_
; %bb.0:
	.section	.rodata,"a",@progbits
	.p2align	6, 0x0
	.amdhsa_kernel _ZN7rocprim17ROCPRIM_400000_NS6detail17trampoline_kernelINS0_14default_configENS1_22reduce_config_selectorIbEEZNS1_11reduce_implILb1ES3_N6hipcub16HIPCUB_304000_NS22TransformInputIteratorIb7NonZeroIaEPalEEPllNS8_6detail34convert_binary_result_type_wrapperINS8_3SumESD_lEEEE10hipError_tPvRmT1_T2_T3_mT4_P12ihipStream_tbEUlT_E0_NS1_11comp_targetILNS1_3genE10ELNS1_11target_archE1200ELNS1_3gpuE4ELNS1_3repE0EEENS1_30default_config_static_selectorELNS0_4arch9wavefront6targetE0EEEvSM_
		.amdhsa_group_segment_fixed_size 0
		.amdhsa_private_segment_fixed_size 0
		.amdhsa_kernarg_size 72
		.amdhsa_user_sgpr_count 15
		.amdhsa_user_sgpr_dispatch_ptr 0
		.amdhsa_user_sgpr_queue_ptr 0
		.amdhsa_user_sgpr_kernarg_segment_ptr 1
		.amdhsa_user_sgpr_dispatch_id 0
		.amdhsa_user_sgpr_private_segment_size 0
		.amdhsa_wavefront_size32 1
		.amdhsa_uses_dynamic_stack 0
		.amdhsa_enable_private_segment 0
		.amdhsa_system_sgpr_workgroup_id_x 1
		.amdhsa_system_sgpr_workgroup_id_y 0
		.amdhsa_system_sgpr_workgroup_id_z 0
		.amdhsa_system_sgpr_workgroup_info 0
		.amdhsa_system_vgpr_workitem_id 0
		.amdhsa_next_free_vgpr 1
		.amdhsa_next_free_sgpr 1
		.amdhsa_reserve_vcc 0
		.amdhsa_float_round_mode_32 0
		.amdhsa_float_round_mode_16_64 0
		.amdhsa_float_denorm_mode_32 3
		.amdhsa_float_denorm_mode_16_64 3
		.amdhsa_dx10_clamp 1
		.amdhsa_ieee_mode 1
		.amdhsa_fp16_overflow 0
		.amdhsa_workgroup_processor_mode 1
		.amdhsa_memory_ordered 1
		.amdhsa_forward_progress 0
		.amdhsa_shared_vgpr_count 0
		.amdhsa_exception_fp_ieee_invalid_op 0
		.amdhsa_exception_fp_denorm_src 0
		.amdhsa_exception_fp_ieee_div_zero 0
		.amdhsa_exception_fp_ieee_overflow 0
		.amdhsa_exception_fp_ieee_underflow 0
		.amdhsa_exception_fp_ieee_inexact 0
		.amdhsa_exception_int_div_zero 0
	.end_amdhsa_kernel
	.section	.text._ZN7rocprim17ROCPRIM_400000_NS6detail17trampoline_kernelINS0_14default_configENS1_22reduce_config_selectorIbEEZNS1_11reduce_implILb1ES3_N6hipcub16HIPCUB_304000_NS22TransformInputIteratorIb7NonZeroIaEPalEEPllNS8_6detail34convert_binary_result_type_wrapperINS8_3SumESD_lEEEE10hipError_tPvRmT1_T2_T3_mT4_P12ihipStream_tbEUlT_E0_NS1_11comp_targetILNS1_3genE10ELNS1_11target_archE1200ELNS1_3gpuE4ELNS1_3repE0EEENS1_30default_config_static_selectorELNS0_4arch9wavefront6targetE0EEEvSM_,"axG",@progbits,_ZN7rocprim17ROCPRIM_400000_NS6detail17trampoline_kernelINS0_14default_configENS1_22reduce_config_selectorIbEEZNS1_11reduce_implILb1ES3_N6hipcub16HIPCUB_304000_NS22TransformInputIteratorIb7NonZeroIaEPalEEPllNS8_6detail34convert_binary_result_type_wrapperINS8_3SumESD_lEEEE10hipError_tPvRmT1_T2_T3_mT4_P12ihipStream_tbEUlT_E0_NS1_11comp_targetILNS1_3genE10ELNS1_11target_archE1200ELNS1_3gpuE4ELNS1_3repE0EEENS1_30default_config_static_selectorELNS0_4arch9wavefront6targetE0EEEvSM_,comdat
.Lfunc_end24:
	.size	_ZN7rocprim17ROCPRIM_400000_NS6detail17trampoline_kernelINS0_14default_configENS1_22reduce_config_selectorIbEEZNS1_11reduce_implILb1ES3_N6hipcub16HIPCUB_304000_NS22TransformInputIteratorIb7NonZeroIaEPalEEPllNS8_6detail34convert_binary_result_type_wrapperINS8_3SumESD_lEEEE10hipError_tPvRmT1_T2_T3_mT4_P12ihipStream_tbEUlT_E0_NS1_11comp_targetILNS1_3genE10ELNS1_11target_archE1200ELNS1_3gpuE4ELNS1_3repE0EEENS1_30default_config_static_selectorELNS0_4arch9wavefront6targetE0EEEvSM_, .Lfunc_end24-_ZN7rocprim17ROCPRIM_400000_NS6detail17trampoline_kernelINS0_14default_configENS1_22reduce_config_selectorIbEEZNS1_11reduce_implILb1ES3_N6hipcub16HIPCUB_304000_NS22TransformInputIteratorIb7NonZeroIaEPalEEPllNS8_6detail34convert_binary_result_type_wrapperINS8_3SumESD_lEEEE10hipError_tPvRmT1_T2_T3_mT4_P12ihipStream_tbEUlT_E0_NS1_11comp_targetILNS1_3genE10ELNS1_11target_archE1200ELNS1_3gpuE4ELNS1_3repE0EEENS1_30default_config_static_selectorELNS0_4arch9wavefront6targetE0EEEvSM_
                                        ; -- End function
	.section	.AMDGPU.csdata,"",@progbits
; Kernel info:
; codeLenInByte = 0
; NumSgprs: 0
; NumVgprs: 0
; ScratchSize: 0
; MemoryBound: 0
; FloatMode: 240
; IeeeMode: 1
; LDSByteSize: 0 bytes/workgroup (compile time only)
; SGPRBlocks: 0
; VGPRBlocks: 0
; NumSGPRsForWavesPerEU: 1
; NumVGPRsForWavesPerEU: 1
; Occupancy: 16
; WaveLimiterHint : 0
; COMPUTE_PGM_RSRC2:SCRATCH_EN: 0
; COMPUTE_PGM_RSRC2:USER_SGPR: 15
; COMPUTE_PGM_RSRC2:TRAP_HANDLER: 0
; COMPUTE_PGM_RSRC2:TGID_X_EN: 1
; COMPUTE_PGM_RSRC2:TGID_Y_EN: 0
; COMPUTE_PGM_RSRC2:TGID_Z_EN: 0
; COMPUTE_PGM_RSRC2:TIDIG_COMP_CNT: 0
	.section	.text._ZN7rocprim17ROCPRIM_400000_NS6detail17trampoline_kernelINS0_14default_configENS1_22reduce_config_selectorIbEEZNS1_11reduce_implILb1ES3_N6hipcub16HIPCUB_304000_NS22TransformInputIteratorIb7NonZeroIaEPalEEPllNS8_6detail34convert_binary_result_type_wrapperINS8_3SumESD_lEEEE10hipError_tPvRmT1_T2_T3_mT4_P12ihipStream_tbEUlT_E0_NS1_11comp_targetILNS1_3genE9ELNS1_11target_archE1100ELNS1_3gpuE3ELNS1_3repE0EEENS1_30default_config_static_selectorELNS0_4arch9wavefront6targetE0EEEvSM_,"axG",@progbits,_ZN7rocprim17ROCPRIM_400000_NS6detail17trampoline_kernelINS0_14default_configENS1_22reduce_config_selectorIbEEZNS1_11reduce_implILb1ES3_N6hipcub16HIPCUB_304000_NS22TransformInputIteratorIb7NonZeroIaEPalEEPllNS8_6detail34convert_binary_result_type_wrapperINS8_3SumESD_lEEEE10hipError_tPvRmT1_T2_T3_mT4_P12ihipStream_tbEUlT_E0_NS1_11comp_targetILNS1_3genE9ELNS1_11target_archE1100ELNS1_3gpuE3ELNS1_3repE0EEENS1_30default_config_static_selectorELNS0_4arch9wavefront6targetE0EEEvSM_,comdat
	.protected	_ZN7rocprim17ROCPRIM_400000_NS6detail17trampoline_kernelINS0_14default_configENS1_22reduce_config_selectorIbEEZNS1_11reduce_implILb1ES3_N6hipcub16HIPCUB_304000_NS22TransformInputIteratorIb7NonZeroIaEPalEEPllNS8_6detail34convert_binary_result_type_wrapperINS8_3SumESD_lEEEE10hipError_tPvRmT1_T2_T3_mT4_P12ihipStream_tbEUlT_E0_NS1_11comp_targetILNS1_3genE9ELNS1_11target_archE1100ELNS1_3gpuE3ELNS1_3repE0EEENS1_30default_config_static_selectorELNS0_4arch9wavefront6targetE0EEEvSM_ ; -- Begin function _ZN7rocprim17ROCPRIM_400000_NS6detail17trampoline_kernelINS0_14default_configENS1_22reduce_config_selectorIbEEZNS1_11reduce_implILb1ES3_N6hipcub16HIPCUB_304000_NS22TransformInputIteratorIb7NonZeroIaEPalEEPllNS8_6detail34convert_binary_result_type_wrapperINS8_3SumESD_lEEEE10hipError_tPvRmT1_T2_T3_mT4_P12ihipStream_tbEUlT_E0_NS1_11comp_targetILNS1_3genE9ELNS1_11target_archE1100ELNS1_3gpuE3ELNS1_3repE0EEENS1_30default_config_static_selectorELNS0_4arch9wavefront6targetE0EEEvSM_
	.globl	_ZN7rocprim17ROCPRIM_400000_NS6detail17trampoline_kernelINS0_14default_configENS1_22reduce_config_selectorIbEEZNS1_11reduce_implILb1ES3_N6hipcub16HIPCUB_304000_NS22TransformInputIteratorIb7NonZeroIaEPalEEPllNS8_6detail34convert_binary_result_type_wrapperINS8_3SumESD_lEEEE10hipError_tPvRmT1_T2_T3_mT4_P12ihipStream_tbEUlT_E0_NS1_11comp_targetILNS1_3genE9ELNS1_11target_archE1100ELNS1_3gpuE3ELNS1_3repE0EEENS1_30default_config_static_selectorELNS0_4arch9wavefront6targetE0EEEvSM_
	.p2align	8
	.type	_ZN7rocprim17ROCPRIM_400000_NS6detail17trampoline_kernelINS0_14default_configENS1_22reduce_config_selectorIbEEZNS1_11reduce_implILb1ES3_N6hipcub16HIPCUB_304000_NS22TransformInputIteratorIb7NonZeroIaEPalEEPllNS8_6detail34convert_binary_result_type_wrapperINS8_3SumESD_lEEEE10hipError_tPvRmT1_T2_T3_mT4_P12ihipStream_tbEUlT_E0_NS1_11comp_targetILNS1_3genE9ELNS1_11target_archE1100ELNS1_3gpuE3ELNS1_3repE0EEENS1_30default_config_static_selectorELNS0_4arch9wavefront6targetE0EEEvSM_,@function
_ZN7rocprim17ROCPRIM_400000_NS6detail17trampoline_kernelINS0_14default_configENS1_22reduce_config_selectorIbEEZNS1_11reduce_implILb1ES3_N6hipcub16HIPCUB_304000_NS22TransformInputIteratorIb7NonZeroIaEPalEEPllNS8_6detail34convert_binary_result_type_wrapperINS8_3SumESD_lEEEE10hipError_tPvRmT1_T2_T3_mT4_P12ihipStream_tbEUlT_E0_NS1_11comp_targetILNS1_3genE9ELNS1_11target_archE1100ELNS1_3gpuE3ELNS1_3repE0EEENS1_30default_config_static_selectorELNS0_4arch9wavefront6targetE0EEEvSM_: ; @_ZN7rocprim17ROCPRIM_400000_NS6detail17trampoline_kernelINS0_14default_configENS1_22reduce_config_selectorIbEEZNS1_11reduce_implILb1ES3_N6hipcub16HIPCUB_304000_NS22TransformInputIteratorIb7NonZeroIaEPalEEPllNS8_6detail34convert_binary_result_type_wrapperINS8_3SumESD_lEEEE10hipError_tPvRmT1_T2_T3_mT4_P12ihipStream_tbEUlT_E0_NS1_11comp_targetILNS1_3genE9ELNS1_11target_archE1100ELNS1_3gpuE3ELNS1_3repE0EEENS1_30default_config_static_selectorELNS0_4arch9wavefront6targetE0EEEvSM_
; %bb.0:
	s_clause 0x2
	s_load_b64 s[2:3], s[0:1], 0x0
	s_load_b256 s[16:23], s[0:1], 0x10
	s_load_b128 s[24:27], s[0:1], 0x30
	v_mbcnt_lo_u32_b32 v33, -1, 0
	s_mov_b32 s28, s15
	s_mov_b32 s29, 0
	s_waitcnt lgkmcnt(0)
	s_add_u32 s0, s2, s16
	s_addc_u32 s4, s3, s17
	s_lshl_b32 s1, s15, 11
	s_lshr_b64 s[2:3], s[18:19], 11
	s_add_u32 s14, s0, s1
	s_addc_u32 s15, s4, 0
	s_cmp_lg_u64 s[2:3], s[28:29]
	s_cbranch_scc0 .LBB25_6
; %bb.1:
	s_clause 0xf
	global_load_u8 v1, v0, s[14:15]
	global_load_u8 v2, v0, s[14:15] offset:128
	global_load_u8 v3, v0, s[14:15] offset:256
	;; [unrolled: 1-line block ×15, first 2 shown]
	s_waitcnt vmcnt(15)
	v_cmp_ne_u16_e32 vcc_lo, 0, v1
	v_cndmask_b32_e64 v1, 0, 1, vcc_lo
	s_waitcnt vmcnt(14)
	v_cmp_ne_u16_e32 vcc_lo, 0, v2
	v_cndmask_b32_e64 v2, 0, 1, vcc_lo
	s_waitcnt vmcnt(13)
	v_cmp_ne_u16_e32 vcc_lo, 0, v3
	s_delay_alu instid0(VALU_DEP_2)
	v_add_co_u32 v1, s0, v2, v1
	v_cndmask_b32_e64 v3, 0, 1, vcc_lo
	s_waitcnt vmcnt(12)
	v_cmp_ne_u16_e32 vcc_lo, 0, v4
	v_add_co_ci_u32_e64 v4, null, 0, 0, s0
	s_waitcnt vmcnt(11)
	v_cmp_ne_u16_e64 s0, 0, v5
	v_cndmask_b32_e64 v2, 0, 1, vcc_lo
	v_add_co_u32 v1, vcc_lo, v1, v3
	v_add_co_ci_u32_e32 v4, vcc_lo, 0, v4, vcc_lo
	s_delay_alu instid0(VALU_DEP_4) | instskip(NEXT) | instid1(VALU_DEP_3)
	v_cndmask_b32_e64 v3, 0, 1, s0
	v_add_co_u32 v1, vcc_lo, v1, v2
	s_waitcnt vmcnt(10)
	v_cmp_ne_u16_e64 s0, 0, v6
	v_add_co_ci_u32_e32 v4, vcc_lo, 0, v4, vcc_lo
	s_delay_alu instid0(VALU_DEP_3) | instskip(NEXT) | instid1(VALU_DEP_3)
	v_add_co_u32 v1, vcc_lo, v1, v3
	v_cndmask_b32_e64 v2, 0, 1, s0
	s_waitcnt vmcnt(9)
	v_cmp_ne_u16_e64 s0, 0, v7
	v_add_co_ci_u32_e32 v4, vcc_lo, 0, v4, vcc_lo
	s_delay_alu instid0(VALU_DEP_3) | instskip(NEXT) | instid1(VALU_DEP_3)
	v_add_co_u32 v1, vcc_lo, v1, v2
	v_cndmask_b32_e64 v3, 0, 1, s0
	;; [unrolled: 6-line block ×11, first 2 shown]
	s_delay_alu instid0(VALU_DEP_3) | instskip(SKIP_2) | instid1(VALU_DEP_3)
	v_add_co_ci_u32_e32 v3, vcc_lo, 0, v4, vcc_lo
	v_mov_b32_e32 v4, 0
	s_mov_b32 s0, exec_lo
	v_add_co_u32 v1, vcc_lo, v1, v2
	s_delay_alu instid0(VALU_DEP_3) | instskip(NEXT) | instid1(VALU_DEP_2)
	v_add_co_ci_u32_e32 v2, vcc_lo, 0, v3, vcc_lo
	v_mov_b32_dpp v3, v1 quad_perm:[1,0,3,2] row_mask:0xf bank_mask:0xf
	s_delay_alu instid0(VALU_DEP_1) | instskip(SKIP_1) | instid1(VALU_DEP_4)
	v_add_co_u32 v1, vcc_lo, v1, v3
	v_mov_b32_dpp v3, v4 quad_perm:[1,0,3,2] row_mask:0xf bank_mask:0xf
	v_add_co_ci_u32_e32 v2, vcc_lo, 0, v2, vcc_lo
	s_delay_alu instid0(VALU_DEP_3) | instskip(SKIP_1) | instid1(VALU_DEP_3)
	v_mov_b32_dpp v5, v1 quad_perm:[2,3,0,1] row_mask:0xf bank_mask:0xf
	v_add_co_u32 v1, vcc_lo, 0, v1
	v_add_co_ci_u32_e32 v2, vcc_lo, v3, v2, vcc_lo
	s_delay_alu instid0(VALU_DEP_2) | instskip(NEXT) | instid1(VALU_DEP_2)
	v_add_co_u32 v1, vcc_lo, v1, v5
	v_mov_b32_dpp v3, v2 quad_perm:[2,3,0,1] row_mask:0xf bank_mask:0xf
	v_add_co_ci_u32_e32 v2, vcc_lo, 0, v2, vcc_lo
	s_delay_alu instid0(VALU_DEP_3) | instskip(SKIP_1) | instid1(VALU_DEP_3)
	v_mov_b32_dpp v5, v1 row_ror:4 row_mask:0xf bank_mask:0xf
	v_add_co_u32 v1, vcc_lo, v1, 0
	v_add_co_ci_u32_e32 v2, vcc_lo, v2, v3, vcc_lo
	s_delay_alu instid0(VALU_DEP_2) | instskip(NEXT) | instid1(VALU_DEP_2)
	v_add_co_u32 v1, vcc_lo, v1, v5
	v_mov_b32_dpp v3, v2 row_ror:4 row_mask:0xf bank_mask:0xf
	v_add_co_ci_u32_e32 v2, vcc_lo, 0, v2, vcc_lo
	s_delay_alu instid0(VALU_DEP_3) | instskip(SKIP_1) | instid1(VALU_DEP_3)
	v_mov_b32_dpp v5, v1 row_ror:8 row_mask:0xf bank_mask:0xf
	v_add_co_u32 v1, vcc_lo, v1, 0
	v_add_co_ci_u32_e32 v2, vcc_lo, v2, v3, vcc_lo
	s_delay_alu instid0(VALU_DEP_2) | instskip(NEXT) | instid1(VALU_DEP_2)
	v_add_co_u32 v1, vcc_lo, v1, v5
	v_mov_b32_dpp v3, v2 row_ror:8 row_mask:0xf bank_mask:0xf
	v_add_co_ci_u32_e32 v2, vcc_lo, 0, v2, vcc_lo
	ds_swizzle_b32 v5, v1 offset:swizzle(BROADCAST,32,15)
	v_add_co_u32 v1, vcc_lo, v1, 0
	v_add_co_ci_u32_e32 v2, vcc_lo, v2, v3, vcc_lo
	ds_swizzle_b32 v3, v2 offset:swizzle(BROADCAST,32,15)
	s_waitcnt lgkmcnt(1)
	v_add_co_u32 v1, vcc_lo, v1, v5
	v_add_co_ci_u32_e32 v2, vcc_lo, 0, v2, vcc_lo
	ds_bpermute_b32 v1, v4, v1 offset:124
	s_waitcnt lgkmcnt(1)
	v_add_nc_u32_e32 v2, v3, v2
	ds_bpermute_b32 v2, v4, v2 offset:124
	v_cmpx_eq_u32_e32 0, v33
	s_cbranch_execz .LBB25_3
; %bb.2:
	v_lshrrev_b32_e32 v3, 2, v0
	s_delay_alu instid0(VALU_DEP_1)
	v_and_b32_e32 v3, 24, v3
	s_waitcnt lgkmcnt(0)
	ds_store_b64 v3, v[1:2]
.LBB25_3:
	s_or_b32 exec_lo, exec_lo, s0
	s_delay_alu instid0(SALU_CYCLE_1)
	s_mov_b32 s0, exec_lo
	s_waitcnt lgkmcnt(0)
	s_barrier
	buffer_gl0_inv
	v_cmpx_gt_u32_e32 32, v0
	s_cbranch_execz .LBB25_5
; %bb.4:
	v_and_b32_e32 v3, 3, v33
	s_delay_alu instid0(VALU_DEP_1) | instskip(SKIP_4) | instid1(VALU_DEP_2)
	v_lshlrev_b32_e32 v1, 3, v3
	v_cmp_ne_u32_e32 vcc_lo, 3, v3
	ds_load_b64 v[1:2], v1
	v_add_co_ci_u32_e32 v4, vcc_lo, 0, v33, vcc_lo
	v_cmp_gt_u32_e32 vcc_lo, 2, v3
	v_lshlrev_b32_e32 v4, 2, v4
	v_cndmask_b32_e64 v3, 0, 1, vcc_lo
	s_delay_alu instid0(VALU_DEP_1) | instskip(NEXT) | instid1(VALU_DEP_1)
	v_lshlrev_b32_e32 v3, 1, v3
	v_add_lshl_u32 v3, v3, v33, 2
	s_waitcnt lgkmcnt(0)
	ds_bpermute_b32 v5, v4, v1
	ds_bpermute_b32 v4, v4, v2
	s_waitcnt lgkmcnt(1)
	v_add_co_u32 v1, vcc_lo, v1, v5
	v_add_co_ci_u32_e32 v2, vcc_lo, 0, v2, vcc_lo
	ds_bpermute_b32 v5, v3, v1
	v_add_co_u32 v1, vcc_lo, 0, v1
	s_waitcnt lgkmcnt(1)
	v_add_co_ci_u32_e32 v2, vcc_lo, v4, v2, vcc_lo
	ds_bpermute_b32 v3, v3, v2
	s_waitcnt lgkmcnt(1)
	v_add_co_u32 v1, vcc_lo, v1, v5
	v_add_co_ci_u32_e32 v2, vcc_lo, 0, v2, vcc_lo
	s_delay_alu instid0(VALU_DEP_2) | instskip(SKIP_1) | instid1(VALU_DEP_2)
	v_add_co_u32 v1, vcc_lo, v1, 0
	s_waitcnt lgkmcnt(0)
	v_add_co_ci_u32_e32 v2, vcc_lo, v2, v3, vcc_lo
.LBB25_5:
	s_or_b32 exec_lo, exec_lo, s0
	s_branch .LBB25_58
.LBB25_6:
                                        ; implicit-def: $vgpr1_vgpr2
	s_cbranch_execz .LBB25_58
; %bb.7:
	s_sub_i32 s16, s18, s1
	s_mov_b32 s0, exec_lo
                                        ; implicit-def: $vgpr1_vgpr2_vgpr3_vgpr4_vgpr5_vgpr6_vgpr7_vgpr8_vgpr9_vgpr10_vgpr11_vgpr12_vgpr13_vgpr14_vgpr15_vgpr16_vgpr17_vgpr18_vgpr19_vgpr20_vgpr21_vgpr22_vgpr23_vgpr24_vgpr25_vgpr26_vgpr27_vgpr28_vgpr29_vgpr30_vgpr31_vgpr32
	v_cmpx_gt_u32_e64 s16, v0
	s_cbranch_execz .LBB25_9
; %bb.8:
	global_load_u8 v1, v0, s[14:15]
	v_mov_b32_e32 v2, 0
	s_waitcnt vmcnt(0)
	v_cmp_ne_u16_e32 vcc_lo, 0, v1
	v_cndmask_b32_e64 v1, 0, 1, vcc_lo
.LBB25_9:
	s_or_b32 exec_lo, exec_lo, s0
	v_or_b32_e32 v34, 0x80, v0
	s_delay_alu instid0(VALU_DEP_1)
	v_cmp_gt_u32_e32 vcc_lo, s16, v34
	s_and_saveexec_b32 s1, vcc_lo
	s_cbranch_execz .LBB25_11
; %bb.10:
	global_load_u8 v3, v0, s[14:15] offset:128
	v_mov_b32_e32 v4, 0
	s_waitcnt vmcnt(0)
	v_cmp_ne_u16_e64 s0, 0, v3
	s_delay_alu instid0(VALU_DEP_1)
	v_cndmask_b32_e64 v3, 0, 1, s0
.LBB25_11:
	s_or_b32 exec_lo, exec_lo, s1
	v_or_b32_e32 v34, 0x100, v0
	s_delay_alu instid0(VALU_DEP_1) | instskip(NEXT) | instid1(VALU_DEP_1)
	v_cmp_gt_u32_e64 s0, s16, v34
	s_and_saveexec_b32 s2, s0
	s_cbranch_execz .LBB25_13
; %bb.12:
	global_load_u8 v5, v0, s[14:15] offset:256
	v_mov_b32_e32 v6, 0
	s_waitcnt vmcnt(0)
	v_cmp_ne_u16_e64 s1, 0, v5
	s_delay_alu instid0(VALU_DEP_1)
	v_cndmask_b32_e64 v5, 0, 1, s1
.LBB25_13:
	s_or_b32 exec_lo, exec_lo, s2
	v_or_b32_e32 v34, 0x180, v0
	s_delay_alu instid0(VALU_DEP_1) | instskip(NEXT) | instid1(VALU_DEP_1)
	v_cmp_gt_u32_e64 s1, s16, v34
	s_and_saveexec_b32 s3, s1
	;; [unrolled: 14-line block ×14, first 2 shown]
	s_cbranch_execz .LBB25_39
; %bb.38:
	global_load_u8 v31, v0, s[14:15] offset:1920
	v_mov_b32_e32 v32, 0
	s_waitcnt vmcnt(0)
	v_cmp_ne_u16_e64 s14, 0, v31
	s_delay_alu instid0(VALU_DEP_1)
	v_cndmask_b32_e64 v31, 0, 1, s14
.LBB25_39:
	s_or_b32 exec_lo, exec_lo, s17
	v_dual_cndmask_b32 v3, 0, v3 :: v_dual_cndmask_b32 v4, 0, v4
	v_cndmask_b32_e64 v5, 0, v5, s0
	v_cndmask_b32_e64 v6, 0, v6, s0
	s_min_u32 s0, s16, 0x80
	s_delay_alu instid0(VALU_DEP_3) | instskip(SKIP_2) | instid1(VALU_DEP_3)
	v_add_co_u32 v1, vcc_lo, v3, v1
	v_add_co_ci_u32_e32 v2, vcc_lo, v4, v2, vcc_lo
	v_cndmask_b32_e64 v3, 0, v7, s1
	v_add_co_u32 v1, vcc_lo, v1, v5
	s_delay_alu instid0(VALU_DEP_3) | instskip(SKIP_2) | instid1(VALU_DEP_4)
	v_add_co_ci_u32_e32 v2, vcc_lo, v2, v6, vcc_lo
	v_cndmask_b32_e64 v4, 0, v8, s1
	v_cndmask_b32_e64 v5, 0, v9, s2
	v_add_co_u32 v1, vcc_lo, v1, v3
	v_cndmask_b32_e64 v3, 0, v10, s2
	s_delay_alu instid0(VALU_DEP_4) | instskip(SKIP_1) | instid1(VALU_DEP_4)
	v_add_co_ci_u32_e32 v2, vcc_lo, v2, v4, vcc_lo
	v_cndmask_b32_e64 v4, 0, v11, s3
	v_add_co_u32 v1, vcc_lo, v1, v5
	s_delay_alu instid0(VALU_DEP_3) | instskip(SKIP_2) | instid1(VALU_DEP_4)
	v_add_co_ci_u32_e32 v2, vcc_lo, v2, v3, vcc_lo
	v_cndmask_b32_e64 v3, 0, v12, s3
	v_cndmask_b32_e64 v5, 0, v13, s4
	v_add_co_u32 v1, vcc_lo, v1, v4
	v_cndmask_b32_e64 v4, 0, v15, s5
	s_delay_alu instid0(VALU_DEP_4) | instskip(SKIP_1) | instid1(VALU_DEP_4)
	v_add_co_ci_u32_e32 v2, vcc_lo, v2, v3, vcc_lo
	v_cndmask_b32_e64 v3, 0, v14, s4
	v_add_co_u32 v1, vcc_lo, v1, v5
	v_cndmask_b32_e64 v5, 0, v17, s6
	s_delay_alu instid0(VALU_DEP_3) | instskip(SKIP_1) | instid1(VALU_DEP_4)
	v_add_co_ci_u32_e32 v2, vcc_lo, v2, v3, vcc_lo
	v_cndmask_b32_e64 v3, 0, v16, s5
	v_add_co_u32 v1, vcc_lo, v1, v4
	v_cndmask_b32_e64 v4, 0, v19, s7
	s_delay_alu instid0(VALU_DEP_3) | instskip(SKIP_1) | instid1(VALU_DEP_4)
	;; [unrolled: 5-line block ×7, first 2 shown]
	v_add_co_ci_u32_e32 v2, vcc_lo, v2, v3, vcc_lo
	v_cndmask_b32_e64 v3, 0, v28, s11
	v_add_co_u32 v1, vcc_lo, v1, v4
	v_cndmask_b32_e64 v4, 0, v29, s12
	s_delay_alu instid0(VALU_DEP_3) | instskip(SKIP_4) | instid1(VALU_DEP_3)
	v_add_co_ci_u32_e32 v2, vcc_lo, v2, v3, vcc_lo
	v_cmp_ne_u32_e32 vcc_lo, 31, v33
	v_cndmask_b32_e64 v3, 0, v30, s12
	v_add_co_ci_u32_e32 v6, vcc_lo, 0, v33, vcc_lo
	v_add_co_u32 v1, vcc_lo, v1, v4
	v_add_co_ci_u32_e32 v2, vcc_lo, v2, v3, vcc_lo
	v_cndmask_b32_e64 v3, 0, v32, s13
	s_delay_alu instid0(VALU_DEP_3) | instskip(SKIP_1) | instid1(VALU_DEP_3)
	v_add_co_u32 v1, vcc_lo, v1, v5
	v_lshlrev_b32_e32 v4, 2, v6
	v_add_co_ci_u32_e32 v2, vcc_lo, v2, v3, vcc_lo
	v_and_b32_e32 v3, 0x60, v0
	ds_bpermute_b32 v6, v4, v1
	ds_bpermute_b32 v5, v4, v2
	v_add_nc_u32_e32 v4, 1, v33
	v_sub_nc_u32_e64 v3, s0, v3 clamp
	s_delay_alu instid0(VALU_DEP_1)
	v_cmp_lt_u32_e32 vcc_lo, v4, v3
	v_mov_b32_e32 v4, v1
	s_and_saveexec_b32 s1, vcc_lo
	s_cbranch_execz .LBB25_41
; %bb.40:
	s_waitcnt lgkmcnt(1)
	v_add_co_u32 v4, vcc_lo, v1, v6
	v_add_co_ci_u32_e32 v2, vcc_lo, 0, v2, vcc_lo
	s_delay_alu instid0(VALU_DEP_2) | instskip(SKIP_1) | instid1(VALU_DEP_2)
	v_add_co_u32 v1, vcc_lo, v4, 0
	s_waitcnt lgkmcnt(0)
	v_add_co_ci_u32_e32 v2, vcc_lo, v2, v5, vcc_lo
.LBB25_41:
	s_or_b32 exec_lo, exec_lo, s1
	v_cmp_gt_u32_e32 vcc_lo, 30, v33
	v_add_nc_u32_e32 v7, 2, v33
	s_mov_b32 s1, exec_lo
	s_waitcnt lgkmcnt(0)
	v_cndmask_b32_e64 v5, 0, 1, vcc_lo
	s_delay_alu instid0(VALU_DEP_1) | instskip(NEXT) | instid1(VALU_DEP_1)
	v_lshlrev_b32_e32 v5, 1, v5
	v_add_lshl_u32 v5, v5, v33, 2
	ds_bpermute_b32 v6, v5, v4
	ds_bpermute_b32 v5, v5, v2
	v_cmpx_lt_u32_e64 v7, v3
	s_cbranch_execz .LBB25_43
; %bb.42:
	s_waitcnt lgkmcnt(1)
	v_add_co_u32 v4, vcc_lo, v1, v6
	v_add_co_ci_u32_e32 v2, vcc_lo, 0, v2, vcc_lo
	s_delay_alu instid0(VALU_DEP_2) | instskip(SKIP_1) | instid1(VALU_DEP_2)
	v_add_co_u32 v1, vcc_lo, 0, v4
	s_waitcnt lgkmcnt(0)
	v_add_co_ci_u32_e32 v2, vcc_lo, v5, v2, vcc_lo
.LBB25_43:
	s_or_b32 exec_lo, exec_lo, s1
	v_cmp_gt_u32_e32 vcc_lo, 28, v33
	v_add_nc_u32_e32 v7, 4, v33
	s_mov_b32 s1, exec_lo
	s_waitcnt lgkmcnt(0)
	v_cndmask_b32_e64 v5, 0, 1, vcc_lo
	s_delay_alu instid0(VALU_DEP_1) | instskip(NEXT) | instid1(VALU_DEP_1)
	v_lshlrev_b32_e32 v5, 2, v5
	v_add_lshl_u32 v5, v5, v33, 2
	ds_bpermute_b32 v6, v5, v4
	ds_bpermute_b32 v5, v5, v2
	v_cmpx_lt_u32_e64 v7, v3
	;; [unrolled: 22-line block ×3, first 2 shown]
	s_cbranch_execz .LBB25_47
; %bb.46:
	s_waitcnt lgkmcnt(1)
	v_add_co_u32 v4, vcc_lo, v1, v6
	v_add_co_ci_u32_e32 v2, vcc_lo, 0, v2, vcc_lo
	s_delay_alu instid0(VALU_DEP_2) | instskip(SKIP_1) | instid1(VALU_DEP_2)
	v_add_co_u32 v1, vcc_lo, 0, v4
	s_waitcnt lgkmcnt(0)
	v_add_co_ci_u32_e32 v2, vcc_lo, v5, v2, vcc_lo
.LBB25_47:
	s_or_b32 exec_lo, exec_lo, s1
	v_cmp_gt_u32_e32 vcc_lo, 16, v33
	s_mov_b32 s1, exec_lo
	s_waitcnt lgkmcnt(0)
	v_cndmask_b32_e64 v5, 0, 1, vcc_lo
	s_delay_alu instid0(VALU_DEP_1) | instskip(NEXT) | instid1(VALU_DEP_1)
	v_lshlrev_b32_e32 v5, 4, v5
	v_add_lshl_u32 v6, v5, v33, 2
	ds_bpermute_b32 v5, v6, v4
	ds_bpermute_b32 v4, v6, v2
	v_add_nc_u32_e32 v6, 16, v33
	s_delay_alu instid0(VALU_DEP_1)
	v_cmpx_lt_u32_e64 v6, v3
	s_cbranch_execz .LBB25_49
; %bb.48:
	s_waitcnt lgkmcnt(1)
	v_add_co_u32 v1, vcc_lo, v1, v5
	v_add_co_ci_u32_e32 v2, vcc_lo, 0, v2, vcc_lo
	s_delay_alu instid0(VALU_DEP_2) | instskip(SKIP_1) | instid1(VALU_DEP_2)
	v_add_co_u32 v1, vcc_lo, v1, 0
	s_waitcnt lgkmcnt(0)
	v_add_co_ci_u32_e32 v2, vcc_lo, v2, v4, vcc_lo
.LBB25_49:
	s_or_b32 exec_lo, exec_lo, s1
	s_delay_alu instid0(SALU_CYCLE_1)
	s_mov_b32 s1, exec_lo
	v_cmpx_eq_u32_e32 0, v33
	s_cbranch_execz .LBB25_51
; %bb.50:
	v_lshrrev_b32_e32 v3, 2, v0
	s_delay_alu instid0(VALU_DEP_1)
	v_and_b32_e32 v3, 24, v3
	ds_store_b64 v3, v[1:2] offset:32
.LBB25_51:
	s_or_b32 exec_lo, exec_lo, s1
	s_delay_alu instid0(SALU_CYCLE_1)
	s_mov_b32 s1, exec_lo
	s_waitcnt lgkmcnt(0)
	s_barrier
	buffer_gl0_inv
	v_cmpx_gt_u32_e32 4, v0
	s_cbranch_execz .LBB25_57
; %bb.52:
	v_lshlrev_b32_e32 v1, 3, v33
	s_add_i32 s0, s0, 31
	s_delay_alu instid0(SALU_CYCLE_1) | instskip(SKIP_2) | instid1(VALU_DEP_1)
	s_lshr_b32 s0, s0, 5
	ds_load_b64 v[1:2], v1 offset:32
	v_and_b32_e32 v3, 3, v33
	v_cmp_ne_u32_e32 vcc_lo, 3, v3
	v_add_co_ci_u32_e32 v4, vcc_lo, 0, v33, vcc_lo
	s_delay_alu instid0(VALU_DEP_1) | instskip(SKIP_4) | instid1(VALU_DEP_1)
	v_lshlrev_b32_e32 v4, 2, v4
	s_waitcnt lgkmcnt(0)
	ds_bpermute_b32 v6, v4, v1
	ds_bpermute_b32 v5, v4, v2
	v_add_nc_u32_e32 v4, 1, v3
	v_cmp_gt_u32_e32 vcc_lo, s0, v4
	v_mov_b32_e32 v4, v1
	s_and_saveexec_b32 s2, vcc_lo
	s_cbranch_execz .LBB25_54
; %bb.53:
	s_waitcnt lgkmcnt(1)
	v_add_co_u32 v4, vcc_lo, v1, v6
	v_add_co_ci_u32_e32 v2, vcc_lo, 0, v2, vcc_lo
	s_delay_alu instid0(VALU_DEP_2) | instskip(SKIP_1) | instid1(VALU_DEP_2)
	v_add_co_u32 v1, vcc_lo, 0, v4
	s_waitcnt lgkmcnt(0)
	v_add_co_ci_u32_e32 v2, vcc_lo, v5, v2, vcc_lo
.LBB25_54:
	s_or_b32 exec_lo, exec_lo, s2
	v_cmp_gt_u32_e32 vcc_lo, 2, v3
	v_add_nc_u32_e32 v3, 2, v3
	s_waitcnt lgkmcnt(0)
	v_cndmask_b32_e64 v5, 0, 1, vcc_lo
	s_delay_alu instid0(VALU_DEP_2) | instskip(NEXT) | instid1(VALU_DEP_2)
	v_cmp_gt_u32_e32 vcc_lo, s0, v3
	v_lshlrev_b32_e32 v5, 1, v5
	s_delay_alu instid0(VALU_DEP_1)
	v_add_lshl_u32 v6, v5, v33, 2
	ds_bpermute_b32 v5, v6, v4
	ds_bpermute_b32 v4, v6, v2
	s_and_saveexec_b32 s0, vcc_lo
	s_cbranch_execz .LBB25_56
; %bb.55:
	s_waitcnt lgkmcnt(1)
	v_add_co_u32 v1, vcc_lo, v1, v5
	v_add_co_ci_u32_e32 v2, vcc_lo, 0, v2, vcc_lo
	s_delay_alu instid0(VALU_DEP_2) | instskip(SKIP_1) | instid1(VALU_DEP_2)
	v_add_co_u32 v1, vcc_lo, v1, 0
	s_waitcnt lgkmcnt(0)
	v_add_co_ci_u32_e32 v2, vcc_lo, v2, v4, vcc_lo
.LBB25_56:
	s_or_b32 exec_lo, exec_lo, s0
.LBB25_57:
	s_delay_alu instid0(SALU_CYCLE_1)
	s_or_b32 exec_lo, exec_lo, s1
.LBB25_58:
	s_delay_alu instid0(SALU_CYCLE_1)
	s_mov_b32 s0, exec_lo
	v_cmpx_eq_u32_e32 0, v0
	s_cbranch_execz .LBB25_60
; %bb.59:
	s_mul_i32 s0, s24, s23
	s_mul_hi_u32 s1, s24, s22
	s_mul_i32 s2, s25, s22
	s_add_i32 s1, s1, s0
	s_mul_i32 s0, s24, s22
	s_add_i32 s1, s1, s2
	v_mov_b32_e32 v0, 0
	s_lshl_b64 s[0:1], s[0:1], 3
	s_delay_alu instid0(SALU_CYCLE_1)
	s_add_u32 s2, s20, s0
	s_addc_u32 s3, s21, s1
	s_cmp_eq_u64 s[18:19], 0
	s_cselect_b32 s4, -1, 0
	s_lshl_b64 s[0:1], s[28:29], 3
	v_cndmask_b32_e64 v2, v2, s27, s4
	v_cndmask_b32_e64 v1, v1, s26, s4
	s_add_u32 s0, s2, s0
	s_addc_u32 s1, s3, s1
	global_store_b64 v0, v[1:2], s[0:1]
.LBB25_60:
	s_nop 0
	s_sendmsg sendmsg(MSG_DEALLOC_VGPRS)
	s_endpgm
	.section	.rodata,"a",@progbits
	.p2align	6, 0x0
	.amdhsa_kernel _ZN7rocprim17ROCPRIM_400000_NS6detail17trampoline_kernelINS0_14default_configENS1_22reduce_config_selectorIbEEZNS1_11reduce_implILb1ES3_N6hipcub16HIPCUB_304000_NS22TransformInputIteratorIb7NonZeroIaEPalEEPllNS8_6detail34convert_binary_result_type_wrapperINS8_3SumESD_lEEEE10hipError_tPvRmT1_T2_T3_mT4_P12ihipStream_tbEUlT_E0_NS1_11comp_targetILNS1_3genE9ELNS1_11target_archE1100ELNS1_3gpuE3ELNS1_3repE0EEENS1_30default_config_static_selectorELNS0_4arch9wavefront6targetE0EEEvSM_
		.amdhsa_group_segment_fixed_size 64
		.amdhsa_private_segment_fixed_size 0
		.amdhsa_kernarg_size 72
		.amdhsa_user_sgpr_count 15
		.amdhsa_user_sgpr_dispatch_ptr 0
		.amdhsa_user_sgpr_queue_ptr 0
		.amdhsa_user_sgpr_kernarg_segment_ptr 1
		.amdhsa_user_sgpr_dispatch_id 0
		.amdhsa_user_sgpr_private_segment_size 0
		.amdhsa_wavefront_size32 1
		.amdhsa_uses_dynamic_stack 0
		.amdhsa_enable_private_segment 0
		.amdhsa_system_sgpr_workgroup_id_x 1
		.amdhsa_system_sgpr_workgroup_id_y 0
		.amdhsa_system_sgpr_workgroup_id_z 0
		.amdhsa_system_sgpr_workgroup_info 0
		.amdhsa_system_vgpr_workitem_id 0
		.amdhsa_next_free_vgpr 35
		.amdhsa_next_free_sgpr 30
		.amdhsa_reserve_vcc 1
		.amdhsa_float_round_mode_32 0
		.amdhsa_float_round_mode_16_64 0
		.amdhsa_float_denorm_mode_32 3
		.amdhsa_float_denorm_mode_16_64 3
		.amdhsa_dx10_clamp 1
		.amdhsa_ieee_mode 1
		.amdhsa_fp16_overflow 0
		.amdhsa_workgroup_processor_mode 1
		.amdhsa_memory_ordered 1
		.amdhsa_forward_progress 0
		.amdhsa_shared_vgpr_count 0
		.amdhsa_exception_fp_ieee_invalid_op 0
		.amdhsa_exception_fp_denorm_src 0
		.amdhsa_exception_fp_ieee_div_zero 0
		.amdhsa_exception_fp_ieee_overflow 0
		.amdhsa_exception_fp_ieee_underflow 0
		.amdhsa_exception_fp_ieee_inexact 0
		.amdhsa_exception_int_div_zero 0
	.end_amdhsa_kernel
	.section	.text._ZN7rocprim17ROCPRIM_400000_NS6detail17trampoline_kernelINS0_14default_configENS1_22reduce_config_selectorIbEEZNS1_11reduce_implILb1ES3_N6hipcub16HIPCUB_304000_NS22TransformInputIteratorIb7NonZeroIaEPalEEPllNS8_6detail34convert_binary_result_type_wrapperINS8_3SumESD_lEEEE10hipError_tPvRmT1_T2_T3_mT4_P12ihipStream_tbEUlT_E0_NS1_11comp_targetILNS1_3genE9ELNS1_11target_archE1100ELNS1_3gpuE3ELNS1_3repE0EEENS1_30default_config_static_selectorELNS0_4arch9wavefront6targetE0EEEvSM_,"axG",@progbits,_ZN7rocprim17ROCPRIM_400000_NS6detail17trampoline_kernelINS0_14default_configENS1_22reduce_config_selectorIbEEZNS1_11reduce_implILb1ES3_N6hipcub16HIPCUB_304000_NS22TransformInputIteratorIb7NonZeroIaEPalEEPllNS8_6detail34convert_binary_result_type_wrapperINS8_3SumESD_lEEEE10hipError_tPvRmT1_T2_T3_mT4_P12ihipStream_tbEUlT_E0_NS1_11comp_targetILNS1_3genE9ELNS1_11target_archE1100ELNS1_3gpuE3ELNS1_3repE0EEENS1_30default_config_static_selectorELNS0_4arch9wavefront6targetE0EEEvSM_,comdat
.Lfunc_end25:
	.size	_ZN7rocprim17ROCPRIM_400000_NS6detail17trampoline_kernelINS0_14default_configENS1_22reduce_config_selectorIbEEZNS1_11reduce_implILb1ES3_N6hipcub16HIPCUB_304000_NS22TransformInputIteratorIb7NonZeroIaEPalEEPllNS8_6detail34convert_binary_result_type_wrapperINS8_3SumESD_lEEEE10hipError_tPvRmT1_T2_T3_mT4_P12ihipStream_tbEUlT_E0_NS1_11comp_targetILNS1_3genE9ELNS1_11target_archE1100ELNS1_3gpuE3ELNS1_3repE0EEENS1_30default_config_static_selectorELNS0_4arch9wavefront6targetE0EEEvSM_, .Lfunc_end25-_ZN7rocprim17ROCPRIM_400000_NS6detail17trampoline_kernelINS0_14default_configENS1_22reduce_config_selectorIbEEZNS1_11reduce_implILb1ES3_N6hipcub16HIPCUB_304000_NS22TransformInputIteratorIb7NonZeroIaEPalEEPllNS8_6detail34convert_binary_result_type_wrapperINS8_3SumESD_lEEEE10hipError_tPvRmT1_T2_T3_mT4_P12ihipStream_tbEUlT_E0_NS1_11comp_targetILNS1_3genE9ELNS1_11target_archE1100ELNS1_3gpuE3ELNS1_3repE0EEENS1_30default_config_static_selectorELNS0_4arch9wavefront6targetE0EEEvSM_
                                        ; -- End function
	.section	.AMDGPU.csdata,"",@progbits
; Kernel info:
; codeLenInByte = 3772
; NumSgprs: 32
; NumVgprs: 35
; ScratchSize: 0
; MemoryBound: 0
; FloatMode: 240
; IeeeMode: 1
; LDSByteSize: 64 bytes/workgroup (compile time only)
; SGPRBlocks: 3
; VGPRBlocks: 4
; NumSGPRsForWavesPerEU: 32
; NumVGPRsForWavesPerEU: 35
; Occupancy: 16
; WaveLimiterHint : 1
; COMPUTE_PGM_RSRC2:SCRATCH_EN: 0
; COMPUTE_PGM_RSRC2:USER_SGPR: 15
; COMPUTE_PGM_RSRC2:TRAP_HANDLER: 0
; COMPUTE_PGM_RSRC2:TGID_X_EN: 1
; COMPUTE_PGM_RSRC2:TGID_Y_EN: 0
; COMPUTE_PGM_RSRC2:TGID_Z_EN: 0
; COMPUTE_PGM_RSRC2:TIDIG_COMP_CNT: 0
	.section	.text._ZN7rocprim17ROCPRIM_400000_NS6detail17trampoline_kernelINS0_14default_configENS1_22reduce_config_selectorIbEEZNS1_11reduce_implILb1ES3_N6hipcub16HIPCUB_304000_NS22TransformInputIteratorIb7NonZeroIaEPalEEPllNS8_6detail34convert_binary_result_type_wrapperINS8_3SumESD_lEEEE10hipError_tPvRmT1_T2_T3_mT4_P12ihipStream_tbEUlT_E0_NS1_11comp_targetILNS1_3genE8ELNS1_11target_archE1030ELNS1_3gpuE2ELNS1_3repE0EEENS1_30default_config_static_selectorELNS0_4arch9wavefront6targetE0EEEvSM_,"axG",@progbits,_ZN7rocprim17ROCPRIM_400000_NS6detail17trampoline_kernelINS0_14default_configENS1_22reduce_config_selectorIbEEZNS1_11reduce_implILb1ES3_N6hipcub16HIPCUB_304000_NS22TransformInputIteratorIb7NonZeroIaEPalEEPllNS8_6detail34convert_binary_result_type_wrapperINS8_3SumESD_lEEEE10hipError_tPvRmT1_T2_T3_mT4_P12ihipStream_tbEUlT_E0_NS1_11comp_targetILNS1_3genE8ELNS1_11target_archE1030ELNS1_3gpuE2ELNS1_3repE0EEENS1_30default_config_static_selectorELNS0_4arch9wavefront6targetE0EEEvSM_,comdat
	.protected	_ZN7rocprim17ROCPRIM_400000_NS6detail17trampoline_kernelINS0_14default_configENS1_22reduce_config_selectorIbEEZNS1_11reduce_implILb1ES3_N6hipcub16HIPCUB_304000_NS22TransformInputIteratorIb7NonZeroIaEPalEEPllNS8_6detail34convert_binary_result_type_wrapperINS8_3SumESD_lEEEE10hipError_tPvRmT1_T2_T3_mT4_P12ihipStream_tbEUlT_E0_NS1_11comp_targetILNS1_3genE8ELNS1_11target_archE1030ELNS1_3gpuE2ELNS1_3repE0EEENS1_30default_config_static_selectorELNS0_4arch9wavefront6targetE0EEEvSM_ ; -- Begin function _ZN7rocprim17ROCPRIM_400000_NS6detail17trampoline_kernelINS0_14default_configENS1_22reduce_config_selectorIbEEZNS1_11reduce_implILb1ES3_N6hipcub16HIPCUB_304000_NS22TransformInputIteratorIb7NonZeroIaEPalEEPllNS8_6detail34convert_binary_result_type_wrapperINS8_3SumESD_lEEEE10hipError_tPvRmT1_T2_T3_mT4_P12ihipStream_tbEUlT_E0_NS1_11comp_targetILNS1_3genE8ELNS1_11target_archE1030ELNS1_3gpuE2ELNS1_3repE0EEENS1_30default_config_static_selectorELNS0_4arch9wavefront6targetE0EEEvSM_
	.globl	_ZN7rocprim17ROCPRIM_400000_NS6detail17trampoline_kernelINS0_14default_configENS1_22reduce_config_selectorIbEEZNS1_11reduce_implILb1ES3_N6hipcub16HIPCUB_304000_NS22TransformInputIteratorIb7NonZeroIaEPalEEPllNS8_6detail34convert_binary_result_type_wrapperINS8_3SumESD_lEEEE10hipError_tPvRmT1_T2_T3_mT4_P12ihipStream_tbEUlT_E0_NS1_11comp_targetILNS1_3genE8ELNS1_11target_archE1030ELNS1_3gpuE2ELNS1_3repE0EEENS1_30default_config_static_selectorELNS0_4arch9wavefront6targetE0EEEvSM_
	.p2align	8
	.type	_ZN7rocprim17ROCPRIM_400000_NS6detail17trampoline_kernelINS0_14default_configENS1_22reduce_config_selectorIbEEZNS1_11reduce_implILb1ES3_N6hipcub16HIPCUB_304000_NS22TransformInputIteratorIb7NonZeroIaEPalEEPllNS8_6detail34convert_binary_result_type_wrapperINS8_3SumESD_lEEEE10hipError_tPvRmT1_T2_T3_mT4_P12ihipStream_tbEUlT_E0_NS1_11comp_targetILNS1_3genE8ELNS1_11target_archE1030ELNS1_3gpuE2ELNS1_3repE0EEENS1_30default_config_static_selectorELNS0_4arch9wavefront6targetE0EEEvSM_,@function
_ZN7rocprim17ROCPRIM_400000_NS6detail17trampoline_kernelINS0_14default_configENS1_22reduce_config_selectorIbEEZNS1_11reduce_implILb1ES3_N6hipcub16HIPCUB_304000_NS22TransformInputIteratorIb7NonZeroIaEPalEEPllNS8_6detail34convert_binary_result_type_wrapperINS8_3SumESD_lEEEE10hipError_tPvRmT1_T2_T3_mT4_P12ihipStream_tbEUlT_E0_NS1_11comp_targetILNS1_3genE8ELNS1_11target_archE1030ELNS1_3gpuE2ELNS1_3repE0EEENS1_30default_config_static_selectorELNS0_4arch9wavefront6targetE0EEEvSM_: ; @_ZN7rocprim17ROCPRIM_400000_NS6detail17trampoline_kernelINS0_14default_configENS1_22reduce_config_selectorIbEEZNS1_11reduce_implILb1ES3_N6hipcub16HIPCUB_304000_NS22TransformInputIteratorIb7NonZeroIaEPalEEPllNS8_6detail34convert_binary_result_type_wrapperINS8_3SumESD_lEEEE10hipError_tPvRmT1_T2_T3_mT4_P12ihipStream_tbEUlT_E0_NS1_11comp_targetILNS1_3genE8ELNS1_11target_archE1030ELNS1_3gpuE2ELNS1_3repE0EEENS1_30default_config_static_selectorELNS0_4arch9wavefront6targetE0EEEvSM_
; %bb.0:
	.section	.rodata,"a",@progbits
	.p2align	6, 0x0
	.amdhsa_kernel _ZN7rocprim17ROCPRIM_400000_NS6detail17trampoline_kernelINS0_14default_configENS1_22reduce_config_selectorIbEEZNS1_11reduce_implILb1ES3_N6hipcub16HIPCUB_304000_NS22TransformInputIteratorIb7NonZeroIaEPalEEPllNS8_6detail34convert_binary_result_type_wrapperINS8_3SumESD_lEEEE10hipError_tPvRmT1_T2_T3_mT4_P12ihipStream_tbEUlT_E0_NS1_11comp_targetILNS1_3genE8ELNS1_11target_archE1030ELNS1_3gpuE2ELNS1_3repE0EEENS1_30default_config_static_selectorELNS0_4arch9wavefront6targetE0EEEvSM_
		.amdhsa_group_segment_fixed_size 0
		.amdhsa_private_segment_fixed_size 0
		.amdhsa_kernarg_size 72
		.amdhsa_user_sgpr_count 15
		.amdhsa_user_sgpr_dispatch_ptr 0
		.amdhsa_user_sgpr_queue_ptr 0
		.amdhsa_user_sgpr_kernarg_segment_ptr 1
		.amdhsa_user_sgpr_dispatch_id 0
		.amdhsa_user_sgpr_private_segment_size 0
		.amdhsa_wavefront_size32 1
		.amdhsa_uses_dynamic_stack 0
		.amdhsa_enable_private_segment 0
		.amdhsa_system_sgpr_workgroup_id_x 1
		.amdhsa_system_sgpr_workgroup_id_y 0
		.amdhsa_system_sgpr_workgroup_id_z 0
		.amdhsa_system_sgpr_workgroup_info 0
		.amdhsa_system_vgpr_workitem_id 0
		.amdhsa_next_free_vgpr 1
		.amdhsa_next_free_sgpr 1
		.amdhsa_reserve_vcc 0
		.amdhsa_float_round_mode_32 0
		.amdhsa_float_round_mode_16_64 0
		.amdhsa_float_denorm_mode_32 3
		.amdhsa_float_denorm_mode_16_64 3
		.amdhsa_dx10_clamp 1
		.amdhsa_ieee_mode 1
		.amdhsa_fp16_overflow 0
		.amdhsa_workgroup_processor_mode 1
		.amdhsa_memory_ordered 1
		.amdhsa_forward_progress 0
		.amdhsa_shared_vgpr_count 0
		.amdhsa_exception_fp_ieee_invalid_op 0
		.amdhsa_exception_fp_denorm_src 0
		.amdhsa_exception_fp_ieee_div_zero 0
		.amdhsa_exception_fp_ieee_overflow 0
		.amdhsa_exception_fp_ieee_underflow 0
		.amdhsa_exception_fp_ieee_inexact 0
		.amdhsa_exception_int_div_zero 0
	.end_amdhsa_kernel
	.section	.text._ZN7rocprim17ROCPRIM_400000_NS6detail17trampoline_kernelINS0_14default_configENS1_22reduce_config_selectorIbEEZNS1_11reduce_implILb1ES3_N6hipcub16HIPCUB_304000_NS22TransformInputIteratorIb7NonZeroIaEPalEEPllNS8_6detail34convert_binary_result_type_wrapperINS8_3SumESD_lEEEE10hipError_tPvRmT1_T2_T3_mT4_P12ihipStream_tbEUlT_E0_NS1_11comp_targetILNS1_3genE8ELNS1_11target_archE1030ELNS1_3gpuE2ELNS1_3repE0EEENS1_30default_config_static_selectorELNS0_4arch9wavefront6targetE0EEEvSM_,"axG",@progbits,_ZN7rocprim17ROCPRIM_400000_NS6detail17trampoline_kernelINS0_14default_configENS1_22reduce_config_selectorIbEEZNS1_11reduce_implILb1ES3_N6hipcub16HIPCUB_304000_NS22TransformInputIteratorIb7NonZeroIaEPalEEPllNS8_6detail34convert_binary_result_type_wrapperINS8_3SumESD_lEEEE10hipError_tPvRmT1_T2_T3_mT4_P12ihipStream_tbEUlT_E0_NS1_11comp_targetILNS1_3genE8ELNS1_11target_archE1030ELNS1_3gpuE2ELNS1_3repE0EEENS1_30default_config_static_selectorELNS0_4arch9wavefront6targetE0EEEvSM_,comdat
.Lfunc_end26:
	.size	_ZN7rocprim17ROCPRIM_400000_NS6detail17trampoline_kernelINS0_14default_configENS1_22reduce_config_selectorIbEEZNS1_11reduce_implILb1ES3_N6hipcub16HIPCUB_304000_NS22TransformInputIteratorIb7NonZeroIaEPalEEPllNS8_6detail34convert_binary_result_type_wrapperINS8_3SumESD_lEEEE10hipError_tPvRmT1_T2_T3_mT4_P12ihipStream_tbEUlT_E0_NS1_11comp_targetILNS1_3genE8ELNS1_11target_archE1030ELNS1_3gpuE2ELNS1_3repE0EEENS1_30default_config_static_selectorELNS0_4arch9wavefront6targetE0EEEvSM_, .Lfunc_end26-_ZN7rocprim17ROCPRIM_400000_NS6detail17trampoline_kernelINS0_14default_configENS1_22reduce_config_selectorIbEEZNS1_11reduce_implILb1ES3_N6hipcub16HIPCUB_304000_NS22TransformInputIteratorIb7NonZeroIaEPalEEPllNS8_6detail34convert_binary_result_type_wrapperINS8_3SumESD_lEEEE10hipError_tPvRmT1_T2_T3_mT4_P12ihipStream_tbEUlT_E0_NS1_11comp_targetILNS1_3genE8ELNS1_11target_archE1030ELNS1_3gpuE2ELNS1_3repE0EEENS1_30default_config_static_selectorELNS0_4arch9wavefront6targetE0EEEvSM_
                                        ; -- End function
	.section	.AMDGPU.csdata,"",@progbits
; Kernel info:
; codeLenInByte = 0
; NumSgprs: 0
; NumVgprs: 0
; ScratchSize: 0
; MemoryBound: 0
; FloatMode: 240
; IeeeMode: 1
; LDSByteSize: 0 bytes/workgroup (compile time only)
; SGPRBlocks: 0
; VGPRBlocks: 0
; NumSGPRsForWavesPerEU: 1
; NumVGPRsForWavesPerEU: 1
; Occupancy: 16
; WaveLimiterHint : 0
; COMPUTE_PGM_RSRC2:SCRATCH_EN: 0
; COMPUTE_PGM_RSRC2:USER_SGPR: 15
; COMPUTE_PGM_RSRC2:TRAP_HANDLER: 0
; COMPUTE_PGM_RSRC2:TGID_X_EN: 1
; COMPUTE_PGM_RSRC2:TGID_Y_EN: 0
; COMPUTE_PGM_RSRC2:TGID_Z_EN: 0
; COMPUTE_PGM_RSRC2:TIDIG_COMP_CNT: 0
	.section	.text._ZN7rocprim17ROCPRIM_400000_NS6detail17trampoline_kernelINS0_14default_configENS1_22reduce_config_selectorIbEEZNS1_11reduce_implILb1ES3_N6hipcub16HIPCUB_304000_NS22TransformInputIteratorIb7NonZeroIaEPalEEPllNS8_6detail34convert_binary_result_type_wrapperINS8_3SumESD_lEEEE10hipError_tPvRmT1_T2_T3_mT4_P12ihipStream_tbEUlT_E1_NS1_11comp_targetILNS1_3genE0ELNS1_11target_archE4294967295ELNS1_3gpuE0ELNS1_3repE0EEENS1_30default_config_static_selectorELNS0_4arch9wavefront6targetE0EEEvSM_,"axG",@progbits,_ZN7rocprim17ROCPRIM_400000_NS6detail17trampoline_kernelINS0_14default_configENS1_22reduce_config_selectorIbEEZNS1_11reduce_implILb1ES3_N6hipcub16HIPCUB_304000_NS22TransformInputIteratorIb7NonZeroIaEPalEEPllNS8_6detail34convert_binary_result_type_wrapperINS8_3SumESD_lEEEE10hipError_tPvRmT1_T2_T3_mT4_P12ihipStream_tbEUlT_E1_NS1_11comp_targetILNS1_3genE0ELNS1_11target_archE4294967295ELNS1_3gpuE0ELNS1_3repE0EEENS1_30default_config_static_selectorELNS0_4arch9wavefront6targetE0EEEvSM_,comdat
	.protected	_ZN7rocprim17ROCPRIM_400000_NS6detail17trampoline_kernelINS0_14default_configENS1_22reduce_config_selectorIbEEZNS1_11reduce_implILb1ES3_N6hipcub16HIPCUB_304000_NS22TransformInputIteratorIb7NonZeroIaEPalEEPllNS8_6detail34convert_binary_result_type_wrapperINS8_3SumESD_lEEEE10hipError_tPvRmT1_T2_T3_mT4_P12ihipStream_tbEUlT_E1_NS1_11comp_targetILNS1_3genE0ELNS1_11target_archE4294967295ELNS1_3gpuE0ELNS1_3repE0EEENS1_30default_config_static_selectorELNS0_4arch9wavefront6targetE0EEEvSM_ ; -- Begin function _ZN7rocprim17ROCPRIM_400000_NS6detail17trampoline_kernelINS0_14default_configENS1_22reduce_config_selectorIbEEZNS1_11reduce_implILb1ES3_N6hipcub16HIPCUB_304000_NS22TransformInputIteratorIb7NonZeroIaEPalEEPllNS8_6detail34convert_binary_result_type_wrapperINS8_3SumESD_lEEEE10hipError_tPvRmT1_T2_T3_mT4_P12ihipStream_tbEUlT_E1_NS1_11comp_targetILNS1_3genE0ELNS1_11target_archE4294967295ELNS1_3gpuE0ELNS1_3repE0EEENS1_30default_config_static_selectorELNS0_4arch9wavefront6targetE0EEEvSM_
	.globl	_ZN7rocprim17ROCPRIM_400000_NS6detail17trampoline_kernelINS0_14default_configENS1_22reduce_config_selectorIbEEZNS1_11reduce_implILb1ES3_N6hipcub16HIPCUB_304000_NS22TransformInputIteratorIb7NonZeroIaEPalEEPllNS8_6detail34convert_binary_result_type_wrapperINS8_3SumESD_lEEEE10hipError_tPvRmT1_T2_T3_mT4_P12ihipStream_tbEUlT_E1_NS1_11comp_targetILNS1_3genE0ELNS1_11target_archE4294967295ELNS1_3gpuE0ELNS1_3repE0EEENS1_30default_config_static_selectorELNS0_4arch9wavefront6targetE0EEEvSM_
	.p2align	8
	.type	_ZN7rocprim17ROCPRIM_400000_NS6detail17trampoline_kernelINS0_14default_configENS1_22reduce_config_selectorIbEEZNS1_11reduce_implILb1ES3_N6hipcub16HIPCUB_304000_NS22TransformInputIteratorIb7NonZeroIaEPalEEPllNS8_6detail34convert_binary_result_type_wrapperINS8_3SumESD_lEEEE10hipError_tPvRmT1_T2_T3_mT4_P12ihipStream_tbEUlT_E1_NS1_11comp_targetILNS1_3genE0ELNS1_11target_archE4294967295ELNS1_3gpuE0ELNS1_3repE0EEENS1_30default_config_static_selectorELNS0_4arch9wavefront6targetE0EEEvSM_,@function
_ZN7rocprim17ROCPRIM_400000_NS6detail17trampoline_kernelINS0_14default_configENS1_22reduce_config_selectorIbEEZNS1_11reduce_implILb1ES3_N6hipcub16HIPCUB_304000_NS22TransformInputIteratorIb7NonZeroIaEPalEEPllNS8_6detail34convert_binary_result_type_wrapperINS8_3SumESD_lEEEE10hipError_tPvRmT1_T2_T3_mT4_P12ihipStream_tbEUlT_E1_NS1_11comp_targetILNS1_3genE0ELNS1_11target_archE4294967295ELNS1_3gpuE0ELNS1_3repE0EEENS1_30default_config_static_selectorELNS0_4arch9wavefront6targetE0EEEvSM_: ; @_ZN7rocprim17ROCPRIM_400000_NS6detail17trampoline_kernelINS0_14default_configENS1_22reduce_config_selectorIbEEZNS1_11reduce_implILb1ES3_N6hipcub16HIPCUB_304000_NS22TransformInputIteratorIb7NonZeroIaEPalEEPllNS8_6detail34convert_binary_result_type_wrapperINS8_3SumESD_lEEEE10hipError_tPvRmT1_T2_T3_mT4_P12ihipStream_tbEUlT_E1_NS1_11comp_targetILNS1_3genE0ELNS1_11target_archE4294967295ELNS1_3gpuE0ELNS1_3repE0EEENS1_30default_config_static_selectorELNS0_4arch9wavefront6targetE0EEEvSM_
; %bb.0:
	.section	.rodata,"a",@progbits
	.p2align	6, 0x0
	.amdhsa_kernel _ZN7rocprim17ROCPRIM_400000_NS6detail17trampoline_kernelINS0_14default_configENS1_22reduce_config_selectorIbEEZNS1_11reduce_implILb1ES3_N6hipcub16HIPCUB_304000_NS22TransformInputIteratorIb7NonZeroIaEPalEEPllNS8_6detail34convert_binary_result_type_wrapperINS8_3SumESD_lEEEE10hipError_tPvRmT1_T2_T3_mT4_P12ihipStream_tbEUlT_E1_NS1_11comp_targetILNS1_3genE0ELNS1_11target_archE4294967295ELNS1_3gpuE0ELNS1_3repE0EEENS1_30default_config_static_selectorELNS0_4arch9wavefront6targetE0EEEvSM_
		.amdhsa_group_segment_fixed_size 0
		.amdhsa_private_segment_fixed_size 0
		.amdhsa_kernarg_size 56
		.amdhsa_user_sgpr_count 15
		.amdhsa_user_sgpr_dispatch_ptr 0
		.amdhsa_user_sgpr_queue_ptr 0
		.amdhsa_user_sgpr_kernarg_segment_ptr 1
		.amdhsa_user_sgpr_dispatch_id 0
		.amdhsa_user_sgpr_private_segment_size 0
		.amdhsa_wavefront_size32 1
		.amdhsa_uses_dynamic_stack 0
		.amdhsa_enable_private_segment 0
		.amdhsa_system_sgpr_workgroup_id_x 1
		.amdhsa_system_sgpr_workgroup_id_y 0
		.amdhsa_system_sgpr_workgroup_id_z 0
		.amdhsa_system_sgpr_workgroup_info 0
		.amdhsa_system_vgpr_workitem_id 0
		.amdhsa_next_free_vgpr 1
		.amdhsa_next_free_sgpr 1
		.amdhsa_reserve_vcc 0
		.amdhsa_float_round_mode_32 0
		.amdhsa_float_round_mode_16_64 0
		.amdhsa_float_denorm_mode_32 3
		.amdhsa_float_denorm_mode_16_64 3
		.amdhsa_dx10_clamp 1
		.amdhsa_ieee_mode 1
		.amdhsa_fp16_overflow 0
		.amdhsa_workgroup_processor_mode 1
		.amdhsa_memory_ordered 1
		.amdhsa_forward_progress 0
		.amdhsa_shared_vgpr_count 0
		.amdhsa_exception_fp_ieee_invalid_op 0
		.amdhsa_exception_fp_denorm_src 0
		.amdhsa_exception_fp_ieee_div_zero 0
		.amdhsa_exception_fp_ieee_overflow 0
		.amdhsa_exception_fp_ieee_underflow 0
		.amdhsa_exception_fp_ieee_inexact 0
		.amdhsa_exception_int_div_zero 0
	.end_amdhsa_kernel
	.section	.text._ZN7rocprim17ROCPRIM_400000_NS6detail17trampoline_kernelINS0_14default_configENS1_22reduce_config_selectorIbEEZNS1_11reduce_implILb1ES3_N6hipcub16HIPCUB_304000_NS22TransformInputIteratorIb7NonZeroIaEPalEEPllNS8_6detail34convert_binary_result_type_wrapperINS8_3SumESD_lEEEE10hipError_tPvRmT1_T2_T3_mT4_P12ihipStream_tbEUlT_E1_NS1_11comp_targetILNS1_3genE0ELNS1_11target_archE4294967295ELNS1_3gpuE0ELNS1_3repE0EEENS1_30default_config_static_selectorELNS0_4arch9wavefront6targetE0EEEvSM_,"axG",@progbits,_ZN7rocprim17ROCPRIM_400000_NS6detail17trampoline_kernelINS0_14default_configENS1_22reduce_config_selectorIbEEZNS1_11reduce_implILb1ES3_N6hipcub16HIPCUB_304000_NS22TransformInputIteratorIb7NonZeroIaEPalEEPllNS8_6detail34convert_binary_result_type_wrapperINS8_3SumESD_lEEEE10hipError_tPvRmT1_T2_T3_mT4_P12ihipStream_tbEUlT_E1_NS1_11comp_targetILNS1_3genE0ELNS1_11target_archE4294967295ELNS1_3gpuE0ELNS1_3repE0EEENS1_30default_config_static_selectorELNS0_4arch9wavefront6targetE0EEEvSM_,comdat
.Lfunc_end27:
	.size	_ZN7rocprim17ROCPRIM_400000_NS6detail17trampoline_kernelINS0_14default_configENS1_22reduce_config_selectorIbEEZNS1_11reduce_implILb1ES3_N6hipcub16HIPCUB_304000_NS22TransformInputIteratorIb7NonZeroIaEPalEEPllNS8_6detail34convert_binary_result_type_wrapperINS8_3SumESD_lEEEE10hipError_tPvRmT1_T2_T3_mT4_P12ihipStream_tbEUlT_E1_NS1_11comp_targetILNS1_3genE0ELNS1_11target_archE4294967295ELNS1_3gpuE0ELNS1_3repE0EEENS1_30default_config_static_selectorELNS0_4arch9wavefront6targetE0EEEvSM_, .Lfunc_end27-_ZN7rocprim17ROCPRIM_400000_NS6detail17trampoline_kernelINS0_14default_configENS1_22reduce_config_selectorIbEEZNS1_11reduce_implILb1ES3_N6hipcub16HIPCUB_304000_NS22TransformInputIteratorIb7NonZeroIaEPalEEPllNS8_6detail34convert_binary_result_type_wrapperINS8_3SumESD_lEEEE10hipError_tPvRmT1_T2_T3_mT4_P12ihipStream_tbEUlT_E1_NS1_11comp_targetILNS1_3genE0ELNS1_11target_archE4294967295ELNS1_3gpuE0ELNS1_3repE0EEENS1_30default_config_static_selectorELNS0_4arch9wavefront6targetE0EEEvSM_
                                        ; -- End function
	.section	.AMDGPU.csdata,"",@progbits
; Kernel info:
; codeLenInByte = 0
; NumSgprs: 0
; NumVgprs: 0
; ScratchSize: 0
; MemoryBound: 0
; FloatMode: 240
; IeeeMode: 1
; LDSByteSize: 0 bytes/workgroup (compile time only)
; SGPRBlocks: 0
; VGPRBlocks: 0
; NumSGPRsForWavesPerEU: 1
; NumVGPRsForWavesPerEU: 1
; Occupancy: 16
; WaveLimiterHint : 0
; COMPUTE_PGM_RSRC2:SCRATCH_EN: 0
; COMPUTE_PGM_RSRC2:USER_SGPR: 15
; COMPUTE_PGM_RSRC2:TRAP_HANDLER: 0
; COMPUTE_PGM_RSRC2:TGID_X_EN: 1
; COMPUTE_PGM_RSRC2:TGID_Y_EN: 0
; COMPUTE_PGM_RSRC2:TGID_Z_EN: 0
; COMPUTE_PGM_RSRC2:TIDIG_COMP_CNT: 0
	.section	.text._ZN7rocprim17ROCPRIM_400000_NS6detail17trampoline_kernelINS0_14default_configENS1_22reduce_config_selectorIbEEZNS1_11reduce_implILb1ES3_N6hipcub16HIPCUB_304000_NS22TransformInputIteratorIb7NonZeroIaEPalEEPllNS8_6detail34convert_binary_result_type_wrapperINS8_3SumESD_lEEEE10hipError_tPvRmT1_T2_T3_mT4_P12ihipStream_tbEUlT_E1_NS1_11comp_targetILNS1_3genE5ELNS1_11target_archE942ELNS1_3gpuE9ELNS1_3repE0EEENS1_30default_config_static_selectorELNS0_4arch9wavefront6targetE0EEEvSM_,"axG",@progbits,_ZN7rocprim17ROCPRIM_400000_NS6detail17trampoline_kernelINS0_14default_configENS1_22reduce_config_selectorIbEEZNS1_11reduce_implILb1ES3_N6hipcub16HIPCUB_304000_NS22TransformInputIteratorIb7NonZeroIaEPalEEPllNS8_6detail34convert_binary_result_type_wrapperINS8_3SumESD_lEEEE10hipError_tPvRmT1_T2_T3_mT4_P12ihipStream_tbEUlT_E1_NS1_11comp_targetILNS1_3genE5ELNS1_11target_archE942ELNS1_3gpuE9ELNS1_3repE0EEENS1_30default_config_static_selectorELNS0_4arch9wavefront6targetE0EEEvSM_,comdat
	.protected	_ZN7rocprim17ROCPRIM_400000_NS6detail17trampoline_kernelINS0_14default_configENS1_22reduce_config_selectorIbEEZNS1_11reduce_implILb1ES3_N6hipcub16HIPCUB_304000_NS22TransformInputIteratorIb7NonZeroIaEPalEEPllNS8_6detail34convert_binary_result_type_wrapperINS8_3SumESD_lEEEE10hipError_tPvRmT1_T2_T3_mT4_P12ihipStream_tbEUlT_E1_NS1_11comp_targetILNS1_3genE5ELNS1_11target_archE942ELNS1_3gpuE9ELNS1_3repE0EEENS1_30default_config_static_selectorELNS0_4arch9wavefront6targetE0EEEvSM_ ; -- Begin function _ZN7rocprim17ROCPRIM_400000_NS6detail17trampoline_kernelINS0_14default_configENS1_22reduce_config_selectorIbEEZNS1_11reduce_implILb1ES3_N6hipcub16HIPCUB_304000_NS22TransformInputIteratorIb7NonZeroIaEPalEEPllNS8_6detail34convert_binary_result_type_wrapperINS8_3SumESD_lEEEE10hipError_tPvRmT1_T2_T3_mT4_P12ihipStream_tbEUlT_E1_NS1_11comp_targetILNS1_3genE5ELNS1_11target_archE942ELNS1_3gpuE9ELNS1_3repE0EEENS1_30default_config_static_selectorELNS0_4arch9wavefront6targetE0EEEvSM_
	.globl	_ZN7rocprim17ROCPRIM_400000_NS6detail17trampoline_kernelINS0_14default_configENS1_22reduce_config_selectorIbEEZNS1_11reduce_implILb1ES3_N6hipcub16HIPCUB_304000_NS22TransformInputIteratorIb7NonZeroIaEPalEEPllNS8_6detail34convert_binary_result_type_wrapperINS8_3SumESD_lEEEE10hipError_tPvRmT1_T2_T3_mT4_P12ihipStream_tbEUlT_E1_NS1_11comp_targetILNS1_3genE5ELNS1_11target_archE942ELNS1_3gpuE9ELNS1_3repE0EEENS1_30default_config_static_selectorELNS0_4arch9wavefront6targetE0EEEvSM_
	.p2align	8
	.type	_ZN7rocprim17ROCPRIM_400000_NS6detail17trampoline_kernelINS0_14default_configENS1_22reduce_config_selectorIbEEZNS1_11reduce_implILb1ES3_N6hipcub16HIPCUB_304000_NS22TransformInputIteratorIb7NonZeroIaEPalEEPllNS8_6detail34convert_binary_result_type_wrapperINS8_3SumESD_lEEEE10hipError_tPvRmT1_T2_T3_mT4_P12ihipStream_tbEUlT_E1_NS1_11comp_targetILNS1_3genE5ELNS1_11target_archE942ELNS1_3gpuE9ELNS1_3repE0EEENS1_30default_config_static_selectorELNS0_4arch9wavefront6targetE0EEEvSM_,@function
_ZN7rocprim17ROCPRIM_400000_NS6detail17trampoline_kernelINS0_14default_configENS1_22reduce_config_selectorIbEEZNS1_11reduce_implILb1ES3_N6hipcub16HIPCUB_304000_NS22TransformInputIteratorIb7NonZeroIaEPalEEPllNS8_6detail34convert_binary_result_type_wrapperINS8_3SumESD_lEEEE10hipError_tPvRmT1_T2_T3_mT4_P12ihipStream_tbEUlT_E1_NS1_11comp_targetILNS1_3genE5ELNS1_11target_archE942ELNS1_3gpuE9ELNS1_3repE0EEENS1_30default_config_static_selectorELNS0_4arch9wavefront6targetE0EEEvSM_: ; @_ZN7rocprim17ROCPRIM_400000_NS6detail17trampoline_kernelINS0_14default_configENS1_22reduce_config_selectorIbEEZNS1_11reduce_implILb1ES3_N6hipcub16HIPCUB_304000_NS22TransformInputIteratorIb7NonZeroIaEPalEEPllNS8_6detail34convert_binary_result_type_wrapperINS8_3SumESD_lEEEE10hipError_tPvRmT1_T2_T3_mT4_P12ihipStream_tbEUlT_E1_NS1_11comp_targetILNS1_3genE5ELNS1_11target_archE942ELNS1_3gpuE9ELNS1_3repE0EEENS1_30default_config_static_selectorELNS0_4arch9wavefront6targetE0EEEvSM_
; %bb.0:
	.section	.rodata,"a",@progbits
	.p2align	6, 0x0
	.amdhsa_kernel _ZN7rocprim17ROCPRIM_400000_NS6detail17trampoline_kernelINS0_14default_configENS1_22reduce_config_selectorIbEEZNS1_11reduce_implILb1ES3_N6hipcub16HIPCUB_304000_NS22TransformInputIteratorIb7NonZeroIaEPalEEPllNS8_6detail34convert_binary_result_type_wrapperINS8_3SumESD_lEEEE10hipError_tPvRmT1_T2_T3_mT4_P12ihipStream_tbEUlT_E1_NS1_11comp_targetILNS1_3genE5ELNS1_11target_archE942ELNS1_3gpuE9ELNS1_3repE0EEENS1_30default_config_static_selectorELNS0_4arch9wavefront6targetE0EEEvSM_
		.amdhsa_group_segment_fixed_size 0
		.amdhsa_private_segment_fixed_size 0
		.amdhsa_kernarg_size 56
		.amdhsa_user_sgpr_count 15
		.amdhsa_user_sgpr_dispatch_ptr 0
		.amdhsa_user_sgpr_queue_ptr 0
		.amdhsa_user_sgpr_kernarg_segment_ptr 1
		.amdhsa_user_sgpr_dispatch_id 0
		.amdhsa_user_sgpr_private_segment_size 0
		.amdhsa_wavefront_size32 1
		.amdhsa_uses_dynamic_stack 0
		.amdhsa_enable_private_segment 0
		.amdhsa_system_sgpr_workgroup_id_x 1
		.amdhsa_system_sgpr_workgroup_id_y 0
		.amdhsa_system_sgpr_workgroup_id_z 0
		.amdhsa_system_sgpr_workgroup_info 0
		.amdhsa_system_vgpr_workitem_id 0
		.amdhsa_next_free_vgpr 1
		.amdhsa_next_free_sgpr 1
		.amdhsa_reserve_vcc 0
		.amdhsa_float_round_mode_32 0
		.amdhsa_float_round_mode_16_64 0
		.amdhsa_float_denorm_mode_32 3
		.amdhsa_float_denorm_mode_16_64 3
		.amdhsa_dx10_clamp 1
		.amdhsa_ieee_mode 1
		.amdhsa_fp16_overflow 0
		.amdhsa_workgroup_processor_mode 1
		.amdhsa_memory_ordered 1
		.amdhsa_forward_progress 0
		.amdhsa_shared_vgpr_count 0
		.amdhsa_exception_fp_ieee_invalid_op 0
		.amdhsa_exception_fp_denorm_src 0
		.amdhsa_exception_fp_ieee_div_zero 0
		.amdhsa_exception_fp_ieee_overflow 0
		.amdhsa_exception_fp_ieee_underflow 0
		.amdhsa_exception_fp_ieee_inexact 0
		.amdhsa_exception_int_div_zero 0
	.end_amdhsa_kernel
	.section	.text._ZN7rocprim17ROCPRIM_400000_NS6detail17trampoline_kernelINS0_14default_configENS1_22reduce_config_selectorIbEEZNS1_11reduce_implILb1ES3_N6hipcub16HIPCUB_304000_NS22TransformInputIteratorIb7NonZeroIaEPalEEPllNS8_6detail34convert_binary_result_type_wrapperINS8_3SumESD_lEEEE10hipError_tPvRmT1_T2_T3_mT4_P12ihipStream_tbEUlT_E1_NS1_11comp_targetILNS1_3genE5ELNS1_11target_archE942ELNS1_3gpuE9ELNS1_3repE0EEENS1_30default_config_static_selectorELNS0_4arch9wavefront6targetE0EEEvSM_,"axG",@progbits,_ZN7rocprim17ROCPRIM_400000_NS6detail17trampoline_kernelINS0_14default_configENS1_22reduce_config_selectorIbEEZNS1_11reduce_implILb1ES3_N6hipcub16HIPCUB_304000_NS22TransformInputIteratorIb7NonZeroIaEPalEEPllNS8_6detail34convert_binary_result_type_wrapperINS8_3SumESD_lEEEE10hipError_tPvRmT1_T2_T3_mT4_P12ihipStream_tbEUlT_E1_NS1_11comp_targetILNS1_3genE5ELNS1_11target_archE942ELNS1_3gpuE9ELNS1_3repE0EEENS1_30default_config_static_selectorELNS0_4arch9wavefront6targetE0EEEvSM_,comdat
.Lfunc_end28:
	.size	_ZN7rocprim17ROCPRIM_400000_NS6detail17trampoline_kernelINS0_14default_configENS1_22reduce_config_selectorIbEEZNS1_11reduce_implILb1ES3_N6hipcub16HIPCUB_304000_NS22TransformInputIteratorIb7NonZeroIaEPalEEPllNS8_6detail34convert_binary_result_type_wrapperINS8_3SumESD_lEEEE10hipError_tPvRmT1_T2_T3_mT4_P12ihipStream_tbEUlT_E1_NS1_11comp_targetILNS1_3genE5ELNS1_11target_archE942ELNS1_3gpuE9ELNS1_3repE0EEENS1_30default_config_static_selectorELNS0_4arch9wavefront6targetE0EEEvSM_, .Lfunc_end28-_ZN7rocprim17ROCPRIM_400000_NS6detail17trampoline_kernelINS0_14default_configENS1_22reduce_config_selectorIbEEZNS1_11reduce_implILb1ES3_N6hipcub16HIPCUB_304000_NS22TransformInputIteratorIb7NonZeroIaEPalEEPllNS8_6detail34convert_binary_result_type_wrapperINS8_3SumESD_lEEEE10hipError_tPvRmT1_T2_T3_mT4_P12ihipStream_tbEUlT_E1_NS1_11comp_targetILNS1_3genE5ELNS1_11target_archE942ELNS1_3gpuE9ELNS1_3repE0EEENS1_30default_config_static_selectorELNS0_4arch9wavefront6targetE0EEEvSM_
                                        ; -- End function
	.section	.AMDGPU.csdata,"",@progbits
; Kernel info:
; codeLenInByte = 0
; NumSgprs: 0
; NumVgprs: 0
; ScratchSize: 0
; MemoryBound: 0
; FloatMode: 240
; IeeeMode: 1
; LDSByteSize: 0 bytes/workgroup (compile time only)
; SGPRBlocks: 0
; VGPRBlocks: 0
; NumSGPRsForWavesPerEU: 1
; NumVGPRsForWavesPerEU: 1
; Occupancy: 16
; WaveLimiterHint : 0
; COMPUTE_PGM_RSRC2:SCRATCH_EN: 0
; COMPUTE_PGM_RSRC2:USER_SGPR: 15
; COMPUTE_PGM_RSRC2:TRAP_HANDLER: 0
; COMPUTE_PGM_RSRC2:TGID_X_EN: 1
; COMPUTE_PGM_RSRC2:TGID_Y_EN: 0
; COMPUTE_PGM_RSRC2:TGID_Z_EN: 0
; COMPUTE_PGM_RSRC2:TIDIG_COMP_CNT: 0
	.section	.text._ZN7rocprim17ROCPRIM_400000_NS6detail17trampoline_kernelINS0_14default_configENS1_22reduce_config_selectorIbEEZNS1_11reduce_implILb1ES3_N6hipcub16HIPCUB_304000_NS22TransformInputIteratorIb7NonZeroIaEPalEEPllNS8_6detail34convert_binary_result_type_wrapperINS8_3SumESD_lEEEE10hipError_tPvRmT1_T2_T3_mT4_P12ihipStream_tbEUlT_E1_NS1_11comp_targetILNS1_3genE4ELNS1_11target_archE910ELNS1_3gpuE8ELNS1_3repE0EEENS1_30default_config_static_selectorELNS0_4arch9wavefront6targetE0EEEvSM_,"axG",@progbits,_ZN7rocprim17ROCPRIM_400000_NS6detail17trampoline_kernelINS0_14default_configENS1_22reduce_config_selectorIbEEZNS1_11reduce_implILb1ES3_N6hipcub16HIPCUB_304000_NS22TransformInputIteratorIb7NonZeroIaEPalEEPllNS8_6detail34convert_binary_result_type_wrapperINS8_3SumESD_lEEEE10hipError_tPvRmT1_T2_T3_mT4_P12ihipStream_tbEUlT_E1_NS1_11comp_targetILNS1_3genE4ELNS1_11target_archE910ELNS1_3gpuE8ELNS1_3repE0EEENS1_30default_config_static_selectorELNS0_4arch9wavefront6targetE0EEEvSM_,comdat
	.protected	_ZN7rocprim17ROCPRIM_400000_NS6detail17trampoline_kernelINS0_14default_configENS1_22reduce_config_selectorIbEEZNS1_11reduce_implILb1ES3_N6hipcub16HIPCUB_304000_NS22TransformInputIteratorIb7NonZeroIaEPalEEPllNS8_6detail34convert_binary_result_type_wrapperINS8_3SumESD_lEEEE10hipError_tPvRmT1_T2_T3_mT4_P12ihipStream_tbEUlT_E1_NS1_11comp_targetILNS1_3genE4ELNS1_11target_archE910ELNS1_3gpuE8ELNS1_3repE0EEENS1_30default_config_static_selectorELNS0_4arch9wavefront6targetE0EEEvSM_ ; -- Begin function _ZN7rocprim17ROCPRIM_400000_NS6detail17trampoline_kernelINS0_14default_configENS1_22reduce_config_selectorIbEEZNS1_11reduce_implILb1ES3_N6hipcub16HIPCUB_304000_NS22TransformInputIteratorIb7NonZeroIaEPalEEPllNS8_6detail34convert_binary_result_type_wrapperINS8_3SumESD_lEEEE10hipError_tPvRmT1_T2_T3_mT4_P12ihipStream_tbEUlT_E1_NS1_11comp_targetILNS1_3genE4ELNS1_11target_archE910ELNS1_3gpuE8ELNS1_3repE0EEENS1_30default_config_static_selectorELNS0_4arch9wavefront6targetE0EEEvSM_
	.globl	_ZN7rocprim17ROCPRIM_400000_NS6detail17trampoline_kernelINS0_14default_configENS1_22reduce_config_selectorIbEEZNS1_11reduce_implILb1ES3_N6hipcub16HIPCUB_304000_NS22TransformInputIteratorIb7NonZeroIaEPalEEPllNS8_6detail34convert_binary_result_type_wrapperINS8_3SumESD_lEEEE10hipError_tPvRmT1_T2_T3_mT4_P12ihipStream_tbEUlT_E1_NS1_11comp_targetILNS1_3genE4ELNS1_11target_archE910ELNS1_3gpuE8ELNS1_3repE0EEENS1_30default_config_static_selectorELNS0_4arch9wavefront6targetE0EEEvSM_
	.p2align	8
	.type	_ZN7rocprim17ROCPRIM_400000_NS6detail17trampoline_kernelINS0_14default_configENS1_22reduce_config_selectorIbEEZNS1_11reduce_implILb1ES3_N6hipcub16HIPCUB_304000_NS22TransformInputIteratorIb7NonZeroIaEPalEEPllNS8_6detail34convert_binary_result_type_wrapperINS8_3SumESD_lEEEE10hipError_tPvRmT1_T2_T3_mT4_P12ihipStream_tbEUlT_E1_NS1_11comp_targetILNS1_3genE4ELNS1_11target_archE910ELNS1_3gpuE8ELNS1_3repE0EEENS1_30default_config_static_selectorELNS0_4arch9wavefront6targetE0EEEvSM_,@function
_ZN7rocprim17ROCPRIM_400000_NS6detail17trampoline_kernelINS0_14default_configENS1_22reduce_config_selectorIbEEZNS1_11reduce_implILb1ES3_N6hipcub16HIPCUB_304000_NS22TransformInputIteratorIb7NonZeroIaEPalEEPllNS8_6detail34convert_binary_result_type_wrapperINS8_3SumESD_lEEEE10hipError_tPvRmT1_T2_T3_mT4_P12ihipStream_tbEUlT_E1_NS1_11comp_targetILNS1_3genE4ELNS1_11target_archE910ELNS1_3gpuE8ELNS1_3repE0EEENS1_30default_config_static_selectorELNS0_4arch9wavefront6targetE0EEEvSM_: ; @_ZN7rocprim17ROCPRIM_400000_NS6detail17trampoline_kernelINS0_14default_configENS1_22reduce_config_selectorIbEEZNS1_11reduce_implILb1ES3_N6hipcub16HIPCUB_304000_NS22TransformInputIteratorIb7NonZeroIaEPalEEPllNS8_6detail34convert_binary_result_type_wrapperINS8_3SumESD_lEEEE10hipError_tPvRmT1_T2_T3_mT4_P12ihipStream_tbEUlT_E1_NS1_11comp_targetILNS1_3genE4ELNS1_11target_archE910ELNS1_3gpuE8ELNS1_3repE0EEENS1_30default_config_static_selectorELNS0_4arch9wavefront6targetE0EEEvSM_
; %bb.0:
	.section	.rodata,"a",@progbits
	.p2align	6, 0x0
	.amdhsa_kernel _ZN7rocprim17ROCPRIM_400000_NS6detail17trampoline_kernelINS0_14default_configENS1_22reduce_config_selectorIbEEZNS1_11reduce_implILb1ES3_N6hipcub16HIPCUB_304000_NS22TransformInputIteratorIb7NonZeroIaEPalEEPllNS8_6detail34convert_binary_result_type_wrapperINS8_3SumESD_lEEEE10hipError_tPvRmT1_T2_T3_mT4_P12ihipStream_tbEUlT_E1_NS1_11comp_targetILNS1_3genE4ELNS1_11target_archE910ELNS1_3gpuE8ELNS1_3repE0EEENS1_30default_config_static_selectorELNS0_4arch9wavefront6targetE0EEEvSM_
		.amdhsa_group_segment_fixed_size 0
		.amdhsa_private_segment_fixed_size 0
		.amdhsa_kernarg_size 56
		.amdhsa_user_sgpr_count 15
		.amdhsa_user_sgpr_dispatch_ptr 0
		.amdhsa_user_sgpr_queue_ptr 0
		.amdhsa_user_sgpr_kernarg_segment_ptr 1
		.amdhsa_user_sgpr_dispatch_id 0
		.amdhsa_user_sgpr_private_segment_size 0
		.amdhsa_wavefront_size32 1
		.amdhsa_uses_dynamic_stack 0
		.amdhsa_enable_private_segment 0
		.amdhsa_system_sgpr_workgroup_id_x 1
		.amdhsa_system_sgpr_workgroup_id_y 0
		.amdhsa_system_sgpr_workgroup_id_z 0
		.amdhsa_system_sgpr_workgroup_info 0
		.amdhsa_system_vgpr_workitem_id 0
		.amdhsa_next_free_vgpr 1
		.amdhsa_next_free_sgpr 1
		.amdhsa_reserve_vcc 0
		.amdhsa_float_round_mode_32 0
		.amdhsa_float_round_mode_16_64 0
		.amdhsa_float_denorm_mode_32 3
		.amdhsa_float_denorm_mode_16_64 3
		.amdhsa_dx10_clamp 1
		.amdhsa_ieee_mode 1
		.amdhsa_fp16_overflow 0
		.amdhsa_workgroup_processor_mode 1
		.amdhsa_memory_ordered 1
		.amdhsa_forward_progress 0
		.amdhsa_shared_vgpr_count 0
		.amdhsa_exception_fp_ieee_invalid_op 0
		.amdhsa_exception_fp_denorm_src 0
		.amdhsa_exception_fp_ieee_div_zero 0
		.amdhsa_exception_fp_ieee_overflow 0
		.amdhsa_exception_fp_ieee_underflow 0
		.amdhsa_exception_fp_ieee_inexact 0
		.amdhsa_exception_int_div_zero 0
	.end_amdhsa_kernel
	.section	.text._ZN7rocprim17ROCPRIM_400000_NS6detail17trampoline_kernelINS0_14default_configENS1_22reduce_config_selectorIbEEZNS1_11reduce_implILb1ES3_N6hipcub16HIPCUB_304000_NS22TransformInputIteratorIb7NonZeroIaEPalEEPllNS8_6detail34convert_binary_result_type_wrapperINS8_3SumESD_lEEEE10hipError_tPvRmT1_T2_T3_mT4_P12ihipStream_tbEUlT_E1_NS1_11comp_targetILNS1_3genE4ELNS1_11target_archE910ELNS1_3gpuE8ELNS1_3repE0EEENS1_30default_config_static_selectorELNS0_4arch9wavefront6targetE0EEEvSM_,"axG",@progbits,_ZN7rocprim17ROCPRIM_400000_NS6detail17trampoline_kernelINS0_14default_configENS1_22reduce_config_selectorIbEEZNS1_11reduce_implILb1ES3_N6hipcub16HIPCUB_304000_NS22TransformInputIteratorIb7NonZeroIaEPalEEPllNS8_6detail34convert_binary_result_type_wrapperINS8_3SumESD_lEEEE10hipError_tPvRmT1_T2_T3_mT4_P12ihipStream_tbEUlT_E1_NS1_11comp_targetILNS1_3genE4ELNS1_11target_archE910ELNS1_3gpuE8ELNS1_3repE0EEENS1_30default_config_static_selectorELNS0_4arch9wavefront6targetE0EEEvSM_,comdat
.Lfunc_end29:
	.size	_ZN7rocprim17ROCPRIM_400000_NS6detail17trampoline_kernelINS0_14default_configENS1_22reduce_config_selectorIbEEZNS1_11reduce_implILb1ES3_N6hipcub16HIPCUB_304000_NS22TransformInputIteratorIb7NonZeroIaEPalEEPllNS8_6detail34convert_binary_result_type_wrapperINS8_3SumESD_lEEEE10hipError_tPvRmT1_T2_T3_mT4_P12ihipStream_tbEUlT_E1_NS1_11comp_targetILNS1_3genE4ELNS1_11target_archE910ELNS1_3gpuE8ELNS1_3repE0EEENS1_30default_config_static_selectorELNS0_4arch9wavefront6targetE0EEEvSM_, .Lfunc_end29-_ZN7rocprim17ROCPRIM_400000_NS6detail17trampoline_kernelINS0_14default_configENS1_22reduce_config_selectorIbEEZNS1_11reduce_implILb1ES3_N6hipcub16HIPCUB_304000_NS22TransformInputIteratorIb7NonZeroIaEPalEEPllNS8_6detail34convert_binary_result_type_wrapperINS8_3SumESD_lEEEE10hipError_tPvRmT1_T2_T3_mT4_P12ihipStream_tbEUlT_E1_NS1_11comp_targetILNS1_3genE4ELNS1_11target_archE910ELNS1_3gpuE8ELNS1_3repE0EEENS1_30default_config_static_selectorELNS0_4arch9wavefront6targetE0EEEvSM_
                                        ; -- End function
	.section	.AMDGPU.csdata,"",@progbits
; Kernel info:
; codeLenInByte = 0
; NumSgprs: 0
; NumVgprs: 0
; ScratchSize: 0
; MemoryBound: 0
; FloatMode: 240
; IeeeMode: 1
; LDSByteSize: 0 bytes/workgroup (compile time only)
; SGPRBlocks: 0
; VGPRBlocks: 0
; NumSGPRsForWavesPerEU: 1
; NumVGPRsForWavesPerEU: 1
; Occupancy: 16
; WaveLimiterHint : 0
; COMPUTE_PGM_RSRC2:SCRATCH_EN: 0
; COMPUTE_PGM_RSRC2:USER_SGPR: 15
; COMPUTE_PGM_RSRC2:TRAP_HANDLER: 0
; COMPUTE_PGM_RSRC2:TGID_X_EN: 1
; COMPUTE_PGM_RSRC2:TGID_Y_EN: 0
; COMPUTE_PGM_RSRC2:TGID_Z_EN: 0
; COMPUTE_PGM_RSRC2:TIDIG_COMP_CNT: 0
	.section	.text._ZN7rocprim17ROCPRIM_400000_NS6detail17trampoline_kernelINS0_14default_configENS1_22reduce_config_selectorIbEEZNS1_11reduce_implILb1ES3_N6hipcub16HIPCUB_304000_NS22TransformInputIteratorIb7NonZeroIaEPalEEPllNS8_6detail34convert_binary_result_type_wrapperINS8_3SumESD_lEEEE10hipError_tPvRmT1_T2_T3_mT4_P12ihipStream_tbEUlT_E1_NS1_11comp_targetILNS1_3genE3ELNS1_11target_archE908ELNS1_3gpuE7ELNS1_3repE0EEENS1_30default_config_static_selectorELNS0_4arch9wavefront6targetE0EEEvSM_,"axG",@progbits,_ZN7rocprim17ROCPRIM_400000_NS6detail17trampoline_kernelINS0_14default_configENS1_22reduce_config_selectorIbEEZNS1_11reduce_implILb1ES3_N6hipcub16HIPCUB_304000_NS22TransformInputIteratorIb7NonZeroIaEPalEEPllNS8_6detail34convert_binary_result_type_wrapperINS8_3SumESD_lEEEE10hipError_tPvRmT1_T2_T3_mT4_P12ihipStream_tbEUlT_E1_NS1_11comp_targetILNS1_3genE3ELNS1_11target_archE908ELNS1_3gpuE7ELNS1_3repE0EEENS1_30default_config_static_selectorELNS0_4arch9wavefront6targetE0EEEvSM_,comdat
	.protected	_ZN7rocprim17ROCPRIM_400000_NS6detail17trampoline_kernelINS0_14default_configENS1_22reduce_config_selectorIbEEZNS1_11reduce_implILb1ES3_N6hipcub16HIPCUB_304000_NS22TransformInputIteratorIb7NonZeroIaEPalEEPllNS8_6detail34convert_binary_result_type_wrapperINS8_3SumESD_lEEEE10hipError_tPvRmT1_T2_T3_mT4_P12ihipStream_tbEUlT_E1_NS1_11comp_targetILNS1_3genE3ELNS1_11target_archE908ELNS1_3gpuE7ELNS1_3repE0EEENS1_30default_config_static_selectorELNS0_4arch9wavefront6targetE0EEEvSM_ ; -- Begin function _ZN7rocprim17ROCPRIM_400000_NS6detail17trampoline_kernelINS0_14default_configENS1_22reduce_config_selectorIbEEZNS1_11reduce_implILb1ES3_N6hipcub16HIPCUB_304000_NS22TransformInputIteratorIb7NonZeroIaEPalEEPllNS8_6detail34convert_binary_result_type_wrapperINS8_3SumESD_lEEEE10hipError_tPvRmT1_T2_T3_mT4_P12ihipStream_tbEUlT_E1_NS1_11comp_targetILNS1_3genE3ELNS1_11target_archE908ELNS1_3gpuE7ELNS1_3repE0EEENS1_30default_config_static_selectorELNS0_4arch9wavefront6targetE0EEEvSM_
	.globl	_ZN7rocprim17ROCPRIM_400000_NS6detail17trampoline_kernelINS0_14default_configENS1_22reduce_config_selectorIbEEZNS1_11reduce_implILb1ES3_N6hipcub16HIPCUB_304000_NS22TransformInputIteratorIb7NonZeroIaEPalEEPllNS8_6detail34convert_binary_result_type_wrapperINS8_3SumESD_lEEEE10hipError_tPvRmT1_T2_T3_mT4_P12ihipStream_tbEUlT_E1_NS1_11comp_targetILNS1_3genE3ELNS1_11target_archE908ELNS1_3gpuE7ELNS1_3repE0EEENS1_30default_config_static_selectorELNS0_4arch9wavefront6targetE0EEEvSM_
	.p2align	8
	.type	_ZN7rocprim17ROCPRIM_400000_NS6detail17trampoline_kernelINS0_14default_configENS1_22reduce_config_selectorIbEEZNS1_11reduce_implILb1ES3_N6hipcub16HIPCUB_304000_NS22TransformInputIteratorIb7NonZeroIaEPalEEPllNS8_6detail34convert_binary_result_type_wrapperINS8_3SumESD_lEEEE10hipError_tPvRmT1_T2_T3_mT4_P12ihipStream_tbEUlT_E1_NS1_11comp_targetILNS1_3genE3ELNS1_11target_archE908ELNS1_3gpuE7ELNS1_3repE0EEENS1_30default_config_static_selectorELNS0_4arch9wavefront6targetE0EEEvSM_,@function
_ZN7rocprim17ROCPRIM_400000_NS6detail17trampoline_kernelINS0_14default_configENS1_22reduce_config_selectorIbEEZNS1_11reduce_implILb1ES3_N6hipcub16HIPCUB_304000_NS22TransformInputIteratorIb7NonZeroIaEPalEEPllNS8_6detail34convert_binary_result_type_wrapperINS8_3SumESD_lEEEE10hipError_tPvRmT1_T2_T3_mT4_P12ihipStream_tbEUlT_E1_NS1_11comp_targetILNS1_3genE3ELNS1_11target_archE908ELNS1_3gpuE7ELNS1_3repE0EEENS1_30default_config_static_selectorELNS0_4arch9wavefront6targetE0EEEvSM_: ; @_ZN7rocprim17ROCPRIM_400000_NS6detail17trampoline_kernelINS0_14default_configENS1_22reduce_config_selectorIbEEZNS1_11reduce_implILb1ES3_N6hipcub16HIPCUB_304000_NS22TransformInputIteratorIb7NonZeroIaEPalEEPllNS8_6detail34convert_binary_result_type_wrapperINS8_3SumESD_lEEEE10hipError_tPvRmT1_T2_T3_mT4_P12ihipStream_tbEUlT_E1_NS1_11comp_targetILNS1_3genE3ELNS1_11target_archE908ELNS1_3gpuE7ELNS1_3repE0EEENS1_30default_config_static_selectorELNS0_4arch9wavefront6targetE0EEEvSM_
; %bb.0:
	.section	.rodata,"a",@progbits
	.p2align	6, 0x0
	.amdhsa_kernel _ZN7rocprim17ROCPRIM_400000_NS6detail17trampoline_kernelINS0_14default_configENS1_22reduce_config_selectorIbEEZNS1_11reduce_implILb1ES3_N6hipcub16HIPCUB_304000_NS22TransformInputIteratorIb7NonZeroIaEPalEEPllNS8_6detail34convert_binary_result_type_wrapperINS8_3SumESD_lEEEE10hipError_tPvRmT1_T2_T3_mT4_P12ihipStream_tbEUlT_E1_NS1_11comp_targetILNS1_3genE3ELNS1_11target_archE908ELNS1_3gpuE7ELNS1_3repE0EEENS1_30default_config_static_selectorELNS0_4arch9wavefront6targetE0EEEvSM_
		.amdhsa_group_segment_fixed_size 0
		.amdhsa_private_segment_fixed_size 0
		.amdhsa_kernarg_size 56
		.amdhsa_user_sgpr_count 15
		.amdhsa_user_sgpr_dispatch_ptr 0
		.amdhsa_user_sgpr_queue_ptr 0
		.amdhsa_user_sgpr_kernarg_segment_ptr 1
		.amdhsa_user_sgpr_dispatch_id 0
		.amdhsa_user_sgpr_private_segment_size 0
		.amdhsa_wavefront_size32 1
		.amdhsa_uses_dynamic_stack 0
		.amdhsa_enable_private_segment 0
		.amdhsa_system_sgpr_workgroup_id_x 1
		.amdhsa_system_sgpr_workgroup_id_y 0
		.amdhsa_system_sgpr_workgroup_id_z 0
		.amdhsa_system_sgpr_workgroup_info 0
		.amdhsa_system_vgpr_workitem_id 0
		.amdhsa_next_free_vgpr 1
		.amdhsa_next_free_sgpr 1
		.amdhsa_reserve_vcc 0
		.amdhsa_float_round_mode_32 0
		.amdhsa_float_round_mode_16_64 0
		.amdhsa_float_denorm_mode_32 3
		.amdhsa_float_denorm_mode_16_64 3
		.amdhsa_dx10_clamp 1
		.amdhsa_ieee_mode 1
		.amdhsa_fp16_overflow 0
		.amdhsa_workgroup_processor_mode 1
		.amdhsa_memory_ordered 1
		.amdhsa_forward_progress 0
		.amdhsa_shared_vgpr_count 0
		.amdhsa_exception_fp_ieee_invalid_op 0
		.amdhsa_exception_fp_denorm_src 0
		.amdhsa_exception_fp_ieee_div_zero 0
		.amdhsa_exception_fp_ieee_overflow 0
		.amdhsa_exception_fp_ieee_underflow 0
		.amdhsa_exception_fp_ieee_inexact 0
		.amdhsa_exception_int_div_zero 0
	.end_amdhsa_kernel
	.section	.text._ZN7rocprim17ROCPRIM_400000_NS6detail17trampoline_kernelINS0_14default_configENS1_22reduce_config_selectorIbEEZNS1_11reduce_implILb1ES3_N6hipcub16HIPCUB_304000_NS22TransformInputIteratorIb7NonZeroIaEPalEEPllNS8_6detail34convert_binary_result_type_wrapperINS8_3SumESD_lEEEE10hipError_tPvRmT1_T2_T3_mT4_P12ihipStream_tbEUlT_E1_NS1_11comp_targetILNS1_3genE3ELNS1_11target_archE908ELNS1_3gpuE7ELNS1_3repE0EEENS1_30default_config_static_selectorELNS0_4arch9wavefront6targetE0EEEvSM_,"axG",@progbits,_ZN7rocprim17ROCPRIM_400000_NS6detail17trampoline_kernelINS0_14default_configENS1_22reduce_config_selectorIbEEZNS1_11reduce_implILb1ES3_N6hipcub16HIPCUB_304000_NS22TransformInputIteratorIb7NonZeroIaEPalEEPllNS8_6detail34convert_binary_result_type_wrapperINS8_3SumESD_lEEEE10hipError_tPvRmT1_T2_T3_mT4_P12ihipStream_tbEUlT_E1_NS1_11comp_targetILNS1_3genE3ELNS1_11target_archE908ELNS1_3gpuE7ELNS1_3repE0EEENS1_30default_config_static_selectorELNS0_4arch9wavefront6targetE0EEEvSM_,comdat
.Lfunc_end30:
	.size	_ZN7rocprim17ROCPRIM_400000_NS6detail17trampoline_kernelINS0_14default_configENS1_22reduce_config_selectorIbEEZNS1_11reduce_implILb1ES3_N6hipcub16HIPCUB_304000_NS22TransformInputIteratorIb7NonZeroIaEPalEEPllNS8_6detail34convert_binary_result_type_wrapperINS8_3SumESD_lEEEE10hipError_tPvRmT1_T2_T3_mT4_P12ihipStream_tbEUlT_E1_NS1_11comp_targetILNS1_3genE3ELNS1_11target_archE908ELNS1_3gpuE7ELNS1_3repE0EEENS1_30default_config_static_selectorELNS0_4arch9wavefront6targetE0EEEvSM_, .Lfunc_end30-_ZN7rocprim17ROCPRIM_400000_NS6detail17trampoline_kernelINS0_14default_configENS1_22reduce_config_selectorIbEEZNS1_11reduce_implILb1ES3_N6hipcub16HIPCUB_304000_NS22TransformInputIteratorIb7NonZeroIaEPalEEPllNS8_6detail34convert_binary_result_type_wrapperINS8_3SumESD_lEEEE10hipError_tPvRmT1_T2_T3_mT4_P12ihipStream_tbEUlT_E1_NS1_11comp_targetILNS1_3genE3ELNS1_11target_archE908ELNS1_3gpuE7ELNS1_3repE0EEENS1_30default_config_static_selectorELNS0_4arch9wavefront6targetE0EEEvSM_
                                        ; -- End function
	.section	.AMDGPU.csdata,"",@progbits
; Kernel info:
; codeLenInByte = 0
; NumSgprs: 0
; NumVgprs: 0
; ScratchSize: 0
; MemoryBound: 0
; FloatMode: 240
; IeeeMode: 1
; LDSByteSize: 0 bytes/workgroup (compile time only)
; SGPRBlocks: 0
; VGPRBlocks: 0
; NumSGPRsForWavesPerEU: 1
; NumVGPRsForWavesPerEU: 1
; Occupancy: 16
; WaveLimiterHint : 0
; COMPUTE_PGM_RSRC2:SCRATCH_EN: 0
; COMPUTE_PGM_RSRC2:USER_SGPR: 15
; COMPUTE_PGM_RSRC2:TRAP_HANDLER: 0
; COMPUTE_PGM_RSRC2:TGID_X_EN: 1
; COMPUTE_PGM_RSRC2:TGID_Y_EN: 0
; COMPUTE_PGM_RSRC2:TGID_Z_EN: 0
; COMPUTE_PGM_RSRC2:TIDIG_COMP_CNT: 0
	.section	.text._ZN7rocprim17ROCPRIM_400000_NS6detail17trampoline_kernelINS0_14default_configENS1_22reduce_config_selectorIbEEZNS1_11reduce_implILb1ES3_N6hipcub16HIPCUB_304000_NS22TransformInputIteratorIb7NonZeroIaEPalEEPllNS8_6detail34convert_binary_result_type_wrapperINS8_3SumESD_lEEEE10hipError_tPvRmT1_T2_T3_mT4_P12ihipStream_tbEUlT_E1_NS1_11comp_targetILNS1_3genE2ELNS1_11target_archE906ELNS1_3gpuE6ELNS1_3repE0EEENS1_30default_config_static_selectorELNS0_4arch9wavefront6targetE0EEEvSM_,"axG",@progbits,_ZN7rocprim17ROCPRIM_400000_NS6detail17trampoline_kernelINS0_14default_configENS1_22reduce_config_selectorIbEEZNS1_11reduce_implILb1ES3_N6hipcub16HIPCUB_304000_NS22TransformInputIteratorIb7NonZeroIaEPalEEPllNS8_6detail34convert_binary_result_type_wrapperINS8_3SumESD_lEEEE10hipError_tPvRmT1_T2_T3_mT4_P12ihipStream_tbEUlT_E1_NS1_11comp_targetILNS1_3genE2ELNS1_11target_archE906ELNS1_3gpuE6ELNS1_3repE0EEENS1_30default_config_static_selectorELNS0_4arch9wavefront6targetE0EEEvSM_,comdat
	.protected	_ZN7rocprim17ROCPRIM_400000_NS6detail17trampoline_kernelINS0_14default_configENS1_22reduce_config_selectorIbEEZNS1_11reduce_implILb1ES3_N6hipcub16HIPCUB_304000_NS22TransformInputIteratorIb7NonZeroIaEPalEEPllNS8_6detail34convert_binary_result_type_wrapperINS8_3SumESD_lEEEE10hipError_tPvRmT1_T2_T3_mT4_P12ihipStream_tbEUlT_E1_NS1_11comp_targetILNS1_3genE2ELNS1_11target_archE906ELNS1_3gpuE6ELNS1_3repE0EEENS1_30default_config_static_selectorELNS0_4arch9wavefront6targetE0EEEvSM_ ; -- Begin function _ZN7rocprim17ROCPRIM_400000_NS6detail17trampoline_kernelINS0_14default_configENS1_22reduce_config_selectorIbEEZNS1_11reduce_implILb1ES3_N6hipcub16HIPCUB_304000_NS22TransformInputIteratorIb7NonZeroIaEPalEEPllNS8_6detail34convert_binary_result_type_wrapperINS8_3SumESD_lEEEE10hipError_tPvRmT1_T2_T3_mT4_P12ihipStream_tbEUlT_E1_NS1_11comp_targetILNS1_3genE2ELNS1_11target_archE906ELNS1_3gpuE6ELNS1_3repE0EEENS1_30default_config_static_selectorELNS0_4arch9wavefront6targetE0EEEvSM_
	.globl	_ZN7rocprim17ROCPRIM_400000_NS6detail17trampoline_kernelINS0_14default_configENS1_22reduce_config_selectorIbEEZNS1_11reduce_implILb1ES3_N6hipcub16HIPCUB_304000_NS22TransformInputIteratorIb7NonZeroIaEPalEEPllNS8_6detail34convert_binary_result_type_wrapperINS8_3SumESD_lEEEE10hipError_tPvRmT1_T2_T3_mT4_P12ihipStream_tbEUlT_E1_NS1_11comp_targetILNS1_3genE2ELNS1_11target_archE906ELNS1_3gpuE6ELNS1_3repE0EEENS1_30default_config_static_selectorELNS0_4arch9wavefront6targetE0EEEvSM_
	.p2align	8
	.type	_ZN7rocprim17ROCPRIM_400000_NS6detail17trampoline_kernelINS0_14default_configENS1_22reduce_config_selectorIbEEZNS1_11reduce_implILb1ES3_N6hipcub16HIPCUB_304000_NS22TransformInputIteratorIb7NonZeroIaEPalEEPllNS8_6detail34convert_binary_result_type_wrapperINS8_3SumESD_lEEEE10hipError_tPvRmT1_T2_T3_mT4_P12ihipStream_tbEUlT_E1_NS1_11comp_targetILNS1_3genE2ELNS1_11target_archE906ELNS1_3gpuE6ELNS1_3repE0EEENS1_30default_config_static_selectorELNS0_4arch9wavefront6targetE0EEEvSM_,@function
_ZN7rocprim17ROCPRIM_400000_NS6detail17trampoline_kernelINS0_14default_configENS1_22reduce_config_selectorIbEEZNS1_11reduce_implILb1ES3_N6hipcub16HIPCUB_304000_NS22TransformInputIteratorIb7NonZeroIaEPalEEPllNS8_6detail34convert_binary_result_type_wrapperINS8_3SumESD_lEEEE10hipError_tPvRmT1_T2_T3_mT4_P12ihipStream_tbEUlT_E1_NS1_11comp_targetILNS1_3genE2ELNS1_11target_archE906ELNS1_3gpuE6ELNS1_3repE0EEENS1_30default_config_static_selectorELNS0_4arch9wavefront6targetE0EEEvSM_: ; @_ZN7rocprim17ROCPRIM_400000_NS6detail17trampoline_kernelINS0_14default_configENS1_22reduce_config_selectorIbEEZNS1_11reduce_implILb1ES3_N6hipcub16HIPCUB_304000_NS22TransformInputIteratorIb7NonZeroIaEPalEEPllNS8_6detail34convert_binary_result_type_wrapperINS8_3SumESD_lEEEE10hipError_tPvRmT1_T2_T3_mT4_P12ihipStream_tbEUlT_E1_NS1_11comp_targetILNS1_3genE2ELNS1_11target_archE906ELNS1_3gpuE6ELNS1_3repE0EEENS1_30default_config_static_selectorELNS0_4arch9wavefront6targetE0EEEvSM_
; %bb.0:
	.section	.rodata,"a",@progbits
	.p2align	6, 0x0
	.amdhsa_kernel _ZN7rocprim17ROCPRIM_400000_NS6detail17trampoline_kernelINS0_14default_configENS1_22reduce_config_selectorIbEEZNS1_11reduce_implILb1ES3_N6hipcub16HIPCUB_304000_NS22TransformInputIteratorIb7NonZeroIaEPalEEPllNS8_6detail34convert_binary_result_type_wrapperINS8_3SumESD_lEEEE10hipError_tPvRmT1_T2_T3_mT4_P12ihipStream_tbEUlT_E1_NS1_11comp_targetILNS1_3genE2ELNS1_11target_archE906ELNS1_3gpuE6ELNS1_3repE0EEENS1_30default_config_static_selectorELNS0_4arch9wavefront6targetE0EEEvSM_
		.amdhsa_group_segment_fixed_size 0
		.amdhsa_private_segment_fixed_size 0
		.amdhsa_kernarg_size 56
		.amdhsa_user_sgpr_count 15
		.amdhsa_user_sgpr_dispatch_ptr 0
		.amdhsa_user_sgpr_queue_ptr 0
		.amdhsa_user_sgpr_kernarg_segment_ptr 1
		.amdhsa_user_sgpr_dispatch_id 0
		.amdhsa_user_sgpr_private_segment_size 0
		.amdhsa_wavefront_size32 1
		.amdhsa_uses_dynamic_stack 0
		.amdhsa_enable_private_segment 0
		.amdhsa_system_sgpr_workgroup_id_x 1
		.amdhsa_system_sgpr_workgroup_id_y 0
		.amdhsa_system_sgpr_workgroup_id_z 0
		.amdhsa_system_sgpr_workgroup_info 0
		.amdhsa_system_vgpr_workitem_id 0
		.amdhsa_next_free_vgpr 1
		.amdhsa_next_free_sgpr 1
		.amdhsa_reserve_vcc 0
		.amdhsa_float_round_mode_32 0
		.amdhsa_float_round_mode_16_64 0
		.amdhsa_float_denorm_mode_32 3
		.amdhsa_float_denorm_mode_16_64 3
		.amdhsa_dx10_clamp 1
		.amdhsa_ieee_mode 1
		.amdhsa_fp16_overflow 0
		.amdhsa_workgroup_processor_mode 1
		.amdhsa_memory_ordered 1
		.amdhsa_forward_progress 0
		.amdhsa_shared_vgpr_count 0
		.amdhsa_exception_fp_ieee_invalid_op 0
		.amdhsa_exception_fp_denorm_src 0
		.amdhsa_exception_fp_ieee_div_zero 0
		.amdhsa_exception_fp_ieee_overflow 0
		.amdhsa_exception_fp_ieee_underflow 0
		.amdhsa_exception_fp_ieee_inexact 0
		.amdhsa_exception_int_div_zero 0
	.end_amdhsa_kernel
	.section	.text._ZN7rocprim17ROCPRIM_400000_NS6detail17trampoline_kernelINS0_14default_configENS1_22reduce_config_selectorIbEEZNS1_11reduce_implILb1ES3_N6hipcub16HIPCUB_304000_NS22TransformInputIteratorIb7NonZeroIaEPalEEPllNS8_6detail34convert_binary_result_type_wrapperINS8_3SumESD_lEEEE10hipError_tPvRmT1_T2_T3_mT4_P12ihipStream_tbEUlT_E1_NS1_11comp_targetILNS1_3genE2ELNS1_11target_archE906ELNS1_3gpuE6ELNS1_3repE0EEENS1_30default_config_static_selectorELNS0_4arch9wavefront6targetE0EEEvSM_,"axG",@progbits,_ZN7rocprim17ROCPRIM_400000_NS6detail17trampoline_kernelINS0_14default_configENS1_22reduce_config_selectorIbEEZNS1_11reduce_implILb1ES3_N6hipcub16HIPCUB_304000_NS22TransformInputIteratorIb7NonZeroIaEPalEEPllNS8_6detail34convert_binary_result_type_wrapperINS8_3SumESD_lEEEE10hipError_tPvRmT1_T2_T3_mT4_P12ihipStream_tbEUlT_E1_NS1_11comp_targetILNS1_3genE2ELNS1_11target_archE906ELNS1_3gpuE6ELNS1_3repE0EEENS1_30default_config_static_selectorELNS0_4arch9wavefront6targetE0EEEvSM_,comdat
.Lfunc_end31:
	.size	_ZN7rocprim17ROCPRIM_400000_NS6detail17trampoline_kernelINS0_14default_configENS1_22reduce_config_selectorIbEEZNS1_11reduce_implILb1ES3_N6hipcub16HIPCUB_304000_NS22TransformInputIteratorIb7NonZeroIaEPalEEPllNS8_6detail34convert_binary_result_type_wrapperINS8_3SumESD_lEEEE10hipError_tPvRmT1_T2_T3_mT4_P12ihipStream_tbEUlT_E1_NS1_11comp_targetILNS1_3genE2ELNS1_11target_archE906ELNS1_3gpuE6ELNS1_3repE0EEENS1_30default_config_static_selectorELNS0_4arch9wavefront6targetE0EEEvSM_, .Lfunc_end31-_ZN7rocprim17ROCPRIM_400000_NS6detail17trampoline_kernelINS0_14default_configENS1_22reduce_config_selectorIbEEZNS1_11reduce_implILb1ES3_N6hipcub16HIPCUB_304000_NS22TransformInputIteratorIb7NonZeroIaEPalEEPllNS8_6detail34convert_binary_result_type_wrapperINS8_3SumESD_lEEEE10hipError_tPvRmT1_T2_T3_mT4_P12ihipStream_tbEUlT_E1_NS1_11comp_targetILNS1_3genE2ELNS1_11target_archE906ELNS1_3gpuE6ELNS1_3repE0EEENS1_30default_config_static_selectorELNS0_4arch9wavefront6targetE0EEEvSM_
                                        ; -- End function
	.section	.AMDGPU.csdata,"",@progbits
; Kernel info:
; codeLenInByte = 0
; NumSgprs: 0
; NumVgprs: 0
; ScratchSize: 0
; MemoryBound: 0
; FloatMode: 240
; IeeeMode: 1
; LDSByteSize: 0 bytes/workgroup (compile time only)
; SGPRBlocks: 0
; VGPRBlocks: 0
; NumSGPRsForWavesPerEU: 1
; NumVGPRsForWavesPerEU: 1
; Occupancy: 16
; WaveLimiterHint : 0
; COMPUTE_PGM_RSRC2:SCRATCH_EN: 0
; COMPUTE_PGM_RSRC2:USER_SGPR: 15
; COMPUTE_PGM_RSRC2:TRAP_HANDLER: 0
; COMPUTE_PGM_RSRC2:TGID_X_EN: 1
; COMPUTE_PGM_RSRC2:TGID_Y_EN: 0
; COMPUTE_PGM_RSRC2:TGID_Z_EN: 0
; COMPUTE_PGM_RSRC2:TIDIG_COMP_CNT: 0
	.section	.text._ZN7rocprim17ROCPRIM_400000_NS6detail17trampoline_kernelINS0_14default_configENS1_22reduce_config_selectorIbEEZNS1_11reduce_implILb1ES3_N6hipcub16HIPCUB_304000_NS22TransformInputIteratorIb7NonZeroIaEPalEEPllNS8_6detail34convert_binary_result_type_wrapperINS8_3SumESD_lEEEE10hipError_tPvRmT1_T2_T3_mT4_P12ihipStream_tbEUlT_E1_NS1_11comp_targetILNS1_3genE10ELNS1_11target_archE1201ELNS1_3gpuE5ELNS1_3repE0EEENS1_30default_config_static_selectorELNS0_4arch9wavefront6targetE0EEEvSM_,"axG",@progbits,_ZN7rocprim17ROCPRIM_400000_NS6detail17trampoline_kernelINS0_14default_configENS1_22reduce_config_selectorIbEEZNS1_11reduce_implILb1ES3_N6hipcub16HIPCUB_304000_NS22TransformInputIteratorIb7NonZeroIaEPalEEPllNS8_6detail34convert_binary_result_type_wrapperINS8_3SumESD_lEEEE10hipError_tPvRmT1_T2_T3_mT4_P12ihipStream_tbEUlT_E1_NS1_11comp_targetILNS1_3genE10ELNS1_11target_archE1201ELNS1_3gpuE5ELNS1_3repE0EEENS1_30default_config_static_selectorELNS0_4arch9wavefront6targetE0EEEvSM_,comdat
	.protected	_ZN7rocprim17ROCPRIM_400000_NS6detail17trampoline_kernelINS0_14default_configENS1_22reduce_config_selectorIbEEZNS1_11reduce_implILb1ES3_N6hipcub16HIPCUB_304000_NS22TransformInputIteratorIb7NonZeroIaEPalEEPllNS8_6detail34convert_binary_result_type_wrapperINS8_3SumESD_lEEEE10hipError_tPvRmT1_T2_T3_mT4_P12ihipStream_tbEUlT_E1_NS1_11comp_targetILNS1_3genE10ELNS1_11target_archE1201ELNS1_3gpuE5ELNS1_3repE0EEENS1_30default_config_static_selectorELNS0_4arch9wavefront6targetE0EEEvSM_ ; -- Begin function _ZN7rocprim17ROCPRIM_400000_NS6detail17trampoline_kernelINS0_14default_configENS1_22reduce_config_selectorIbEEZNS1_11reduce_implILb1ES3_N6hipcub16HIPCUB_304000_NS22TransformInputIteratorIb7NonZeroIaEPalEEPllNS8_6detail34convert_binary_result_type_wrapperINS8_3SumESD_lEEEE10hipError_tPvRmT1_T2_T3_mT4_P12ihipStream_tbEUlT_E1_NS1_11comp_targetILNS1_3genE10ELNS1_11target_archE1201ELNS1_3gpuE5ELNS1_3repE0EEENS1_30default_config_static_selectorELNS0_4arch9wavefront6targetE0EEEvSM_
	.globl	_ZN7rocprim17ROCPRIM_400000_NS6detail17trampoline_kernelINS0_14default_configENS1_22reduce_config_selectorIbEEZNS1_11reduce_implILb1ES3_N6hipcub16HIPCUB_304000_NS22TransformInputIteratorIb7NonZeroIaEPalEEPllNS8_6detail34convert_binary_result_type_wrapperINS8_3SumESD_lEEEE10hipError_tPvRmT1_T2_T3_mT4_P12ihipStream_tbEUlT_E1_NS1_11comp_targetILNS1_3genE10ELNS1_11target_archE1201ELNS1_3gpuE5ELNS1_3repE0EEENS1_30default_config_static_selectorELNS0_4arch9wavefront6targetE0EEEvSM_
	.p2align	8
	.type	_ZN7rocprim17ROCPRIM_400000_NS6detail17trampoline_kernelINS0_14default_configENS1_22reduce_config_selectorIbEEZNS1_11reduce_implILb1ES3_N6hipcub16HIPCUB_304000_NS22TransformInputIteratorIb7NonZeroIaEPalEEPllNS8_6detail34convert_binary_result_type_wrapperINS8_3SumESD_lEEEE10hipError_tPvRmT1_T2_T3_mT4_P12ihipStream_tbEUlT_E1_NS1_11comp_targetILNS1_3genE10ELNS1_11target_archE1201ELNS1_3gpuE5ELNS1_3repE0EEENS1_30default_config_static_selectorELNS0_4arch9wavefront6targetE0EEEvSM_,@function
_ZN7rocprim17ROCPRIM_400000_NS6detail17trampoline_kernelINS0_14default_configENS1_22reduce_config_selectorIbEEZNS1_11reduce_implILb1ES3_N6hipcub16HIPCUB_304000_NS22TransformInputIteratorIb7NonZeroIaEPalEEPllNS8_6detail34convert_binary_result_type_wrapperINS8_3SumESD_lEEEE10hipError_tPvRmT1_T2_T3_mT4_P12ihipStream_tbEUlT_E1_NS1_11comp_targetILNS1_3genE10ELNS1_11target_archE1201ELNS1_3gpuE5ELNS1_3repE0EEENS1_30default_config_static_selectorELNS0_4arch9wavefront6targetE0EEEvSM_: ; @_ZN7rocprim17ROCPRIM_400000_NS6detail17trampoline_kernelINS0_14default_configENS1_22reduce_config_selectorIbEEZNS1_11reduce_implILb1ES3_N6hipcub16HIPCUB_304000_NS22TransformInputIteratorIb7NonZeroIaEPalEEPllNS8_6detail34convert_binary_result_type_wrapperINS8_3SumESD_lEEEE10hipError_tPvRmT1_T2_T3_mT4_P12ihipStream_tbEUlT_E1_NS1_11comp_targetILNS1_3genE10ELNS1_11target_archE1201ELNS1_3gpuE5ELNS1_3repE0EEENS1_30default_config_static_selectorELNS0_4arch9wavefront6targetE0EEEvSM_
; %bb.0:
	.section	.rodata,"a",@progbits
	.p2align	6, 0x0
	.amdhsa_kernel _ZN7rocprim17ROCPRIM_400000_NS6detail17trampoline_kernelINS0_14default_configENS1_22reduce_config_selectorIbEEZNS1_11reduce_implILb1ES3_N6hipcub16HIPCUB_304000_NS22TransformInputIteratorIb7NonZeroIaEPalEEPllNS8_6detail34convert_binary_result_type_wrapperINS8_3SumESD_lEEEE10hipError_tPvRmT1_T2_T3_mT4_P12ihipStream_tbEUlT_E1_NS1_11comp_targetILNS1_3genE10ELNS1_11target_archE1201ELNS1_3gpuE5ELNS1_3repE0EEENS1_30default_config_static_selectorELNS0_4arch9wavefront6targetE0EEEvSM_
		.amdhsa_group_segment_fixed_size 0
		.amdhsa_private_segment_fixed_size 0
		.amdhsa_kernarg_size 56
		.amdhsa_user_sgpr_count 15
		.amdhsa_user_sgpr_dispatch_ptr 0
		.amdhsa_user_sgpr_queue_ptr 0
		.amdhsa_user_sgpr_kernarg_segment_ptr 1
		.amdhsa_user_sgpr_dispatch_id 0
		.amdhsa_user_sgpr_private_segment_size 0
		.amdhsa_wavefront_size32 1
		.amdhsa_uses_dynamic_stack 0
		.amdhsa_enable_private_segment 0
		.amdhsa_system_sgpr_workgroup_id_x 1
		.amdhsa_system_sgpr_workgroup_id_y 0
		.amdhsa_system_sgpr_workgroup_id_z 0
		.amdhsa_system_sgpr_workgroup_info 0
		.amdhsa_system_vgpr_workitem_id 0
		.amdhsa_next_free_vgpr 1
		.amdhsa_next_free_sgpr 1
		.amdhsa_reserve_vcc 0
		.amdhsa_float_round_mode_32 0
		.amdhsa_float_round_mode_16_64 0
		.amdhsa_float_denorm_mode_32 3
		.amdhsa_float_denorm_mode_16_64 3
		.amdhsa_dx10_clamp 1
		.amdhsa_ieee_mode 1
		.amdhsa_fp16_overflow 0
		.amdhsa_workgroup_processor_mode 1
		.amdhsa_memory_ordered 1
		.amdhsa_forward_progress 0
		.amdhsa_shared_vgpr_count 0
		.amdhsa_exception_fp_ieee_invalid_op 0
		.amdhsa_exception_fp_denorm_src 0
		.amdhsa_exception_fp_ieee_div_zero 0
		.amdhsa_exception_fp_ieee_overflow 0
		.amdhsa_exception_fp_ieee_underflow 0
		.amdhsa_exception_fp_ieee_inexact 0
		.amdhsa_exception_int_div_zero 0
	.end_amdhsa_kernel
	.section	.text._ZN7rocprim17ROCPRIM_400000_NS6detail17trampoline_kernelINS0_14default_configENS1_22reduce_config_selectorIbEEZNS1_11reduce_implILb1ES3_N6hipcub16HIPCUB_304000_NS22TransformInputIteratorIb7NonZeroIaEPalEEPllNS8_6detail34convert_binary_result_type_wrapperINS8_3SumESD_lEEEE10hipError_tPvRmT1_T2_T3_mT4_P12ihipStream_tbEUlT_E1_NS1_11comp_targetILNS1_3genE10ELNS1_11target_archE1201ELNS1_3gpuE5ELNS1_3repE0EEENS1_30default_config_static_selectorELNS0_4arch9wavefront6targetE0EEEvSM_,"axG",@progbits,_ZN7rocprim17ROCPRIM_400000_NS6detail17trampoline_kernelINS0_14default_configENS1_22reduce_config_selectorIbEEZNS1_11reduce_implILb1ES3_N6hipcub16HIPCUB_304000_NS22TransformInputIteratorIb7NonZeroIaEPalEEPllNS8_6detail34convert_binary_result_type_wrapperINS8_3SumESD_lEEEE10hipError_tPvRmT1_T2_T3_mT4_P12ihipStream_tbEUlT_E1_NS1_11comp_targetILNS1_3genE10ELNS1_11target_archE1201ELNS1_3gpuE5ELNS1_3repE0EEENS1_30default_config_static_selectorELNS0_4arch9wavefront6targetE0EEEvSM_,comdat
.Lfunc_end32:
	.size	_ZN7rocprim17ROCPRIM_400000_NS6detail17trampoline_kernelINS0_14default_configENS1_22reduce_config_selectorIbEEZNS1_11reduce_implILb1ES3_N6hipcub16HIPCUB_304000_NS22TransformInputIteratorIb7NonZeroIaEPalEEPllNS8_6detail34convert_binary_result_type_wrapperINS8_3SumESD_lEEEE10hipError_tPvRmT1_T2_T3_mT4_P12ihipStream_tbEUlT_E1_NS1_11comp_targetILNS1_3genE10ELNS1_11target_archE1201ELNS1_3gpuE5ELNS1_3repE0EEENS1_30default_config_static_selectorELNS0_4arch9wavefront6targetE0EEEvSM_, .Lfunc_end32-_ZN7rocprim17ROCPRIM_400000_NS6detail17trampoline_kernelINS0_14default_configENS1_22reduce_config_selectorIbEEZNS1_11reduce_implILb1ES3_N6hipcub16HIPCUB_304000_NS22TransformInputIteratorIb7NonZeroIaEPalEEPllNS8_6detail34convert_binary_result_type_wrapperINS8_3SumESD_lEEEE10hipError_tPvRmT1_T2_T3_mT4_P12ihipStream_tbEUlT_E1_NS1_11comp_targetILNS1_3genE10ELNS1_11target_archE1201ELNS1_3gpuE5ELNS1_3repE0EEENS1_30default_config_static_selectorELNS0_4arch9wavefront6targetE0EEEvSM_
                                        ; -- End function
	.section	.AMDGPU.csdata,"",@progbits
; Kernel info:
; codeLenInByte = 0
; NumSgprs: 0
; NumVgprs: 0
; ScratchSize: 0
; MemoryBound: 0
; FloatMode: 240
; IeeeMode: 1
; LDSByteSize: 0 bytes/workgroup (compile time only)
; SGPRBlocks: 0
; VGPRBlocks: 0
; NumSGPRsForWavesPerEU: 1
; NumVGPRsForWavesPerEU: 1
; Occupancy: 16
; WaveLimiterHint : 0
; COMPUTE_PGM_RSRC2:SCRATCH_EN: 0
; COMPUTE_PGM_RSRC2:USER_SGPR: 15
; COMPUTE_PGM_RSRC2:TRAP_HANDLER: 0
; COMPUTE_PGM_RSRC2:TGID_X_EN: 1
; COMPUTE_PGM_RSRC2:TGID_Y_EN: 0
; COMPUTE_PGM_RSRC2:TGID_Z_EN: 0
; COMPUTE_PGM_RSRC2:TIDIG_COMP_CNT: 0
	.section	.text._ZN7rocprim17ROCPRIM_400000_NS6detail17trampoline_kernelINS0_14default_configENS1_22reduce_config_selectorIbEEZNS1_11reduce_implILb1ES3_N6hipcub16HIPCUB_304000_NS22TransformInputIteratorIb7NonZeroIaEPalEEPllNS8_6detail34convert_binary_result_type_wrapperINS8_3SumESD_lEEEE10hipError_tPvRmT1_T2_T3_mT4_P12ihipStream_tbEUlT_E1_NS1_11comp_targetILNS1_3genE10ELNS1_11target_archE1200ELNS1_3gpuE4ELNS1_3repE0EEENS1_30default_config_static_selectorELNS0_4arch9wavefront6targetE0EEEvSM_,"axG",@progbits,_ZN7rocprim17ROCPRIM_400000_NS6detail17trampoline_kernelINS0_14default_configENS1_22reduce_config_selectorIbEEZNS1_11reduce_implILb1ES3_N6hipcub16HIPCUB_304000_NS22TransformInputIteratorIb7NonZeroIaEPalEEPllNS8_6detail34convert_binary_result_type_wrapperINS8_3SumESD_lEEEE10hipError_tPvRmT1_T2_T3_mT4_P12ihipStream_tbEUlT_E1_NS1_11comp_targetILNS1_3genE10ELNS1_11target_archE1200ELNS1_3gpuE4ELNS1_3repE0EEENS1_30default_config_static_selectorELNS0_4arch9wavefront6targetE0EEEvSM_,comdat
	.protected	_ZN7rocprim17ROCPRIM_400000_NS6detail17trampoline_kernelINS0_14default_configENS1_22reduce_config_selectorIbEEZNS1_11reduce_implILb1ES3_N6hipcub16HIPCUB_304000_NS22TransformInputIteratorIb7NonZeroIaEPalEEPllNS8_6detail34convert_binary_result_type_wrapperINS8_3SumESD_lEEEE10hipError_tPvRmT1_T2_T3_mT4_P12ihipStream_tbEUlT_E1_NS1_11comp_targetILNS1_3genE10ELNS1_11target_archE1200ELNS1_3gpuE4ELNS1_3repE0EEENS1_30default_config_static_selectorELNS0_4arch9wavefront6targetE0EEEvSM_ ; -- Begin function _ZN7rocprim17ROCPRIM_400000_NS6detail17trampoline_kernelINS0_14default_configENS1_22reduce_config_selectorIbEEZNS1_11reduce_implILb1ES3_N6hipcub16HIPCUB_304000_NS22TransformInputIteratorIb7NonZeroIaEPalEEPllNS8_6detail34convert_binary_result_type_wrapperINS8_3SumESD_lEEEE10hipError_tPvRmT1_T2_T3_mT4_P12ihipStream_tbEUlT_E1_NS1_11comp_targetILNS1_3genE10ELNS1_11target_archE1200ELNS1_3gpuE4ELNS1_3repE0EEENS1_30default_config_static_selectorELNS0_4arch9wavefront6targetE0EEEvSM_
	.globl	_ZN7rocprim17ROCPRIM_400000_NS6detail17trampoline_kernelINS0_14default_configENS1_22reduce_config_selectorIbEEZNS1_11reduce_implILb1ES3_N6hipcub16HIPCUB_304000_NS22TransformInputIteratorIb7NonZeroIaEPalEEPllNS8_6detail34convert_binary_result_type_wrapperINS8_3SumESD_lEEEE10hipError_tPvRmT1_T2_T3_mT4_P12ihipStream_tbEUlT_E1_NS1_11comp_targetILNS1_3genE10ELNS1_11target_archE1200ELNS1_3gpuE4ELNS1_3repE0EEENS1_30default_config_static_selectorELNS0_4arch9wavefront6targetE0EEEvSM_
	.p2align	8
	.type	_ZN7rocprim17ROCPRIM_400000_NS6detail17trampoline_kernelINS0_14default_configENS1_22reduce_config_selectorIbEEZNS1_11reduce_implILb1ES3_N6hipcub16HIPCUB_304000_NS22TransformInputIteratorIb7NonZeroIaEPalEEPllNS8_6detail34convert_binary_result_type_wrapperINS8_3SumESD_lEEEE10hipError_tPvRmT1_T2_T3_mT4_P12ihipStream_tbEUlT_E1_NS1_11comp_targetILNS1_3genE10ELNS1_11target_archE1200ELNS1_3gpuE4ELNS1_3repE0EEENS1_30default_config_static_selectorELNS0_4arch9wavefront6targetE0EEEvSM_,@function
_ZN7rocprim17ROCPRIM_400000_NS6detail17trampoline_kernelINS0_14default_configENS1_22reduce_config_selectorIbEEZNS1_11reduce_implILb1ES3_N6hipcub16HIPCUB_304000_NS22TransformInputIteratorIb7NonZeroIaEPalEEPllNS8_6detail34convert_binary_result_type_wrapperINS8_3SumESD_lEEEE10hipError_tPvRmT1_T2_T3_mT4_P12ihipStream_tbEUlT_E1_NS1_11comp_targetILNS1_3genE10ELNS1_11target_archE1200ELNS1_3gpuE4ELNS1_3repE0EEENS1_30default_config_static_selectorELNS0_4arch9wavefront6targetE0EEEvSM_: ; @_ZN7rocprim17ROCPRIM_400000_NS6detail17trampoline_kernelINS0_14default_configENS1_22reduce_config_selectorIbEEZNS1_11reduce_implILb1ES3_N6hipcub16HIPCUB_304000_NS22TransformInputIteratorIb7NonZeroIaEPalEEPllNS8_6detail34convert_binary_result_type_wrapperINS8_3SumESD_lEEEE10hipError_tPvRmT1_T2_T3_mT4_P12ihipStream_tbEUlT_E1_NS1_11comp_targetILNS1_3genE10ELNS1_11target_archE1200ELNS1_3gpuE4ELNS1_3repE0EEENS1_30default_config_static_selectorELNS0_4arch9wavefront6targetE0EEEvSM_
; %bb.0:
	.section	.rodata,"a",@progbits
	.p2align	6, 0x0
	.amdhsa_kernel _ZN7rocprim17ROCPRIM_400000_NS6detail17trampoline_kernelINS0_14default_configENS1_22reduce_config_selectorIbEEZNS1_11reduce_implILb1ES3_N6hipcub16HIPCUB_304000_NS22TransformInputIteratorIb7NonZeroIaEPalEEPllNS8_6detail34convert_binary_result_type_wrapperINS8_3SumESD_lEEEE10hipError_tPvRmT1_T2_T3_mT4_P12ihipStream_tbEUlT_E1_NS1_11comp_targetILNS1_3genE10ELNS1_11target_archE1200ELNS1_3gpuE4ELNS1_3repE0EEENS1_30default_config_static_selectorELNS0_4arch9wavefront6targetE0EEEvSM_
		.amdhsa_group_segment_fixed_size 0
		.amdhsa_private_segment_fixed_size 0
		.amdhsa_kernarg_size 56
		.amdhsa_user_sgpr_count 15
		.amdhsa_user_sgpr_dispatch_ptr 0
		.amdhsa_user_sgpr_queue_ptr 0
		.amdhsa_user_sgpr_kernarg_segment_ptr 1
		.amdhsa_user_sgpr_dispatch_id 0
		.amdhsa_user_sgpr_private_segment_size 0
		.amdhsa_wavefront_size32 1
		.amdhsa_uses_dynamic_stack 0
		.amdhsa_enable_private_segment 0
		.amdhsa_system_sgpr_workgroup_id_x 1
		.amdhsa_system_sgpr_workgroup_id_y 0
		.amdhsa_system_sgpr_workgroup_id_z 0
		.amdhsa_system_sgpr_workgroup_info 0
		.amdhsa_system_vgpr_workitem_id 0
		.amdhsa_next_free_vgpr 1
		.amdhsa_next_free_sgpr 1
		.amdhsa_reserve_vcc 0
		.amdhsa_float_round_mode_32 0
		.amdhsa_float_round_mode_16_64 0
		.amdhsa_float_denorm_mode_32 3
		.amdhsa_float_denorm_mode_16_64 3
		.amdhsa_dx10_clamp 1
		.amdhsa_ieee_mode 1
		.amdhsa_fp16_overflow 0
		.amdhsa_workgroup_processor_mode 1
		.amdhsa_memory_ordered 1
		.amdhsa_forward_progress 0
		.amdhsa_shared_vgpr_count 0
		.amdhsa_exception_fp_ieee_invalid_op 0
		.amdhsa_exception_fp_denorm_src 0
		.amdhsa_exception_fp_ieee_div_zero 0
		.amdhsa_exception_fp_ieee_overflow 0
		.amdhsa_exception_fp_ieee_underflow 0
		.amdhsa_exception_fp_ieee_inexact 0
		.amdhsa_exception_int_div_zero 0
	.end_amdhsa_kernel
	.section	.text._ZN7rocprim17ROCPRIM_400000_NS6detail17trampoline_kernelINS0_14default_configENS1_22reduce_config_selectorIbEEZNS1_11reduce_implILb1ES3_N6hipcub16HIPCUB_304000_NS22TransformInputIteratorIb7NonZeroIaEPalEEPllNS8_6detail34convert_binary_result_type_wrapperINS8_3SumESD_lEEEE10hipError_tPvRmT1_T2_T3_mT4_P12ihipStream_tbEUlT_E1_NS1_11comp_targetILNS1_3genE10ELNS1_11target_archE1200ELNS1_3gpuE4ELNS1_3repE0EEENS1_30default_config_static_selectorELNS0_4arch9wavefront6targetE0EEEvSM_,"axG",@progbits,_ZN7rocprim17ROCPRIM_400000_NS6detail17trampoline_kernelINS0_14default_configENS1_22reduce_config_selectorIbEEZNS1_11reduce_implILb1ES3_N6hipcub16HIPCUB_304000_NS22TransformInputIteratorIb7NonZeroIaEPalEEPllNS8_6detail34convert_binary_result_type_wrapperINS8_3SumESD_lEEEE10hipError_tPvRmT1_T2_T3_mT4_P12ihipStream_tbEUlT_E1_NS1_11comp_targetILNS1_3genE10ELNS1_11target_archE1200ELNS1_3gpuE4ELNS1_3repE0EEENS1_30default_config_static_selectorELNS0_4arch9wavefront6targetE0EEEvSM_,comdat
.Lfunc_end33:
	.size	_ZN7rocprim17ROCPRIM_400000_NS6detail17trampoline_kernelINS0_14default_configENS1_22reduce_config_selectorIbEEZNS1_11reduce_implILb1ES3_N6hipcub16HIPCUB_304000_NS22TransformInputIteratorIb7NonZeroIaEPalEEPllNS8_6detail34convert_binary_result_type_wrapperINS8_3SumESD_lEEEE10hipError_tPvRmT1_T2_T3_mT4_P12ihipStream_tbEUlT_E1_NS1_11comp_targetILNS1_3genE10ELNS1_11target_archE1200ELNS1_3gpuE4ELNS1_3repE0EEENS1_30default_config_static_selectorELNS0_4arch9wavefront6targetE0EEEvSM_, .Lfunc_end33-_ZN7rocprim17ROCPRIM_400000_NS6detail17trampoline_kernelINS0_14default_configENS1_22reduce_config_selectorIbEEZNS1_11reduce_implILb1ES3_N6hipcub16HIPCUB_304000_NS22TransformInputIteratorIb7NonZeroIaEPalEEPllNS8_6detail34convert_binary_result_type_wrapperINS8_3SumESD_lEEEE10hipError_tPvRmT1_T2_T3_mT4_P12ihipStream_tbEUlT_E1_NS1_11comp_targetILNS1_3genE10ELNS1_11target_archE1200ELNS1_3gpuE4ELNS1_3repE0EEENS1_30default_config_static_selectorELNS0_4arch9wavefront6targetE0EEEvSM_
                                        ; -- End function
	.section	.AMDGPU.csdata,"",@progbits
; Kernel info:
; codeLenInByte = 0
; NumSgprs: 0
; NumVgprs: 0
; ScratchSize: 0
; MemoryBound: 0
; FloatMode: 240
; IeeeMode: 1
; LDSByteSize: 0 bytes/workgroup (compile time only)
; SGPRBlocks: 0
; VGPRBlocks: 0
; NumSGPRsForWavesPerEU: 1
; NumVGPRsForWavesPerEU: 1
; Occupancy: 16
; WaveLimiterHint : 0
; COMPUTE_PGM_RSRC2:SCRATCH_EN: 0
; COMPUTE_PGM_RSRC2:USER_SGPR: 15
; COMPUTE_PGM_RSRC2:TRAP_HANDLER: 0
; COMPUTE_PGM_RSRC2:TGID_X_EN: 1
; COMPUTE_PGM_RSRC2:TGID_Y_EN: 0
; COMPUTE_PGM_RSRC2:TGID_Z_EN: 0
; COMPUTE_PGM_RSRC2:TIDIG_COMP_CNT: 0
	.section	.text._ZN7rocprim17ROCPRIM_400000_NS6detail17trampoline_kernelINS0_14default_configENS1_22reduce_config_selectorIbEEZNS1_11reduce_implILb1ES3_N6hipcub16HIPCUB_304000_NS22TransformInputIteratorIb7NonZeroIaEPalEEPllNS8_6detail34convert_binary_result_type_wrapperINS8_3SumESD_lEEEE10hipError_tPvRmT1_T2_T3_mT4_P12ihipStream_tbEUlT_E1_NS1_11comp_targetILNS1_3genE9ELNS1_11target_archE1100ELNS1_3gpuE3ELNS1_3repE0EEENS1_30default_config_static_selectorELNS0_4arch9wavefront6targetE0EEEvSM_,"axG",@progbits,_ZN7rocprim17ROCPRIM_400000_NS6detail17trampoline_kernelINS0_14default_configENS1_22reduce_config_selectorIbEEZNS1_11reduce_implILb1ES3_N6hipcub16HIPCUB_304000_NS22TransformInputIteratorIb7NonZeroIaEPalEEPllNS8_6detail34convert_binary_result_type_wrapperINS8_3SumESD_lEEEE10hipError_tPvRmT1_T2_T3_mT4_P12ihipStream_tbEUlT_E1_NS1_11comp_targetILNS1_3genE9ELNS1_11target_archE1100ELNS1_3gpuE3ELNS1_3repE0EEENS1_30default_config_static_selectorELNS0_4arch9wavefront6targetE0EEEvSM_,comdat
	.protected	_ZN7rocprim17ROCPRIM_400000_NS6detail17trampoline_kernelINS0_14default_configENS1_22reduce_config_selectorIbEEZNS1_11reduce_implILb1ES3_N6hipcub16HIPCUB_304000_NS22TransformInputIteratorIb7NonZeroIaEPalEEPllNS8_6detail34convert_binary_result_type_wrapperINS8_3SumESD_lEEEE10hipError_tPvRmT1_T2_T3_mT4_P12ihipStream_tbEUlT_E1_NS1_11comp_targetILNS1_3genE9ELNS1_11target_archE1100ELNS1_3gpuE3ELNS1_3repE0EEENS1_30default_config_static_selectorELNS0_4arch9wavefront6targetE0EEEvSM_ ; -- Begin function _ZN7rocprim17ROCPRIM_400000_NS6detail17trampoline_kernelINS0_14default_configENS1_22reduce_config_selectorIbEEZNS1_11reduce_implILb1ES3_N6hipcub16HIPCUB_304000_NS22TransformInputIteratorIb7NonZeroIaEPalEEPllNS8_6detail34convert_binary_result_type_wrapperINS8_3SumESD_lEEEE10hipError_tPvRmT1_T2_T3_mT4_P12ihipStream_tbEUlT_E1_NS1_11comp_targetILNS1_3genE9ELNS1_11target_archE1100ELNS1_3gpuE3ELNS1_3repE0EEENS1_30default_config_static_selectorELNS0_4arch9wavefront6targetE0EEEvSM_
	.globl	_ZN7rocprim17ROCPRIM_400000_NS6detail17trampoline_kernelINS0_14default_configENS1_22reduce_config_selectorIbEEZNS1_11reduce_implILb1ES3_N6hipcub16HIPCUB_304000_NS22TransformInputIteratorIb7NonZeroIaEPalEEPllNS8_6detail34convert_binary_result_type_wrapperINS8_3SumESD_lEEEE10hipError_tPvRmT1_T2_T3_mT4_P12ihipStream_tbEUlT_E1_NS1_11comp_targetILNS1_3genE9ELNS1_11target_archE1100ELNS1_3gpuE3ELNS1_3repE0EEENS1_30default_config_static_selectorELNS0_4arch9wavefront6targetE0EEEvSM_
	.p2align	8
	.type	_ZN7rocprim17ROCPRIM_400000_NS6detail17trampoline_kernelINS0_14default_configENS1_22reduce_config_selectorIbEEZNS1_11reduce_implILb1ES3_N6hipcub16HIPCUB_304000_NS22TransformInputIteratorIb7NonZeroIaEPalEEPllNS8_6detail34convert_binary_result_type_wrapperINS8_3SumESD_lEEEE10hipError_tPvRmT1_T2_T3_mT4_P12ihipStream_tbEUlT_E1_NS1_11comp_targetILNS1_3genE9ELNS1_11target_archE1100ELNS1_3gpuE3ELNS1_3repE0EEENS1_30default_config_static_selectorELNS0_4arch9wavefront6targetE0EEEvSM_,@function
_ZN7rocprim17ROCPRIM_400000_NS6detail17trampoline_kernelINS0_14default_configENS1_22reduce_config_selectorIbEEZNS1_11reduce_implILb1ES3_N6hipcub16HIPCUB_304000_NS22TransformInputIteratorIb7NonZeroIaEPalEEPllNS8_6detail34convert_binary_result_type_wrapperINS8_3SumESD_lEEEE10hipError_tPvRmT1_T2_T3_mT4_P12ihipStream_tbEUlT_E1_NS1_11comp_targetILNS1_3genE9ELNS1_11target_archE1100ELNS1_3gpuE3ELNS1_3repE0EEENS1_30default_config_static_selectorELNS0_4arch9wavefront6targetE0EEEvSM_: ; @_ZN7rocprim17ROCPRIM_400000_NS6detail17trampoline_kernelINS0_14default_configENS1_22reduce_config_selectorIbEEZNS1_11reduce_implILb1ES3_N6hipcub16HIPCUB_304000_NS22TransformInputIteratorIb7NonZeroIaEPalEEPllNS8_6detail34convert_binary_result_type_wrapperINS8_3SumESD_lEEEE10hipError_tPvRmT1_T2_T3_mT4_P12ihipStream_tbEUlT_E1_NS1_11comp_targetILNS1_3genE9ELNS1_11target_archE1100ELNS1_3gpuE3ELNS1_3repE0EEENS1_30default_config_static_selectorELNS0_4arch9wavefront6targetE0EEEvSM_
; %bb.0:
	s_clause 0x2
	s_load_b32 s26, s[0:1], 0x4
	s_load_b64 s[24:25], s[0:1], 0x8
	s_load_b128 s[20:23], s[0:1], 0x18
	s_mov_b32 s18, s15
	s_waitcnt lgkmcnt(0)
	s_cmp_lt_i32 s26, 16
	s_cbranch_scc1 .LBB34_11
; %bb.1:
	s_cmp_gt_i32 s26, 63
	s_cbranch_scc0 .LBB34_12
; %bb.2:
	s_cmpk_gt_i32 s26, 0x7f
	s_cbranch_scc0 .LBB34_13
; %bb.3:
	s_mov_b32 s3, 0
	s_cmpk_eq_i32 s26, 0x80
	s_mov_b32 s2, 0
                                        ; implicit-def: $vgpr1_vgpr2
	s_cbranch_scc0 .LBB34_14
; %bb.4:
	s_lshl_b32 s6, s18, 14
	s_lshr_b64 s[8:9], s[20:21], 14
	s_mov_b32 s19, 0
	s_add_u32 s4, s24, s6
	s_addc_u32 s5, s25, 0
	s_cmp_lg_u64 s[8:9], s[18:19]
	s_cbranch_scc0 .LBB34_22
; %bb.5:
	s_clause 0x1d
	global_load_u8 v9, v0, s[4:5]
	global_load_u8 v10, v0, s[4:5] offset:128
	global_load_u8 v11, v0, s[4:5] offset:256
	global_load_u8 v12, v0, s[4:5] offset:384
	global_load_u8 v13, v0, s[4:5] offset:512
	global_load_u8 v14, v0, s[4:5] offset:640
	global_load_u8 v15, v0, s[4:5] offset:768
	global_load_u8 v16, v0, s[4:5] offset:896
	global_load_u8 v17, v0, s[4:5] offset:1024
	global_load_u8 v18, v0, s[4:5] offset:1152
	global_load_u8 v19, v0, s[4:5] offset:1280
	global_load_u8 v20, v0, s[4:5] offset:1408
	global_load_u8 v21, v0, s[4:5] offset:1536
	global_load_u8 v22, v0, s[4:5] offset:1664
	global_load_u8 v23, v0, s[4:5] offset:1792
	global_load_u8 v24, v0, s[4:5] offset:1920
	global_load_u8 v25, v0, s[4:5] offset:2048
	global_load_u8 v26, v0, s[4:5] offset:2176
	global_load_u8 v27, v0, s[4:5] offset:2304
	global_load_u8 v28, v0, s[4:5] offset:2432
	global_load_u8 v29, v0, s[4:5] offset:2560
	global_load_u8 v30, v0, s[4:5] offset:2688
	global_load_u8 v31, v0, s[4:5] offset:2816
	global_load_u8 v32, v0, s[4:5] offset:2944
	global_load_u8 v33, v0, s[4:5] offset:3072
	global_load_u8 v34, v0, s[4:5] offset:3200
	global_load_u8 v35, v0, s[4:5] offset:3328
	global_load_u8 v36, v0, s[4:5] offset:3456
	global_load_u8 v37, v0, s[4:5] offset:3584
	global_load_u8 v38, v0, s[4:5] offset:3712
	v_add_co_u32 v7, s2, s4, v0
	s_delay_alu instid0(VALU_DEP_1)
	v_add_co_ci_u32_e64 v8, null, s5, 0, s2
	global_load_u8 v39, v0, s[4:5] offset:3840
	v_add_co_u32 v1, vcc_lo, v7, 0x2000
	v_add_co_ci_u32_e32 v2, vcc_lo, 0, v8, vcc_lo
	v_add_co_u32 v3, vcc_lo, 0x1000, v7
	s_clause 0x1
	global_load_u8 v40, v0, s[4:5] offset:3968
	global_load_u8 v41, v[1:2], off offset:-4096
	v_add_co_ci_u32_e32 v4, vcc_lo, 0, v8, vcc_lo
	s_clause 0x7
	global_load_u8 v42, v[3:4], off offset:128
	global_load_u8 v43, v[3:4], off offset:256
	;; [unrolled: 1-line block ×8, first 2 shown]
	v_add_co_u32 v5, vcc_lo, 0x2000, v7
	v_add_co_ci_u32_e32 v6, vcc_lo, 0, v8, vcc_lo
	v_add_co_u32 v7, vcc_lo, 0x3000, v7
	v_add_co_ci_u32_e32 v8, vcc_lo, 0, v8, vcc_lo
	s_clause 0x1f
	global_load_u8 v50, v[3:4], off offset:1152
	global_load_u8 v51, v[3:4], off offset:1280
	;; [unrolled: 1-line block ×16, first 2 shown]
	global_load_u8 v1, v[1:2], off
	global_load_u8 v2, v[3:4], off offset:3200
	global_load_u8 v66, v[3:4], off offset:3328
	;; [unrolled: 1-line block ×15, first 2 shown]
	s_clause 0x1f
	global_load_u8 v78, v[5:6], off offset:1152
	global_load_u8 v79, v[5:6], off offset:1280
	;; [unrolled: 1-line block ×23, first 2 shown]
	global_load_u8 v6, v[7:8], off
	global_load_u8 v100, v[7:8], off offset:128
	global_load_u8 v101, v[7:8], off offset:256
	;; [unrolled: 1-line block ×8, first 2 shown]
	s_clause 0x16
	global_load_u8 v108, v[7:8], off offset:1152
	global_load_u8 v109, v[7:8], off offset:1280
	;; [unrolled: 1-line block ×23, first 2 shown]
	s_waitcnt vmcnt(62)
	v_cmp_ne_u16_e32 vcc_lo, 0, v9
	v_cndmask_b32_e64 v9, 0, 1, vcc_lo
	v_cmp_ne_u16_e32 vcc_lo, 0, v10
	v_cndmask_b32_e64 v10, 0, 1, vcc_lo
	v_cmp_ne_u16_e32 vcc_lo, 0, v11
	s_delay_alu instid0(VALU_DEP_2)
	v_add_co_u32 v9, s2, v10, v9
	v_cndmask_b32_e64 v8, 0, 1, vcc_lo
	v_cmp_ne_u16_e32 vcc_lo, 0, v12
	v_add_co_ci_u32_e64 v11, null, 0, 0, s2
	v_cmp_ne_u16_e64 s2, 0, v13
	v_cndmask_b32_e64 v10, 0, 1, vcc_lo
	v_add_co_u32 v8, vcc_lo, v9, v8
	s_delay_alu instid0(VALU_DEP_4) | instskip(NEXT) | instid1(VALU_DEP_4)
	v_add_co_ci_u32_e32 v11, vcc_lo, 0, v11, vcc_lo
	v_cndmask_b32_e64 v9, 0, 1, s2
	s_delay_alu instid0(VALU_DEP_3) | instskip(SKIP_1) | instid1(VALU_DEP_4)
	v_add_co_u32 v8, vcc_lo, v8, v10
	v_cmp_ne_u16_e64 s2, 0, v14
	v_add_co_ci_u32_e32 v11, vcc_lo, 0, v11, vcc_lo
	s_delay_alu instid0(VALU_DEP_3) | instskip(NEXT) | instid1(VALU_DEP_3)
	v_add_co_u32 v8, vcc_lo, v8, v9
	v_cndmask_b32_e64 v10, 0, 1, s2
	v_cmp_ne_u16_e64 s2, 0, v15
	s_delay_alu instid0(VALU_DEP_4) | instskip(NEXT) | instid1(VALU_DEP_3)
	v_add_co_ci_u32_e32 v11, vcc_lo, 0, v11, vcc_lo
	v_add_co_u32 v8, vcc_lo, v8, v10
	s_delay_alu instid0(VALU_DEP_3) | instskip(SKIP_1) | instid1(VALU_DEP_4)
	v_cndmask_b32_e64 v9, 0, 1, s2
	v_cmp_ne_u16_e64 s2, 0, v16
	v_add_co_ci_u32_e32 v11, vcc_lo, 0, v11, vcc_lo
	s_delay_alu instid0(VALU_DEP_3) | instskip(NEXT) | instid1(VALU_DEP_3)
	v_add_co_u32 v8, vcc_lo, v8, v9
	v_cndmask_b32_e64 v10, 0, 1, s2
	v_cmp_ne_u16_e64 s2, 0, v17
	s_delay_alu instid0(VALU_DEP_4) | instskip(NEXT) | instid1(VALU_DEP_3)
	v_add_co_ci_u32_e32 v11, vcc_lo, 0, v11, vcc_lo
	v_add_co_u32 v8, vcc_lo, v8, v10
	s_delay_alu instid0(VALU_DEP_3) | instskip(SKIP_1) | instid1(VALU_DEP_4)
	v_cndmask_b32_e64 v9, 0, 1, s2
	;; [unrolled: 11-line block ×30, first 2 shown]
	v_cmp_ne_u16_e64 s2, 0, v4
	v_add_co_ci_u32_e32 v4, vcc_lo, 0, v8, vcc_lo
	s_delay_alu instid0(VALU_DEP_3) | instskip(NEXT) | instid1(VALU_DEP_3)
	v_add_co_u32 v1, vcc_lo, v2, v1
	v_cndmask_b32_e64 v3, 0, 1, s2
	s_waitcnt vmcnt(61)
	v_cmp_ne_u16_e64 s2, 0, v71
	v_add_co_ci_u32_e32 v4, vcc_lo, 0, v4, vcc_lo
	s_delay_alu instid0(VALU_DEP_3) | instskip(NEXT) | instid1(VALU_DEP_3)
	v_add_co_u32 v1, vcc_lo, v1, v3
	v_cndmask_b32_e64 v2, 0, 1, s2
	s_waitcnt vmcnt(60)
	;; [unrolled: 6-line block ×62, first 2 shown]
	v_cmp_ne_u16_e64 s2, 0, v7
	v_add_co_ci_u32_e32 v4, vcc_lo, 0, v4, vcc_lo
	s_delay_alu instid0(VALU_DEP_3) | instskip(NEXT) | instid1(VALU_DEP_3)
	v_add_co_u32 v1, vcc_lo, v1, v2
	v_cndmask_b32_e64 v3, 0, 1, s2
	s_delay_alu instid0(VALU_DEP_3) | instskip(SKIP_2) | instid1(VALU_DEP_3)
	v_add_co_ci_u32_e32 v2, vcc_lo, 0, v4, vcc_lo
	v_mov_b32_e32 v4, 0
	s_mov_b32 s2, exec_lo
	v_add_co_u32 v1, vcc_lo, v1, v3
	s_delay_alu instid0(VALU_DEP_3) | instskip(NEXT) | instid1(VALU_DEP_2)
	v_add_co_ci_u32_e32 v2, vcc_lo, 0, v2, vcc_lo
	v_mov_b32_dpp v3, v1 quad_perm:[1,0,3,2] row_mask:0xf bank_mask:0xf
	s_delay_alu instid0(VALU_DEP_1) | instskip(SKIP_1) | instid1(VALU_DEP_4)
	v_add_co_u32 v1, vcc_lo, v1, v3
	v_mov_b32_dpp v3, v4 quad_perm:[1,0,3,2] row_mask:0xf bank_mask:0xf
	v_add_co_ci_u32_e32 v2, vcc_lo, 0, v2, vcc_lo
	s_delay_alu instid0(VALU_DEP_3) | instskip(SKIP_1) | instid1(VALU_DEP_3)
	v_mov_b32_dpp v5, v1 quad_perm:[2,3,0,1] row_mask:0xf bank_mask:0xf
	v_add_co_u32 v1, vcc_lo, 0, v1
	v_add_co_ci_u32_e32 v2, vcc_lo, v3, v2, vcc_lo
	s_delay_alu instid0(VALU_DEP_2) | instskip(NEXT) | instid1(VALU_DEP_2)
	v_add_co_u32 v1, vcc_lo, v1, v5
	v_mov_b32_dpp v3, v2 quad_perm:[2,3,0,1] row_mask:0xf bank_mask:0xf
	v_add_co_ci_u32_e32 v2, vcc_lo, 0, v2, vcc_lo
	s_delay_alu instid0(VALU_DEP_3) | instskip(SKIP_1) | instid1(VALU_DEP_3)
	v_mov_b32_dpp v5, v1 row_ror:4 row_mask:0xf bank_mask:0xf
	v_add_co_u32 v1, vcc_lo, v1, 0
	v_add_co_ci_u32_e32 v2, vcc_lo, v2, v3, vcc_lo
	s_delay_alu instid0(VALU_DEP_2) | instskip(NEXT) | instid1(VALU_DEP_2)
	v_add_co_u32 v1, vcc_lo, v1, v5
	v_mov_b32_dpp v3, v2 row_ror:4 row_mask:0xf bank_mask:0xf
	v_add_co_ci_u32_e32 v2, vcc_lo, 0, v2, vcc_lo
	s_delay_alu instid0(VALU_DEP_3) | instskip(SKIP_1) | instid1(VALU_DEP_3)
	v_mov_b32_dpp v5, v1 row_ror:8 row_mask:0xf bank_mask:0xf
	v_add_co_u32 v1, vcc_lo, v1, 0
	v_add_co_ci_u32_e32 v2, vcc_lo, v2, v3, vcc_lo
	s_delay_alu instid0(VALU_DEP_2) | instskip(NEXT) | instid1(VALU_DEP_2)
	v_add_co_u32 v1, vcc_lo, v1, v5
	v_mov_b32_dpp v3, v2 row_ror:8 row_mask:0xf bank_mask:0xf
	v_add_co_ci_u32_e32 v2, vcc_lo, 0, v2, vcc_lo
	ds_swizzle_b32 v5, v1 offset:swizzle(BROADCAST,32,15)
	v_add_co_u32 v1, vcc_lo, v1, 0
	v_add_co_ci_u32_e32 v2, vcc_lo, v2, v3, vcc_lo
	ds_swizzle_b32 v3, v2 offset:swizzle(BROADCAST,32,15)
	s_waitcnt lgkmcnt(1)
	v_add_co_u32 v1, vcc_lo, v1, v5
	v_add_co_ci_u32_e32 v2, vcc_lo, 0, v2, vcc_lo
	ds_bpermute_b32 v1, v4, v1 offset:124
	s_waitcnt lgkmcnt(1)
	v_add_nc_u32_e32 v2, v3, v2
	v_mbcnt_lo_u32_b32 v3, -1, 0
	ds_bpermute_b32 v2, v4, v2 offset:124
	v_cmpx_eq_u32_e32 0, v3
	s_cbranch_execz .LBB34_7
; %bb.6:
	v_lshrrev_b32_e32 v4, 2, v0
	s_delay_alu instid0(VALU_DEP_1)
	v_and_b32_e32 v4, 24, v4
	s_waitcnt lgkmcnt(0)
	ds_store_b64 v4, v[1:2]
.LBB34_7:
	s_or_b32 exec_lo, exec_lo, s2
	s_delay_alu instid0(SALU_CYCLE_1)
	s_mov_b32 s2, exec_lo
	s_waitcnt lgkmcnt(0)
	s_barrier
	buffer_gl0_inv
	v_cmpx_gt_u32_e32 32, v0
	s_cbranch_execz .LBB34_9
; %bb.8:
	v_and_b32_e32 v4, 3, v3
	s_delay_alu instid0(VALU_DEP_1) | instskip(SKIP_4) | instid1(VALU_DEP_2)
	v_lshlrev_b32_e32 v1, 3, v4
	v_cmp_ne_u32_e32 vcc_lo, 3, v4
	ds_load_b64 v[1:2], v1
	v_add_co_ci_u32_e32 v5, vcc_lo, 0, v3, vcc_lo
	v_cmp_gt_u32_e32 vcc_lo, 2, v4
	v_lshlrev_b32_e32 v5, 2, v5
	v_cndmask_b32_e64 v4, 0, 1, vcc_lo
	s_delay_alu instid0(VALU_DEP_1) | instskip(NEXT) | instid1(VALU_DEP_1)
	v_lshlrev_b32_e32 v4, 1, v4
	v_add_lshl_u32 v3, v4, v3, 2
	s_waitcnt lgkmcnt(0)
	ds_bpermute_b32 v6, v5, v1
	ds_bpermute_b32 v5, v5, v2
	s_waitcnt lgkmcnt(1)
	v_add_co_u32 v1, vcc_lo, v1, v6
	v_add_co_ci_u32_e32 v2, vcc_lo, 0, v2, vcc_lo
	ds_bpermute_b32 v4, v3, v1
	v_add_co_u32 v1, vcc_lo, 0, v1
	s_waitcnt lgkmcnt(1)
	v_add_co_ci_u32_e32 v2, vcc_lo, v5, v2, vcc_lo
	ds_bpermute_b32 v3, v3, v2
	s_waitcnt lgkmcnt(1)
	v_add_co_u32 v1, vcc_lo, v1, v4
	v_add_co_ci_u32_e32 v2, vcc_lo, 0, v2, vcc_lo
	s_delay_alu instid0(VALU_DEP_2) | instskip(SKIP_1) | instid1(VALU_DEP_2)
	v_add_co_u32 v1, vcc_lo, v1, 0
	s_waitcnt lgkmcnt(0)
	v_add_co_ci_u32_e32 v2, vcc_lo, v2, v3, vcc_lo
.LBB34_9:
	s_or_b32 exec_lo, exec_lo, s2
.LBB34_10:
	v_cmp_eq_u32_e64 s2, 0, v0
	s_and_b32 vcc_lo, exec_lo, s3
	s_cbranch_vccnz .LBB34_15
	s_branch .LBB34_448
.LBB34_11:
	s_mov_b32 s2, 0
                                        ; implicit-def: $vgpr1_vgpr2
	s_cbranch_execnz .LBB34_606
	s_branch .LBB34_758
.LBB34_12:
	s_mov_b32 s2, 0
                                        ; implicit-def: $vgpr1_vgpr2
	s_cbranch_execnz .LBB34_449
	s_branch .LBB34_605
.LBB34_13:
	s_mov_b32 s3, -1
	s_mov_b32 s2, 0
                                        ; implicit-def: $vgpr1_vgpr2
.LBB34_14:
	s_and_b32 vcc_lo, exec_lo, s3
	s_cbranch_vccz .LBB34_448
.LBB34_15:
	s_cmp_eq_u32 s26, 64
                                        ; implicit-def: $vgpr1_vgpr2
	s_cbranch_scc0 .LBB34_448
; %bb.16:
	s_lshl_b32 s3, s18, 13
	s_lshr_b64 s[6:7], s[20:21], 13
	s_mov_b32 s19, 0
	s_add_u32 s4, s24, s3
	s_addc_u32 s5, s25, 0
	s_cmp_lg_u64 s[6:7], s[18:19]
	s_cbranch_scc0 .LBB34_298
; %bb.17:
	s_waitcnt lgkmcnt(0)
	s_clause 0x1f
	global_load_u8 v3, v0, s[4:5]
	global_load_u8 v4, v0, s[4:5] offset:128
	global_load_u8 v5, v0, s[4:5] offset:256
	global_load_u8 v6, v0, s[4:5] offset:384
	global_load_u8 v7, v0, s[4:5] offset:512
	global_load_u8 v8, v0, s[4:5] offset:640
	global_load_u8 v9, v0, s[4:5] offset:768
	global_load_u8 v10, v0, s[4:5] offset:896
	global_load_u8 v11, v0, s[4:5] offset:1024
	global_load_u8 v12, v0, s[4:5] offset:1152
	global_load_u8 v13, v0, s[4:5] offset:1280
	global_load_u8 v14, v0, s[4:5] offset:1408
	global_load_u8 v15, v0, s[4:5] offset:1536
	global_load_u8 v16, v0, s[4:5] offset:1664
	global_load_u8 v17, v0, s[4:5] offset:1792
	global_load_u8 v18, v0, s[4:5] offset:1920
	global_load_u8 v19, v0, s[4:5] offset:2048
	global_load_u8 v20, v0, s[4:5] offset:2176
	global_load_u8 v21, v0, s[4:5] offset:2304
	global_load_u8 v22, v0, s[4:5] offset:2432
	global_load_u8 v23, v0, s[4:5] offset:2560
	global_load_u8 v24, v0, s[4:5] offset:2688
	global_load_u8 v25, v0, s[4:5] offset:2816
	global_load_u8 v26, v0, s[4:5] offset:2944
	global_load_u8 v27, v0, s[4:5] offset:3072
	global_load_u8 v28, v0, s[4:5] offset:3200
	global_load_u8 v29, v0, s[4:5] offset:3328
	global_load_u8 v30, v0, s[4:5] offset:3456
	global_load_u8 v31, v0, s[4:5] offset:3584
	global_load_u8 v32, v0, s[4:5] offset:3712
	global_load_u8 v33, v0, s[4:5] offset:3840
	global_load_u8 v34, v0, s[4:5] offset:3968
	v_add_co_u32 v1, s2, s4, v0
	s_delay_alu instid0(VALU_DEP_1) | instskip(NEXT) | instid1(VALU_DEP_2)
	v_add_co_ci_u32_e64 v2, null, s5, 0, s2
	v_add_co_u32 v1, vcc_lo, 0x1000, v1
	s_delay_alu instid0(VALU_DEP_2)
	v_add_co_ci_u32_e32 v2, vcc_lo, 0, v2, vcc_lo
	s_clause 0x1f
	global_load_u8 v35, v[1:2], off
	global_load_u8 v36, v[1:2], off offset:128
	global_load_u8 v37, v[1:2], off offset:256
	global_load_u8 v38, v[1:2], off offset:384
	global_load_u8 v39, v[1:2], off offset:512
	global_load_u8 v40, v[1:2], off offset:640
	global_load_u8 v41, v[1:2], off offset:768
	global_load_u8 v42, v[1:2], off offset:896
	global_load_u8 v43, v[1:2], off offset:1024
	global_load_u8 v44, v[1:2], off offset:1152
	global_load_u8 v45, v[1:2], off offset:1280
	global_load_u8 v46, v[1:2], off offset:1408
	global_load_u8 v47, v[1:2], off offset:1536
	global_load_u8 v48, v[1:2], off offset:1664
	global_load_u8 v49, v[1:2], off offset:1792
	global_load_u8 v50, v[1:2], off offset:1920
	global_load_u8 v51, v[1:2], off offset:2048
	global_load_u8 v52, v[1:2], off offset:2176
	global_load_u8 v53, v[1:2], off offset:2304
	global_load_u8 v54, v[1:2], off offset:2432
	global_load_u8 v55, v[1:2], off offset:2560
	global_load_u8 v56, v[1:2], off offset:2688
	global_load_u8 v57, v[1:2], off offset:2816
	global_load_u8 v58, v[1:2], off offset:2944
	global_load_u8 v59, v[1:2], off offset:3072
	global_load_u8 v60, v[1:2], off offset:3200
	global_load_u8 v61, v[1:2], off offset:3328
	global_load_u8 v62, v[1:2], off offset:3456
	global_load_u8 v63, v[1:2], off offset:3584
	global_load_u8 v64, v[1:2], off offset:3712
	global_load_u8 v65, v[1:2], off offset:3840
	global_load_u8 v1, v[1:2], off offset:3968
	s_waitcnt vmcnt(62)
	v_cmp_ne_u16_e32 vcc_lo, 0, v3
	v_cndmask_b32_e64 v3, 0, 1, vcc_lo
	v_cmp_ne_u16_e32 vcc_lo, 0, v4
	v_cndmask_b32_e64 v4, 0, 1, vcc_lo
	s_waitcnt vmcnt(61)
	v_cmp_ne_u16_e32 vcc_lo, 0, v5
	s_delay_alu instid0(VALU_DEP_2)
	v_add_co_u32 v3, s2, v4, v3
	v_cndmask_b32_e64 v2, 0, 1, vcc_lo
	s_waitcnt vmcnt(60)
	v_cmp_ne_u16_e32 vcc_lo, 0, v6
	v_add_co_ci_u32_e64 v5, null, 0, 0, s2
	s_waitcnt vmcnt(59)
	v_cmp_ne_u16_e64 s2, 0, v7
	v_cndmask_b32_e64 v4, 0, 1, vcc_lo
	v_add_co_u32 v2, vcc_lo, v3, v2
	v_add_co_ci_u32_e32 v5, vcc_lo, 0, v5, vcc_lo
	s_delay_alu instid0(VALU_DEP_4) | instskip(NEXT) | instid1(VALU_DEP_3)
	v_cndmask_b32_e64 v3, 0, 1, s2
	v_add_co_u32 v2, vcc_lo, v2, v4
	s_waitcnt vmcnt(58)
	v_cmp_ne_u16_e64 s2, 0, v8
	v_add_co_ci_u32_e32 v5, vcc_lo, 0, v5, vcc_lo
	s_delay_alu instid0(VALU_DEP_3) | instskip(NEXT) | instid1(VALU_DEP_3)
	v_add_co_u32 v2, vcc_lo, v2, v3
	v_cndmask_b32_e64 v4, 0, 1, s2
	s_waitcnt vmcnt(57)
	v_cmp_ne_u16_e64 s2, 0, v9
	v_add_co_ci_u32_e32 v5, vcc_lo, 0, v5, vcc_lo
	s_delay_alu instid0(VALU_DEP_3) | instskip(NEXT) | instid1(VALU_DEP_3)
	v_add_co_u32 v2, vcc_lo, v2, v4
	v_cndmask_b32_e64 v3, 0, 1, s2
	;; [unrolled: 6-line block ×59, first 2 shown]
	s_delay_alu instid0(VALU_DEP_3) | instskip(SKIP_2) | instid1(VALU_DEP_3)
	v_add_co_ci_u32_e32 v3, vcc_lo, 0, v4, vcc_lo
	v_mov_b32_e32 v4, 0
	s_mov_b32 s2, exec_lo
	v_add_co_u32 v1, vcc_lo, v2, v1
	s_delay_alu instid0(VALU_DEP_3) | instskip(NEXT) | instid1(VALU_DEP_2)
	v_add_co_ci_u32_e32 v2, vcc_lo, 0, v3, vcc_lo
	v_mov_b32_dpp v3, v1 quad_perm:[1,0,3,2] row_mask:0xf bank_mask:0xf
	s_delay_alu instid0(VALU_DEP_1) | instskip(SKIP_1) | instid1(VALU_DEP_4)
	v_add_co_u32 v1, vcc_lo, v1, v3
	v_mov_b32_dpp v3, v4 quad_perm:[1,0,3,2] row_mask:0xf bank_mask:0xf
	v_add_co_ci_u32_e32 v2, vcc_lo, 0, v2, vcc_lo
	s_delay_alu instid0(VALU_DEP_3) | instskip(SKIP_1) | instid1(VALU_DEP_3)
	v_mov_b32_dpp v5, v1 quad_perm:[2,3,0,1] row_mask:0xf bank_mask:0xf
	v_add_co_u32 v1, vcc_lo, 0, v1
	v_add_co_ci_u32_e32 v2, vcc_lo, v3, v2, vcc_lo
	s_delay_alu instid0(VALU_DEP_2) | instskip(NEXT) | instid1(VALU_DEP_2)
	v_add_co_u32 v1, vcc_lo, v1, v5
	v_mov_b32_dpp v3, v2 quad_perm:[2,3,0,1] row_mask:0xf bank_mask:0xf
	v_add_co_ci_u32_e32 v2, vcc_lo, 0, v2, vcc_lo
	s_delay_alu instid0(VALU_DEP_3) | instskip(SKIP_1) | instid1(VALU_DEP_3)
	v_mov_b32_dpp v5, v1 row_ror:4 row_mask:0xf bank_mask:0xf
	v_add_co_u32 v1, vcc_lo, v1, 0
	v_add_co_ci_u32_e32 v2, vcc_lo, v2, v3, vcc_lo
	s_delay_alu instid0(VALU_DEP_2) | instskip(NEXT) | instid1(VALU_DEP_2)
	v_add_co_u32 v1, vcc_lo, v1, v5
	v_mov_b32_dpp v3, v2 row_ror:4 row_mask:0xf bank_mask:0xf
	v_add_co_ci_u32_e32 v2, vcc_lo, 0, v2, vcc_lo
	s_delay_alu instid0(VALU_DEP_3) | instskip(SKIP_1) | instid1(VALU_DEP_3)
	v_mov_b32_dpp v5, v1 row_ror:8 row_mask:0xf bank_mask:0xf
	v_add_co_u32 v1, vcc_lo, v1, 0
	v_add_co_ci_u32_e32 v2, vcc_lo, v2, v3, vcc_lo
	s_delay_alu instid0(VALU_DEP_2) | instskip(NEXT) | instid1(VALU_DEP_2)
	v_add_co_u32 v1, vcc_lo, v1, v5
	v_mov_b32_dpp v3, v2 row_ror:8 row_mask:0xf bank_mask:0xf
	v_add_co_ci_u32_e32 v2, vcc_lo, 0, v2, vcc_lo
	ds_swizzle_b32 v5, v1 offset:swizzle(BROADCAST,32,15)
	v_add_co_u32 v1, vcc_lo, v1, 0
	v_add_co_ci_u32_e32 v2, vcc_lo, v2, v3, vcc_lo
	ds_swizzle_b32 v3, v2 offset:swizzle(BROADCAST,32,15)
	s_waitcnt lgkmcnt(1)
	v_add_co_u32 v1, vcc_lo, v1, v5
	v_add_co_ci_u32_e32 v2, vcc_lo, 0, v2, vcc_lo
	ds_bpermute_b32 v1, v4, v1 offset:124
	s_waitcnt lgkmcnt(1)
	v_add_nc_u32_e32 v2, v3, v2
	v_mbcnt_lo_u32_b32 v3, -1, 0
	ds_bpermute_b32 v2, v4, v2 offset:124
	v_cmpx_eq_u32_e32 0, v3
	s_cbranch_execz .LBB34_19
; %bb.18:
	v_lshrrev_b32_e32 v4, 2, v0
	s_delay_alu instid0(VALU_DEP_1)
	v_and_b32_e32 v4, 24, v4
	s_waitcnt lgkmcnt(0)
	ds_store_b64 v4, v[1:2] offset:192
.LBB34_19:
	s_or_b32 exec_lo, exec_lo, s2
	s_delay_alu instid0(SALU_CYCLE_1)
	s_mov_b32 s2, exec_lo
	s_waitcnt lgkmcnt(0)
	s_barrier
	buffer_gl0_inv
	v_cmpx_gt_u32_e32 32, v0
	s_cbranch_execz .LBB34_21
; %bb.20:
	v_and_b32_e32 v4, 3, v3
	s_delay_alu instid0(VALU_DEP_1) | instskip(SKIP_4) | instid1(VALU_DEP_2)
	v_lshlrev_b32_e32 v1, 3, v4
	v_cmp_ne_u32_e32 vcc_lo, 3, v4
	ds_load_b64 v[1:2], v1 offset:192
	v_add_co_ci_u32_e32 v5, vcc_lo, 0, v3, vcc_lo
	v_cmp_gt_u32_e32 vcc_lo, 2, v4
	v_lshlrev_b32_e32 v5, 2, v5
	v_cndmask_b32_e64 v4, 0, 1, vcc_lo
	s_delay_alu instid0(VALU_DEP_1) | instskip(NEXT) | instid1(VALU_DEP_1)
	v_lshlrev_b32_e32 v4, 1, v4
	v_add_lshl_u32 v3, v4, v3, 2
	s_waitcnt lgkmcnt(0)
	ds_bpermute_b32 v6, v5, v1
	ds_bpermute_b32 v5, v5, v2
	s_waitcnt lgkmcnt(1)
	v_add_co_u32 v1, vcc_lo, v1, v6
	v_add_co_ci_u32_e32 v2, vcc_lo, 0, v2, vcc_lo
	ds_bpermute_b32 v4, v3, v1
	v_add_co_u32 v1, vcc_lo, 0, v1
	s_waitcnt lgkmcnt(1)
	v_add_co_ci_u32_e32 v2, vcc_lo, v5, v2, vcc_lo
	ds_bpermute_b32 v3, v3, v2
	s_waitcnt lgkmcnt(1)
	v_add_co_u32 v1, vcc_lo, v1, v4
	v_add_co_ci_u32_e32 v2, vcc_lo, 0, v2, vcc_lo
	s_delay_alu instid0(VALU_DEP_2) | instskip(SKIP_1) | instid1(VALU_DEP_2)
	v_add_co_u32 v1, vcc_lo, v1, 0
	s_waitcnt lgkmcnt(0)
	v_add_co_ci_u32_e32 v2, vcc_lo, v2, v3, vcc_lo
.LBB34_21:
	s_or_b32 exec_lo, exec_lo, s2
	s_mov_b32 s2, 0
	s_branch .LBB34_299
.LBB34_22:
                                        ; implicit-def: $vgpr1_vgpr2
	s_cbranch_execz .LBB34_10
; %bb.23:
	s_sub_i32 s2, s20, s6
	s_mov_b32 s6, exec_lo
                                        ; implicit-def: $vgpr1_vgpr2
                                        ; kill: killed $vgpr1_vgpr2
	v_cmpx_gt_u32_e64 s2, v0
	s_cbranch_execz .LBB34_25
; %bb.24:
	global_load_u8 v1, v0, s[4:5]
	s_mov_b32 s7, 0
	s_delay_alu instid0(SALU_CYCLE_1)
	v_mov_b32_e32 v2, s7
	s_waitcnt vmcnt(0)
	v_cmp_ne_u16_e32 vcc_lo, 0, v1
	v_cndmask_b32_e64 v1, 0, 1, vcc_lo
	scratch_store_b64 off, v[1:2], off offset:8 ; 8-byte Folded Spill
.LBB34_25:
	s_or_b32 exec_lo, exec_lo, s6
	v_mov_b32_e32 v3, 0
	v_or_b32_e32 v1, 0x80, v0
	v_mov_b32_e32 v4, 0
	s_delay_alu instid0(VALU_DEP_2) | instskip(NEXT) | instid1(VALU_DEP_2)
	v_cmp_gt_u32_e32 vcc_lo, s2, v1
	v_dual_mov_b32 v1, v3 :: v_dual_mov_b32 v2, v4
	s_and_saveexec_b32 s6, vcc_lo
	s_cbranch_execz .LBB34_27
; %bb.26:
	global_load_u8 v1, v0, s[4:5] offset:128
	s_mov_b32 s7, 0
	s_delay_alu instid0(SALU_CYCLE_1)
	v_mov_b32_e32 v2, s7
	s_waitcnt vmcnt(0)
	v_cmp_ne_u16_e32 vcc_lo, 0, v1
	v_cndmask_b32_e64 v1, 0, 1, vcc_lo
.LBB34_27:
	s_or_b32 exec_lo, exec_lo, s6
	v_or_b32_e32 v5, 0x100, v0
	s_mov_b32 s6, exec_lo
	s_delay_alu instid0(VALU_DEP_1)
	v_cmpx_gt_u32_e64 s2, v5
	s_cbranch_execz .LBB34_29
; %bb.28:
	global_load_u8 v3, v0, s[4:5] offset:256
	s_mov_b32 s7, 0
	s_delay_alu instid0(SALU_CYCLE_1)
	v_mov_b32_e32 v4, s7
	s_waitcnt vmcnt(0)
	v_cmp_ne_u16_e32 vcc_lo, 0, v3
	v_cndmask_b32_e64 v3, 0, 1, vcc_lo
.LBB34_29:
	s_or_b32 exec_lo, exec_lo, s6
	v_mov_b32_e32 v7, 0
	v_mov_b32_e32 v8, 0
	v_or_b32_e32 v5, 0x180, v0
	s_mov_b32 s6, exec_lo
	s_delay_alu instid0(VALU_DEP_2) | instskip(NEXT) | instid1(VALU_DEP_2)
	v_dual_mov_b32 v14, v8 :: v_dual_mov_b32 v13, v7
	v_cmpx_gt_u32_e64 s2, v5
	s_cbranch_execz .LBB34_31
; %bb.30:
	global_load_u8 v5, v0, s[4:5] offset:384
	s_mov_b32 s7, 0
	s_delay_alu instid0(SALU_CYCLE_1)
	v_mov_b32_e32 v14, s7
	s_waitcnt vmcnt(0)
	v_cmp_ne_u16_e32 vcc_lo, 0, v5
	v_cndmask_b32_e64 v13, 0, 1, vcc_lo
.LBB34_31:
	s_or_b32 exec_lo, exec_lo, s6
	v_or_b32_e32 v5, 0x200, v0
	s_mov_b32 s6, exec_lo
	s_delay_alu instid0(VALU_DEP_1)
	v_cmpx_gt_u32_e64 s2, v5
	s_cbranch_execz .LBB34_33
; %bb.32:
	global_load_u8 v5, v0, s[4:5] offset:512
	s_mov_b32 s7, 0
	s_delay_alu instid0(SALU_CYCLE_1)
	v_mov_b32_e32 v8, s7
	s_waitcnt vmcnt(0)
	v_cmp_ne_u16_e32 vcc_lo, 0, v5
	v_cndmask_b32_e64 v7, 0, 1, vcc_lo
.LBB34_33:
	s_or_b32 exec_lo, exec_lo, s6
	v_mov_b32_e32 v11, 0
	v_or_b32_e32 v5, 0x280, v0
	v_mov_b32_e32 v12, 0
	s_mov_b32 s6, exec_lo
	scratch_store_b64 off, v[11:12], off    ; 8-byte Folded Spill
	v_cmpx_gt_u32_e64 s2, v5
	s_cbranch_execz .LBB34_35
; %bb.34:
	global_load_u8 v5, v0, s[4:5] offset:640
	s_mov_b32 s7, 0
	s_delay_alu instid0(SALU_CYCLE_1)
	v_mov_b32_e32 v6, s7
	s_waitcnt vmcnt(0)
	v_cmp_ne_u16_e32 vcc_lo, 0, v5
	v_cndmask_b32_e64 v5, 0, 1, vcc_lo
	scratch_store_b64 off, v[5:6], off      ; 8-byte Folded Spill
.LBB34_35:
	s_or_b32 exec_lo, exec_lo, s6
	v_or_b32_e32 v5, 0x300, v0
	s_mov_b32 s6, exec_lo
	s_delay_alu instid0(VALU_DEP_1)
	v_cmpx_gt_u32_e64 s2, v5
	s_cbranch_execz .LBB34_37
; %bb.36:
	global_load_u8 v5, v0, s[4:5] offset:768
	s_mov_b32 s7, 0
	s_delay_alu instid0(SALU_CYCLE_1)
	v_mov_b32_e32 v12, s7
	s_waitcnt vmcnt(0)
	v_cmp_ne_u16_e32 vcc_lo, 0, v5
	v_cndmask_b32_e64 v11, 0, 1, vcc_lo
.LBB34_37:
	s_or_b32 exec_lo, exec_lo, s6
	v_mov_b32_e32 v15, 0
	v_mov_b32_e32 v16, 0
	v_or_b32_e32 v5, 0x380, v0
	s_mov_b32 s6, exec_lo
	s_delay_alu instid0(VALU_DEP_2) | instskip(NEXT) | instid1(VALU_DEP_2)
	v_dual_mov_b32 v18, v16 :: v_dual_mov_b32 v17, v15
	v_cmpx_gt_u32_e64 s2, v5
	s_cbranch_execz .LBB34_39
; %bb.38:
	global_load_u8 v5, v0, s[4:5] offset:896
	s_mov_b32 s7, 0
	s_delay_alu instid0(SALU_CYCLE_1)
	v_mov_b32_e32 v18, s7
	s_waitcnt vmcnt(0)
	v_cmp_ne_u16_e32 vcc_lo, 0, v5
	v_cndmask_b32_e64 v17, 0, 1, vcc_lo
.LBB34_39:
	s_or_b32 exec_lo, exec_lo, s6
	v_or_b32_e32 v5, 0x400, v0
	s_mov_b32 s6, exec_lo
	s_delay_alu instid0(VALU_DEP_1)
	v_cmpx_gt_u32_e64 s2, v5
	s_cbranch_execz .LBB34_41
; %bb.40:
	global_load_u8 v5, v0, s[4:5] offset:1024
	s_mov_b32 s7, 0
	s_delay_alu instid0(SALU_CYCLE_1)
	v_mov_b32_e32 v16, s7
	s_waitcnt vmcnt(0)
	v_cmp_ne_u16_e32 vcc_lo, 0, v5
	v_cndmask_b32_e64 v15, 0, 1, vcc_lo
.LBB34_41:
	s_or_b32 exec_lo, exec_lo, s6
	v_mov_b32_e32 v19, 0
	v_mov_b32_e32 v20, 0
	v_or_b32_e32 v5, 0x480, v0
	s_mov_b32 s6, exec_lo
	s_delay_alu instid0(VALU_DEP_2) | instskip(NEXT) | instid1(VALU_DEP_2)
	v_dual_mov_b32 v22, v20 :: v_dual_mov_b32 v21, v19
	v_cmpx_gt_u32_e64 s2, v5
	s_cbranch_execz .LBB34_43
; %bb.42:
	global_load_u8 v5, v0, s[4:5] offset:1152
	s_mov_b32 s7, 0
	s_delay_alu instid0(SALU_CYCLE_1)
	v_mov_b32_e32 v22, s7
	s_waitcnt vmcnt(0)
	v_cmp_ne_u16_e32 vcc_lo, 0, v5
	v_cndmask_b32_e64 v21, 0, 1, vcc_lo
.LBB34_43:
	;; [unrolled: 33-line block ×13, first 2 shown]
	s_or_b32 exec_lo, exec_lo, s6
	v_or_b32_e32 v5, 0x1000, v0
	s_mov_b32 s6, exec_lo
	s_delay_alu instid0(VALU_DEP_1)
	v_cmpx_gt_u32_e64 s2, v5
	s_cbranch_execz .LBB34_89
; %bb.88:
	global_load_u8 v5, v5, s[4:5]
	s_mov_b32 s7, 0
	s_delay_alu instid0(SALU_CYCLE_1)
	v_mov_b32_e32 v64, s7
	s_waitcnt vmcnt(0)
	v_cmp_ne_u16_e32 vcc_lo, 0, v5
	v_cndmask_b32_e64 v63, 0, 1, vcc_lo
.LBB34_89:
	s_or_b32 exec_lo, exec_lo, s6
	v_mov_b32_e32 v67, 0
	v_mov_b32_e32 v68, 0
	v_or_b32_e32 v5, 0x1080, v0
	s_mov_b32 s6, exec_lo
	s_delay_alu instid0(VALU_DEP_2) | instskip(NEXT) | instid1(VALU_DEP_2)
	v_dual_mov_b32 v70, v68 :: v_dual_mov_b32 v69, v67
	v_cmpx_gt_u32_e64 s2, v5
	s_cbranch_execz .LBB34_91
; %bb.90:
	global_load_u8 v5, v5, s[4:5]
	s_mov_b32 s7, 0
	s_delay_alu instid0(SALU_CYCLE_1)
	v_mov_b32_e32 v70, s7
	s_waitcnt vmcnt(0)
	v_cmp_ne_u16_e32 vcc_lo, 0, v5
	v_cndmask_b32_e64 v69, 0, 1, vcc_lo
.LBB34_91:
	s_or_b32 exec_lo, exec_lo, s6
	v_or_b32_e32 v5, 0x1100, v0
	s_mov_b32 s6, exec_lo
	s_delay_alu instid0(VALU_DEP_1)
	v_cmpx_gt_u32_e64 s2, v5
	s_cbranch_execz .LBB34_93
; %bb.92:
	global_load_u8 v5, v5, s[4:5]
	s_mov_b32 s7, 0
	s_delay_alu instid0(SALU_CYCLE_1)
	v_mov_b32_e32 v68, s7
	s_waitcnt vmcnt(0)
	v_cmp_ne_u16_e32 vcc_lo, 0, v5
	v_cndmask_b32_e64 v67, 0, 1, vcc_lo
.LBB34_93:
	s_or_b32 exec_lo, exec_lo, s6
	v_mov_b32_e32 v71, 0
	v_mov_b32_e32 v72, 0
	v_or_b32_e32 v5, 0x1180, v0
	s_mov_b32 s6, exec_lo
	s_delay_alu instid0(VALU_DEP_2) | instskip(NEXT) | instid1(VALU_DEP_2)
	v_dual_mov_b32 v74, v72 :: v_dual_mov_b32 v73, v71
	v_cmpx_gt_u32_e64 s2, v5
	s_cbranch_execz .LBB34_95
; %bb.94:
	global_load_u8 v5, v5, s[4:5]
	s_mov_b32 s7, 0
	s_delay_alu instid0(SALU_CYCLE_1)
	v_mov_b32_e32 v74, s7
	s_waitcnt vmcnt(0)
	v_cmp_ne_u16_e32 vcc_lo, 0, v5
	v_cndmask_b32_e64 v73, 0, 1, vcc_lo
.LBB34_95:
	;; [unrolled: 33-line block ×47, first 2 shown]
	s_or_b32 exec_lo, exec_lo, s6
	v_or_b32_e32 v5, 0x3f00, v0
	s_mov_b32 s6, exec_lo
	s_delay_alu instid0(VALU_DEP_1)
	v_cmpx_gt_u32_e64 s2, v5
	s_cbranch_execz .LBB34_277
; %bb.276:
	global_load_u8 v5, v5, s[4:5]
	s_mov_b32 s7, 0
	s_delay_alu instid0(SALU_CYCLE_1)
	v_mov_b32_e32 v252, s7
	s_waitcnt vmcnt(0)
	v_cmp_ne_u16_e32 vcc_lo, 0, v5
	v_cndmask_b32_e64 v251, 0, 1, vcc_lo
.LBB34_277:
	s_or_b32 exec_lo, exec_lo, s6
	v_mov_b32_e32 v5, 0
	v_or_b32_e32 v255, 0x3f80, v0
	v_mov_b32_e32 v6, 0
	s_mov_b32 s6, exec_lo
	s_delay_alu instid0(VALU_DEP_2)
	v_cmpx_gt_u32_e64 s2, v255
	s_cbranch_execz .LBB34_279
; %bb.278:
	global_load_u8 v5, v255, s[4:5]
	s_mov_b32 s4, 0
	s_delay_alu instid0(SALU_CYCLE_1)
	v_mov_b32_e32 v6, s4
	s_waitcnt vmcnt(0)
	v_cmp_ne_u16_e32 vcc_lo, 0, v5
	v_cndmask_b32_e64 v5, 0, 1, vcc_lo
.LBB34_279:
	s_or_b32 exec_lo, exec_lo, s6
	scratch_load_b64 v[9:10], off, off offset:8 ; 8-byte Folded Reload
	s_min_u32 s2, s2, 0x80
	s_waitcnt vmcnt(0)
	v_add_co_u32 v1, vcc_lo, v1, v9
	v_add_co_ci_u32_e32 v2, vcc_lo, v2, v10, vcc_lo
	s_delay_alu instid0(VALU_DEP_2) | instskip(NEXT) | instid1(VALU_DEP_2)
	v_add_co_u32 v1, vcc_lo, v1, v3
	v_add_co_ci_u32_e32 v2, vcc_lo, v2, v4, vcc_lo
	scratch_load_b64 v[3:4], off, off       ; 8-byte Folded Reload
	v_add_co_u32 v1, vcc_lo, v1, v13
	v_add_co_ci_u32_e32 v2, vcc_lo, v2, v14, vcc_lo
	s_delay_alu instid0(VALU_DEP_2) | instskip(NEXT) | instid1(VALU_DEP_2)
	v_add_co_u32 v1, vcc_lo, v1, v7
	v_add_co_ci_u32_e32 v2, vcc_lo, v2, v8, vcc_lo
	s_waitcnt vmcnt(0)
	s_delay_alu instid0(VALU_DEP_2) | instskip(NEXT) | instid1(VALU_DEP_2)
	v_add_co_u32 v1, vcc_lo, v1, v3
	v_add_co_ci_u32_e32 v2, vcc_lo, v2, v4, vcc_lo
	v_mbcnt_lo_u32_b32 v3, -1, 0
	s_delay_alu instid0(VALU_DEP_3) | instskip(NEXT) | instid1(VALU_DEP_3)
	v_add_co_u32 v1, vcc_lo, v1, v11
	v_add_co_ci_u32_e32 v2, vcc_lo, v2, v12, vcc_lo
	s_delay_alu instid0(VALU_DEP_2) | instskip(NEXT) | instid1(VALU_DEP_2)
	v_add_co_u32 v1, vcc_lo, v1, v17
	v_add_co_ci_u32_e32 v2, vcc_lo, v2, v18, vcc_lo
	s_delay_alu instid0(VALU_DEP_2) | instskip(NEXT) | instid1(VALU_DEP_2)
	;; [unrolled: 3-line block ×119, first 2 shown]
	v_add_co_u32 v1, vcc_lo, v1, v253
	v_add_co_ci_u32_e32 v2, vcc_lo, v2, v254, vcc_lo
	v_cmp_ne_u32_e32 vcc_lo, 31, v3
	v_add_co_ci_u32_e32 v4, vcc_lo, 0, v3, vcc_lo
	s_delay_alu instid0(VALU_DEP_4) | instskip(NEXT) | instid1(VALU_DEP_4)
	v_add_co_u32 v1, vcc_lo, v1, v251
	v_add_co_ci_u32_e32 v2, vcc_lo, v2, v252, vcc_lo
	s_delay_alu instid0(VALU_DEP_2) | instskip(NEXT) | instid1(VALU_DEP_4)
	v_add_co_u32 v1, vcc_lo, v1, v5
	v_lshlrev_b32_e32 v4, 2, v4
	s_delay_alu instid0(VALU_DEP_3) | instskip(SKIP_4) | instid1(VALU_DEP_1)
	v_add_co_ci_u32_e32 v2, vcc_lo, v2, v6, vcc_lo
	v_add_nc_u32_e32 v5, 1, v3
	ds_bpermute_b32 v7, v4, v1
	ds_bpermute_b32 v6, v4, v2
	v_and_b32_e32 v4, 0x60, v0
	v_sub_nc_u32_e64 v4, s2, v4 clamp
	s_delay_alu instid0(VALU_DEP_1)
	v_cmp_lt_u32_e32 vcc_lo, v5, v4
	v_mov_b32_e32 v5, v1
	s_and_saveexec_b32 s4, vcc_lo
	s_cbranch_execz .LBB34_281
; %bb.280:
	s_waitcnt lgkmcnt(1)
	v_add_co_u32 v5, vcc_lo, v1, v7
	v_add_co_ci_u32_e32 v2, vcc_lo, 0, v2, vcc_lo
	s_delay_alu instid0(VALU_DEP_2) | instskip(SKIP_1) | instid1(VALU_DEP_2)
	v_add_co_u32 v1, vcc_lo, 0, v5
	s_waitcnt lgkmcnt(0)
	v_add_co_ci_u32_e32 v2, vcc_lo, v6, v2, vcc_lo
.LBB34_281:
	s_or_b32 exec_lo, exec_lo, s4
	v_cmp_gt_u32_e32 vcc_lo, 30, v3
	v_add_nc_u32_e32 v8, 2, v3
	s_mov_b32 s4, exec_lo
	s_waitcnt lgkmcnt(0)
	v_cndmask_b32_e64 v6, 0, 1, vcc_lo
	s_delay_alu instid0(VALU_DEP_1) | instskip(NEXT) | instid1(VALU_DEP_1)
	v_lshlrev_b32_e32 v6, 1, v6
	v_add_lshl_u32 v6, v6, v3, 2
	ds_bpermute_b32 v7, v6, v5
	ds_bpermute_b32 v6, v6, v2
	v_cmpx_lt_u32_e64 v8, v4
	s_cbranch_execz .LBB34_283
; %bb.282:
	s_waitcnt lgkmcnt(1)
	v_add_co_u32 v5, vcc_lo, v1, v7
	v_add_co_ci_u32_e32 v2, vcc_lo, 0, v2, vcc_lo
	s_delay_alu instid0(VALU_DEP_2) | instskip(SKIP_1) | instid1(VALU_DEP_2)
	v_add_co_u32 v1, vcc_lo, 0, v5
	s_waitcnt lgkmcnt(0)
	v_add_co_ci_u32_e32 v2, vcc_lo, v6, v2, vcc_lo
.LBB34_283:
	s_or_b32 exec_lo, exec_lo, s4
	v_cmp_gt_u32_e32 vcc_lo, 28, v3
	v_add_nc_u32_e32 v8, 4, v3
	s_mov_b32 s4, exec_lo
	s_waitcnt lgkmcnt(0)
	v_cndmask_b32_e64 v6, 0, 1, vcc_lo
	s_delay_alu instid0(VALU_DEP_1) | instskip(NEXT) | instid1(VALU_DEP_1)
	v_lshlrev_b32_e32 v6, 2, v6
	v_add_lshl_u32 v6, v6, v3, 2
	ds_bpermute_b32 v7, v6, v5
	ds_bpermute_b32 v6, v6, v2
	v_cmpx_lt_u32_e64 v8, v4
	;; [unrolled: 22-line block ×3, first 2 shown]
	s_cbranch_execz .LBB34_287
; %bb.286:
	s_waitcnt lgkmcnt(1)
	v_add_co_u32 v5, vcc_lo, v1, v7
	v_add_co_ci_u32_e32 v2, vcc_lo, 0, v2, vcc_lo
	s_delay_alu instid0(VALU_DEP_2) | instskip(SKIP_1) | instid1(VALU_DEP_2)
	v_add_co_u32 v1, vcc_lo, 0, v5
	s_waitcnt lgkmcnt(0)
	v_add_co_ci_u32_e32 v2, vcc_lo, v6, v2, vcc_lo
.LBB34_287:
	s_or_b32 exec_lo, exec_lo, s4
	v_cmp_gt_u32_e32 vcc_lo, 16, v3
	s_mov_b32 s4, exec_lo
	s_waitcnt lgkmcnt(0)
	v_cndmask_b32_e64 v6, 0, 1, vcc_lo
	s_delay_alu instid0(VALU_DEP_1) | instskip(NEXT) | instid1(VALU_DEP_1)
	v_lshlrev_b32_e32 v6, 4, v6
	v_add_lshl_u32 v7, v6, v3, 2
	ds_bpermute_b32 v6, v7, v5
	ds_bpermute_b32 v5, v7, v2
	v_add_nc_u32_e32 v7, 16, v3
	s_delay_alu instid0(VALU_DEP_1)
	v_cmpx_lt_u32_e64 v7, v4
	s_cbranch_execz .LBB34_289
; %bb.288:
	s_waitcnt lgkmcnt(1)
	v_add_co_u32 v1, vcc_lo, v1, v6
	v_add_co_ci_u32_e32 v2, vcc_lo, 0, v2, vcc_lo
	s_delay_alu instid0(VALU_DEP_2) | instskip(SKIP_1) | instid1(VALU_DEP_2)
	v_add_co_u32 v1, vcc_lo, v1, 0
	s_waitcnt lgkmcnt(0)
	v_add_co_ci_u32_e32 v2, vcc_lo, v2, v5, vcc_lo
.LBB34_289:
	s_or_b32 exec_lo, exec_lo, s4
	s_delay_alu instid0(SALU_CYCLE_1)
	s_mov_b32 s4, exec_lo
	v_cmpx_eq_u32_e32 0, v3
	s_cbranch_execz .LBB34_291
; %bb.290:
	v_lshrrev_b32_e32 v4, 2, v0
	s_delay_alu instid0(VALU_DEP_1)
	v_and_b32_e32 v4, 24, v4
	ds_store_b64 v4, v[1:2] offset:256
.LBB34_291:
	s_or_b32 exec_lo, exec_lo, s4
	s_delay_alu instid0(SALU_CYCLE_1)
	s_mov_b32 s4, exec_lo
	s_waitcnt lgkmcnt(0)
	s_waitcnt_vscnt null, 0x0
	s_barrier
	buffer_gl0_inv
	v_cmpx_gt_u32_e32 4, v0
	s_cbranch_execz .LBB34_297
; %bb.292:
	v_lshlrev_b32_e32 v1, 3, v3
	s_add_i32 s2, s2, 31
	s_delay_alu instid0(SALU_CYCLE_1) | instskip(SKIP_2) | instid1(VALU_DEP_1)
	s_lshr_b32 s2, s2, 5
	ds_load_b64 v[1:2], v1 offset:256
	v_and_b32_e32 v4, 3, v3
	v_cmp_ne_u32_e32 vcc_lo, 3, v4
	v_add_co_ci_u32_e32 v5, vcc_lo, 0, v3, vcc_lo
	s_delay_alu instid0(VALU_DEP_1) | instskip(SKIP_4) | instid1(VALU_DEP_1)
	v_lshlrev_b32_e32 v5, 2, v5
	s_waitcnt lgkmcnt(0)
	ds_bpermute_b32 v7, v5, v1
	ds_bpermute_b32 v6, v5, v2
	v_add_nc_u32_e32 v5, 1, v4
	v_cmp_gt_u32_e32 vcc_lo, s2, v5
	v_mov_b32_e32 v5, v1
	s_and_saveexec_b32 s5, vcc_lo
	s_cbranch_execz .LBB34_294
; %bb.293:
	s_waitcnt lgkmcnt(1)
	v_add_co_u32 v5, vcc_lo, v1, v7
	v_add_co_ci_u32_e32 v2, vcc_lo, 0, v2, vcc_lo
	s_delay_alu instid0(VALU_DEP_2) | instskip(SKIP_1) | instid1(VALU_DEP_2)
	v_add_co_u32 v1, vcc_lo, 0, v5
	s_waitcnt lgkmcnt(0)
	v_add_co_ci_u32_e32 v2, vcc_lo, v6, v2, vcc_lo
.LBB34_294:
	s_or_b32 exec_lo, exec_lo, s5
	v_cmp_gt_u32_e32 vcc_lo, 2, v4
	v_add_nc_u32_e32 v4, 2, v4
	s_waitcnt lgkmcnt(0)
	v_cndmask_b32_e64 v6, 0, 1, vcc_lo
	s_delay_alu instid0(VALU_DEP_2) | instskip(NEXT) | instid1(VALU_DEP_2)
	v_cmp_gt_u32_e32 vcc_lo, s2, v4
	v_lshlrev_b32_e32 v6, 1, v6
	s_delay_alu instid0(VALU_DEP_1)
	v_add_lshl_u32 v3, v6, v3, 2
	ds_bpermute_b32 v5, v3, v5
	ds_bpermute_b32 v3, v3, v2
	s_and_saveexec_b32 s2, vcc_lo
	s_cbranch_execz .LBB34_296
; %bb.295:
	s_waitcnt lgkmcnt(1)
	v_add_co_u32 v1, vcc_lo, v1, v5
	v_add_co_ci_u32_e32 v2, vcc_lo, 0, v2, vcc_lo
	s_delay_alu instid0(VALU_DEP_2) | instskip(SKIP_1) | instid1(VALU_DEP_2)
	v_add_co_u32 v1, vcc_lo, v1, 0
	s_waitcnt lgkmcnt(0)
	v_add_co_ci_u32_e32 v2, vcc_lo, v2, v3, vcc_lo
.LBB34_296:
	s_or_b32 exec_lo, exec_lo, s2
.LBB34_297:
	s_delay_alu instid0(SALU_CYCLE_1)
	s_or_b32 exec_lo, exec_lo, s4
	v_cmp_eq_u32_e64 s2, 0, v0
	s_and_b32 vcc_lo, exec_lo, s3
	s_cbranch_vccnz .LBB34_15
	s_branch .LBB34_448
.LBB34_298:
	s_mov_b32 s2, -1
                                        ; implicit-def: $vgpr1_vgpr2
.LBB34_299:
	s_delay_alu instid0(SALU_CYCLE_1)
	s_and_b32 vcc_lo, exec_lo, s2
	s_cbranch_vccz .LBB34_447
; %bb.300:
	s_sub_i32 s2, s20, s3
	s_mov_b32 s3, exec_lo
                                        ; implicit-def: $vgpr1_vgpr2
	v_cmpx_gt_u32_e64 s2, v0
	s_cbranch_execz .LBB34_302
; %bb.301:
	global_load_u8 v1, v0, s[4:5]
	s_mov_b32 s6, 0
	s_delay_alu instid0(SALU_CYCLE_1)
	v_mov_b32_e32 v2, s6
	s_waitcnt vmcnt(0)
	v_cmp_ne_u16_e32 vcc_lo, 0, v1
	v_cndmask_b32_e64 v1, 0, 1, vcc_lo
.LBB34_302:
	s_or_b32 exec_lo, exec_lo, s3
	s_waitcnt lgkmcnt(0)
	v_mov_b32_e32 v3, 0
	v_or_b32_e32 v5, 0x80, v0
	v_mov_b32_e32 v4, 0
	s_delay_alu instid0(VALU_DEP_2) | instskip(NEXT) | instid1(VALU_DEP_2)
	v_cmp_gt_u32_e32 vcc_lo, s2, v5
	v_dual_mov_b32 v6, v4 :: v_dual_mov_b32 v5, v3
	s_and_saveexec_b32 s3, vcc_lo
	s_cbranch_execz .LBB34_304
; %bb.303:
	global_load_u8 v5, v0, s[4:5] offset:128
	s_mov_b32 s6, 0
	s_delay_alu instid0(SALU_CYCLE_1)
	v_mov_b32_e32 v6, s6
	s_waitcnt vmcnt(0)
	v_cmp_ne_u16_e32 vcc_lo, 0, v5
	v_cndmask_b32_e64 v5, 0, 1, vcc_lo
.LBB34_304:
	s_or_b32 exec_lo, exec_lo, s3
	v_or_b32_e32 v7, 0x100, v0
	s_mov_b32 s3, exec_lo
	s_delay_alu instid0(VALU_DEP_1)
	v_cmpx_gt_u32_e64 s2, v7
	s_cbranch_execz .LBB34_306
; %bb.305:
	global_load_u8 v3, v0, s[4:5] offset:256
	s_mov_b32 s6, 0
	s_delay_alu instid0(SALU_CYCLE_1)
	v_mov_b32_e32 v4, s6
	s_waitcnt vmcnt(0)
	v_cmp_ne_u16_e32 vcc_lo, 0, v3
	v_cndmask_b32_e64 v3, 0, 1, vcc_lo
.LBB34_306:
	s_or_b32 exec_lo, exec_lo, s3
	v_mov_b32_e32 v7, 0
	v_or_b32_e32 v9, 0x180, v0
	v_mov_b32_e32 v8, 0
	s_delay_alu instid0(VALU_DEP_2) | instskip(NEXT) | instid1(VALU_DEP_2)
	v_cmp_gt_u32_e32 vcc_lo, s2, v9
	v_dual_mov_b32 v10, v8 :: v_dual_mov_b32 v9, v7
	s_and_saveexec_b32 s3, vcc_lo
	s_cbranch_execz .LBB34_308
; %bb.307:
	global_load_u8 v9, v0, s[4:5] offset:384
	s_mov_b32 s6, 0
	s_delay_alu instid0(SALU_CYCLE_1)
	v_mov_b32_e32 v10, s6
	s_waitcnt vmcnt(0)
	v_cmp_ne_u16_e32 vcc_lo, 0, v9
	v_cndmask_b32_e64 v9, 0, 1, vcc_lo
.LBB34_308:
	s_or_b32 exec_lo, exec_lo, s3
	v_or_b32_e32 v11, 0x200, v0
	s_mov_b32 s3, exec_lo
	s_delay_alu instid0(VALU_DEP_1)
	v_cmpx_gt_u32_e64 s2, v11
	s_cbranch_execz .LBB34_310
; %bb.309:
	global_load_u8 v7, v0, s[4:5] offset:512
	s_mov_b32 s6, 0
	s_delay_alu instid0(SALU_CYCLE_1)
	v_mov_b32_e32 v8, s6
	s_waitcnt vmcnt(0)
	v_cmp_ne_u16_e32 vcc_lo, 0, v7
	v_cndmask_b32_e64 v7, 0, 1, vcc_lo
.LBB34_310:
	s_or_b32 exec_lo, exec_lo, s3
	;; [unrolled: 33-line block ×15, first 2 shown]
	v_mov_b32_e32 v63, 0
	v_or_b32_e32 v65, 0xf80, v0
	v_mov_b32_e32 v64, 0
	s_delay_alu instid0(VALU_DEP_2) | instskip(NEXT) | instid1(VALU_DEP_2)
	v_cmp_gt_u32_e32 vcc_lo, s2, v65
	v_dual_mov_b32 v66, v64 :: v_dual_mov_b32 v65, v63
	s_and_saveexec_b32 s3, vcc_lo
	s_cbranch_execz .LBB34_364
; %bb.363:
	global_load_u8 v65, v0, s[4:5] offset:3968
	s_mov_b32 s6, 0
	s_delay_alu instid0(SALU_CYCLE_1)
	v_mov_b32_e32 v66, s6
	s_waitcnt vmcnt(0)
	v_cmp_ne_u16_e32 vcc_lo, 0, v65
	v_cndmask_b32_e64 v65, 0, 1, vcc_lo
.LBB34_364:
	s_or_b32 exec_lo, exec_lo, s3
	v_or_b32_e32 v67, 0x1000, v0
	s_mov_b32 s3, exec_lo
	s_delay_alu instid0(VALU_DEP_1)
	v_cmpx_gt_u32_e64 s2, v67
	s_cbranch_execz .LBB34_366
; %bb.365:
	global_load_u8 v63, v67, s[4:5]
	s_mov_b32 s6, 0
	s_delay_alu instid0(SALU_CYCLE_1)
	v_mov_b32_e32 v64, s6
	s_waitcnt vmcnt(0)
	v_cmp_ne_u16_e32 vcc_lo, 0, v63
	v_cndmask_b32_e64 v63, 0, 1, vcc_lo
.LBB34_366:
	s_or_b32 exec_lo, exec_lo, s3
	v_mov_b32_e32 v67, 0
	v_mov_b32_e32 v68, 0
	v_or_b32_e32 v71, 0x1080, v0
	s_mov_b32 s3, exec_lo
	s_delay_alu instid0(VALU_DEP_2) | instskip(NEXT) | instid1(VALU_DEP_2)
	v_dual_mov_b32 v70, v68 :: v_dual_mov_b32 v69, v67
	v_cmpx_gt_u32_e64 s2, v71
	s_cbranch_execz .LBB34_368
; %bb.367:
	global_load_u8 v69, v71, s[4:5]
	s_mov_b32 s6, 0
	s_delay_alu instid0(SALU_CYCLE_1)
	v_mov_b32_e32 v70, s6
	s_waitcnt vmcnt(0)
	v_cmp_ne_u16_e32 vcc_lo, 0, v69
	v_cndmask_b32_e64 v69, 0, 1, vcc_lo
.LBB34_368:
	s_or_b32 exec_lo, exec_lo, s3
	v_or_b32_e32 v71, 0x1100, v0
	s_mov_b32 s3, exec_lo
	s_delay_alu instid0(VALU_DEP_1)
	v_cmpx_gt_u32_e64 s2, v71
	s_cbranch_execz .LBB34_370
; %bb.369:
	global_load_u8 v67, v71, s[4:5]
	s_mov_b32 s6, 0
	s_delay_alu instid0(SALU_CYCLE_1)
	v_mov_b32_e32 v68, s6
	s_waitcnt vmcnt(0)
	v_cmp_ne_u16_e32 vcc_lo, 0, v67
	v_cndmask_b32_e64 v67, 0, 1, vcc_lo
.LBB34_370:
	s_or_b32 exec_lo, exec_lo, s3
	v_mov_b32_e32 v71, 0
	v_mov_b32_e32 v72, 0
	v_or_b32_e32 v75, 0x1180, v0
	s_mov_b32 s3, exec_lo
	s_delay_alu instid0(VALU_DEP_2) | instskip(NEXT) | instid1(VALU_DEP_2)
	v_dual_mov_b32 v74, v72 :: v_dual_mov_b32 v73, v71
	v_cmpx_gt_u32_e64 s2, v75
	s_cbranch_execz .LBB34_372
; %bb.371:
	global_load_u8 v73, v75, s[4:5]
	s_mov_b32 s6, 0
	s_delay_alu instid0(SALU_CYCLE_1)
	v_mov_b32_e32 v74, s6
	s_waitcnt vmcnt(0)
	v_cmp_ne_u16_e32 vcc_lo, 0, v73
	v_cndmask_b32_e64 v73, 0, 1, vcc_lo
.LBB34_372:
	;; [unrolled: 33-line block ×15, first 2 shown]
	s_or_b32 exec_lo, exec_lo, s3
	v_or_b32_e32 v127, 0x1f00, v0
	s_mov_b32 s3, exec_lo
	s_delay_alu instid0(VALU_DEP_1)
	v_cmpx_gt_u32_e64 s2, v127
	s_cbranch_execz .LBB34_426
; %bb.425:
	global_load_u8 v123, v127, s[4:5]
	s_mov_b32 s6, 0
	s_delay_alu instid0(SALU_CYCLE_1)
	v_mov_b32_e32 v124, s6
	s_waitcnt vmcnt(0)
	v_cmp_ne_u16_e32 vcc_lo, 0, v123
	v_cndmask_b32_e64 v123, 0, 1, vcc_lo
.LBB34_426:
	s_or_b32 exec_lo, exec_lo, s3
	v_mov_b32_e32 v127, 0
	v_or_b32_e32 v129, 0x1f80, v0
	v_mov_b32_e32 v128, 0
	s_mov_b32 s3, exec_lo
	s_delay_alu instid0(VALU_DEP_2)
	v_cmpx_gt_u32_e64 s2, v129
	s_cbranch_execz .LBB34_428
; %bb.427:
	global_load_u8 v127, v129, s[4:5]
	s_mov_b32 s4, 0
	s_delay_alu instid0(SALU_CYCLE_1)
	v_mov_b32_e32 v128, s4
	s_waitcnt vmcnt(0)
	v_cmp_ne_u16_e32 vcc_lo, 0, v127
	v_cndmask_b32_e64 v127, 0, 1, vcc_lo
.LBB34_428:
	s_or_b32 exec_lo, exec_lo, s3
	v_add_co_u32 v1, vcc_lo, v5, v1
	v_add_co_ci_u32_e32 v2, vcc_lo, v6, v2, vcc_lo
	s_min_u32 s2, s2, 0x80
	s_delay_alu instid0(VALU_DEP_2) | instskip(NEXT) | instid1(VALU_DEP_2)
	v_add_co_u32 v1, vcc_lo, v1, v3
	v_add_co_ci_u32_e32 v2, vcc_lo, v2, v4, vcc_lo
	v_mbcnt_lo_u32_b32 v3, -1, 0
	s_delay_alu instid0(VALU_DEP_3) | instskip(NEXT) | instid1(VALU_DEP_3)
	v_add_co_u32 v1, vcc_lo, v1, v9
	v_add_co_ci_u32_e32 v2, vcc_lo, v2, v10, vcc_lo
	s_delay_alu instid0(VALU_DEP_3) | instskip(NEXT) | instid1(VALU_DEP_3)
	v_add_nc_u32_e32 v5, 1, v3
	v_add_co_u32 v1, vcc_lo, v1, v7
	s_delay_alu instid0(VALU_DEP_3) | instskip(NEXT) | instid1(VALU_DEP_2)
	v_add_co_ci_u32_e32 v2, vcc_lo, v2, v8, vcc_lo
	v_add_co_u32 v1, vcc_lo, v1, v13
	s_delay_alu instid0(VALU_DEP_2) | instskip(NEXT) | instid1(VALU_DEP_2)
	v_add_co_ci_u32_e32 v2, vcc_lo, v2, v14, vcc_lo
	v_add_co_u32 v1, vcc_lo, v1, v11
	s_delay_alu instid0(VALU_DEP_2) | instskip(NEXT) | instid1(VALU_DEP_2)
	;; [unrolled: 3-line block ×56, first 2 shown]
	v_add_co_ci_u32_e32 v2, vcc_lo, v2, v120, vcc_lo
	v_add_co_u32 v1, vcc_lo, v1, v125
	s_delay_alu instid0(VALU_DEP_2) | instskip(SKIP_2) | instid1(VALU_DEP_4)
	v_add_co_ci_u32_e32 v2, vcc_lo, v2, v126, vcc_lo
	v_cmp_ne_u32_e32 vcc_lo, 31, v3
	v_add_co_ci_u32_e32 v4, vcc_lo, 0, v3, vcc_lo
	v_add_co_u32 v1, vcc_lo, v1, v123
	s_delay_alu instid0(VALU_DEP_4) | instskip(NEXT) | instid1(VALU_DEP_2)
	v_add_co_ci_u32_e32 v2, vcc_lo, v2, v124, vcc_lo
	v_add_co_u32 v1, vcc_lo, v1, v127
	s_delay_alu instid0(VALU_DEP_4) | instskip(NEXT) | instid1(VALU_DEP_3)
	v_lshlrev_b32_e32 v4, 2, v4
	v_add_co_ci_u32_e32 v2, vcc_lo, v2, v128, vcc_lo
	ds_bpermute_b32 v7, v4, v1
	ds_bpermute_b32 v6, v4, v2
	v_and_b32_e32 v4, 0x60, v0
	s_delay_alu instid0(VALU_DEP_1) | instskip(NEXT) | instid1(VALU_DEP_1)
	v_sub_nc_u32_e64 v4, s2, v4 clamp
	v_cmp_lt_u32_e32 vcc_lo, v5, v4
	v_mov_b32_e32 v5, v1
	s_and_saveexec_b32 s3, vcc_lo
	s_cbranch_execz .LBB34_430
; %bb.429:
	s_waitcnt lgkmcnt(1)
	v_add_co_u32 v5, vcc_lo, v1, v7
	v_add_co_ci_u32_e32 v2, vcc_lo, 0, v2, vcc_lo
	s_delay_alu instid0(VALU_DEP_2) | instskip(SKIP_1) | instid1(VALU_DEP_2)
	v_add_co_u32 v1, vcc_lo, 0, v5
	s_waitcnt lgkmcnt(0)
	v_add_co_ci_u32_e32 v2, vcc_lo, v6, v2, vcc_lo
.LBB34_430:
	s_or_b32 exec_lo, exec_lo, s3
	v_cmp_gt_u32_e32 vcc_lo, 30, v3
	v_add_nc_u32_e32 v8, 2, v3
	s_mov_b32 s3, exec_lo
	s_waitcnt lgkmcnt(0)
	v_cndmask_b32_e64 v6, 0, 1, vcc_lo
	s_delay_alu instid0(VALU_DEP_1) | instskip(NEXT) | instid1(VALU_DEP_1)
	v_lshlrev_b32_e32 v6, 1, v6
	v_add_lshl_u32 v6, v6, v3, 2
	ds_bpermute_b32 v7, v6, v5
	ds_bpermute_b32 v6, v6, v2
	v_cmpx_lt_u32_e64 v8, v4
	s_cbranch_execz .LBB34_432
; %bb.431:
	s_waitcnt lgkmcnt(1)
	v_add_co_u32 v5, vcc_lo, v1, v7
	v_add_co_ci_u32_e32 v2, vcc_lo, 0, v2, vcc_lo
	s_delay_alu instid0(VALU_DEP_2) | instskip(SKIP_1) | instid1(VALU_DEP_2)
	v_add_co_u32 v1, vcc_lo, 0, v5
	s_waitcnt lgkmcnt(0)
	v_add_co_ci_u32_e32 v2, vcc_lo, v6, v2, vcc_lo
.LBB34_432:
	s_or_b32 exec_lo, exec_lo, s3
	v_cmp_gt_u32_e32 vcc_lo, 28, v3
	v_add_nc_u32_e32 v8, 4, v3
	s_mov_b32 s3, exec_lo
	s_waitcnt lgkmcnt(0)
	v_cndmask_b32_e64 v6, 0, 1, vcc_lo
	s_delay_alu instid0(VALU_DEP_1) | instskip(NEXT) | instid1(VALU_DEP_1)
	v_lshlrev_b32_e32 v6, 2, v6
	v_add_lshl_u32 v6, v6, v3, 2
	ds_bpermute_b32 v7, v6, v5
	ds_bpermute_b32 v6, v6, v2
	v_cmpx_lt_u32_e64 v8, v4
	;; [unrolled: 22-line block ×3, first 2 shown]
	s_cbranch_execz .LBB34_436
; %bb.435:
	s_waitcnt lgkmcnt(1)
	v_add_co_u32 v5, vcc_lo, v1, v7
	v_add_co_ci_u32_e32 v2, vcc_lo, 0, v2, vcc_lo
	s_delay_alu instid0(VALU_DEP_2) | instskip(SKIP_1) | instid1(VALU_DEP_2)
	v_add_co_u32 v1, vcc_lo, 0, v5
	s_waitcnt lgkmcnt(0)
	v_add_co_ci_u32_e32 v2, vcc_lo, v6, v2, vcc_lo
.LBB34_436:
	s_or_b32 exec_lo, exec_lo, s3
	v_cmp_gt_u32_e32 vcc_lo, 16, v3
	s_mov_b32 s3, exec_lo
	s_waitcnt lgkmcnt(0)
	v_cndmask_b32_e64 v6, 0, 1, vcc_lo
	s_delay_alu instid0(VALU_DEP_1) | instskip(NEXT) | instid1(VALU_DEP_1)
	v_lshlrev_b32_e32 v6, 4, v6
	v_add_lshl_u32 v7, v6, v3, 2
	ds_bpermute_b32 v6, v7, v5
	ds_bpermute_b32 v5, v7, v2
	v_add_nc_u32_e32 v7, 16, v3
	s_delay_alu instid0(VALU_DEP_1)
	v_cmpx_lt_u32_e64 v7, v4
	s_cbranch_execz .LBB34_438
; %bb.437:
	s_waitcnt lgkmcnt(1)
	v_add_co_u32 v1, vcc_lo, v1, v6
	v_add_co_ci_u32_e32 v2, vcc_lo, 0, v2, vcc_lo
	s_delay_alu instid0(VALU_DEP_2) | instskip(SKIP_1) | instid1(VALU_DEP_2)
	v_add_co_u32 v1, vcc_lo, v1, 0
	s_waitcnt lgkmcnt(0)
	v_add_co_ci_u32_e32 v2, vcc_lo, v2, v5, vcc_lo
.LBB34_438:
	s_or_b32 exec_lo, exec_lo, s3
	s_delay_alu instid0(SALU_CYCLE_1)
	s_mov_b32 s3, exec_lo
	v_cmpx_eq_u32_e32 0, v3
	s_cbranch_execz .LBB34_440
; %bb.439:
	v_lshrrev_b32_e32 v4, 2, v0
	s_delay_alu instid0(VALU_DEP_1)
	v_and_b32_e32 v4, 24, v4
	ds_store_b64 v4, v[1:2] offset:256
.LBB34_440:
	s_or_b32 exec_lo, exec_lo, s3
	s_delay_alu instid0(SALU_CYCLE_1)
	s_mov_b32 s3, exec_lo
	s_waitcnt lgkmcnt(0)
	s_barrier
	buffer_gl0_inv
	v_cmpx_gt_u32_e32 4, v0
	s_cbranch_execz .LBB34_446
; %bb.441:
	v_lshlrev_b32_e32 v1, 3, v3
	s_add_i32 s2, s2, 31
	s_delay_alu instid0(SALU_CYCLE_1) | instskip(SKIP_2) | instid1(VALU_DEP_1)
	s_lshr_b32 s2, s2, 5
	ds_load_b64 v[1:2], v1 offset:256
	v_and_b32_e32 v4, 3, v3
	v_cmp_ne_u32_e32 vcc_lo, 3, v4
	v_add_co_ci_u32_e32 v5, vcc_lo, 0, v3, vcc_lo
	s_delay_alu instid0(VALU_DEP_1) | instskip(SKIP_4) | instid1(VALU_DEP_1)
	v_lshlrev_b32_e32 v5, 2, v5
	s_waitcnt lgkmcnt(0)
	ds_bpermute_b32 v7, v5, v1
	ds_bpermute_b32 v6, v5, v2
	v_add_nc_u32_e32 v5, 1, v4
	v_cmp_gt_u32_e32 vcc_lo, s2, v5
	v_mov_b32_e32 v5, v1
	s_and_saveexec_b32 s4, vcc_lo
	s_cbranch_execz .LBB34_443
; %bb.442:
	s_waitcnt lgkmcnt(1)
	v_add_co_u32 v5, vcc_lo, v1, v7
	v_add_co_ci_u32_e32 v2, vcc_lo, 0, v2, vcc_lo
	s_delay_alu instid0(VALU_DEP_2) | instskip(SKIP_1) | instid1(VALU_DEP_2)
	v_add_co_u32 v1, vcc_lo, 0, v5
	s_waitcnt lgkmcnt(0)
	v_add_co_ci_u32_e32 v2, vcc_lo, v6, v2, vcc_lo
.LBB34_443:
	s_or_b32 exec_lo, exec_lo, s4
	v_cmp_gt_u32_e32 vcc_lo, 2, v4
	v_add_nc_u32_e32 v4, 2, v4
	s_waitcnt lgkmcnt(0)
	v_cndmask_b32_e64 v6, 0, 1, vcc_lo
	s_delay_alu instid0(VALU_DEP_2) | instskip(NEXT) | instid1(VALU_DEP_2)
	v_cmp_gt_u32_e32 vcc_lo, s2, v4
	v_lshlrev_b32_e32 v6, 1, v6
	s_delay_alu instid0(VALU_DEP_1)
	v_add_lshl_u32 v3, v6, v3, 2
	ds_bpermute_b32 v5, v3, v5
	ds_bpermute_b32 v3, v3, v2
	s_and_saveexec_b32 s2, vcc_lo
	s_cbranch_execz .LBB34_445
; %bb.444:
	s_waitcnt lgkmcnt(1)
	v_add_co_u32 v1, vcc_lo, v1, v5
	v_add_co_ci_u32_e32 v2, vcc_lo, 0, v2, vcc_lo
	s_delay_alu instid0(VALU_DEP_2) | instskip(SKIP_1) | instid1(VALU_DEP_2)
	v_add_co_u32 v1, vcc_lo, v1, 0
	s_waitcnt lgkmcnt(0)
	v_add_co_ci_u32_e32 v2, vcc_lo, v2, v3, vcc_lo
.LBB34_445:
	s_or_b32 exec_lo, exec_lo, s2
.LBB34_446:
	s_delay_alu instid0(SALU_CYCLE_1)
	s_or_b32 exec_lo, exec_lo, s3
.LBB34_447:
	v_cmp_eq_u32_e64 s2, 0, v0
.LBB34_448:
	s_branch .LBB34_605
.LBB34_449:
	s_cmp_gt_i32 s26, 31
	s_cbranch_scc0 .LBB34_458
; %bb.450:
	s_cmp_eq_u32 s26, 32
                                        ; implicit-def: $vgpr1_vgpr2
	s_cbranch_scc0 .LBB34_459
; %bb.451:
	s_lshl_b32 s3, s18, 12
	s_lshr_b64 s[6:7], s[20:21], 12
	s_mov_b32 s19, 0
	s_add_u32 s4, s24, s3
	s_addc_u32 s5, s25, 0
	s_cmp_lg_u64 s[6:7], s[18:19]
	s_cbranch_scc0 .LBB34_460
; %bb.452:
	s_clause 0x1
	global_load_u8 v1, v0, s[4:5]
	global_load_u8 v2, v0, s[4:5] offset:128
	s_waitcnt lgkmcnt(0)
	s_clause 0x1d
	global_load_u8 v3, v0, s[4:5] offset:256
	global_load_u8 v4, v0, s[4:5] offset:384
	;; [unrolled: 1-line block ×30, first 2 shown]
	s_waitcnt vmcnt(31)
	v_cmp_ne_u16_e32 vcc_lo, 0, v1
	v_cndmask_b32_e64 v1, 0, 1, vcc_lo
	s_waitcnt vmcnt(30)
	v_cmp_ne_u16_e32 vcc_lo, 0, v2
	v_cndmask_b32_e64 v2, 0, 1, vcc_lo
	s_waitcnt vmcnt(29)
	v_cmp_ne_u16_e32 vcc_lo, 0, v3
	s_delay_alu instid0(VALU_DEP_2)
	v_add_co_u32 v1, s2, v2, v1
	v_cndmask_b32_e64 v3, 0, 1, vcc_lo
	s_waitcnt vmcnt(28)
	v_cmp_ne_u16_e32 vcc_lo, 0, v4
	v_add_co_ci_u32_e64 v4, null, 0, 0, s2
	s_waitcnt vmcnt(27)
	v_cmp_ne_u16_e64 s2, 0, v5
	v_cndmask_b32_e64 v2, 0, 1, vcc_lo
	v_add_co_u32 v1, vcc_lo, v1, v3
	v_add_co_ci_u32_e32 v4, vcc_lo, 0, v4, vcc_lo
	s_delay_alu instid0(VALU_DEP_4) | instskip(NEXT) | instid1(VALU_DEP_3)
	v_cndmask_b32_e64 v3, 0, 1, s2
	v_add_co_u32 v1, vcc_lo, v1, v2
	s_waitcnt vmcnt(26)
	v_cmp_ne_u16_e64 s2, 0, v6
	v_add_co_ci_u32_e32 v4, vcc_lo, 0, v4, vcc_lo
	s_delay_alu instid0(VALU_DEP_3) | instskip(NEXT) | instid1(VALU_DEP_3)
	v_add_co_u32 v1, vcc_lo, v1, v3
	v_cndmask_b32_e64 v2, 0, 1, s2
	s_waitcnt vmcnt(25)
	v_cmp_ne_u16_e64 s2, 0, v7
	v_add_co_ci_u32_e32 v4, vcc_lo, 0, v4, vcc_lo
	s_delay_alu instid0(VALU_DEP_3) | instskip(NEXT) | instid1(VALU_DEP_3)
	v_add_co_u32 v1, vcc_lo, v1, v2
	v_cndmask_b32_e64 v3, 0, 1, s2
	;; [unrolled: 6-line block ×27, first 2 shown]
	s_delay_alu instid0(VALU_DEP_3) | instskip(SKIP_2) | instid1(VALU_DEP_3)
	v_add_co_ci_u32_e32 v3, vcc_lo, 0, v4, vcc_lo
	v_mov_b32_e32 v4, 0
	s_mov_b32 s2, exec_lo
	v_add_co_u32 v1, vcc_lo, v1, v2
	s_delay_alu instid0(VALU_DEP_3) | instskip(NEXT) | instid1(VALU_DEP_2)
	v_add_co_ci_u32_e32 v2, vcc_lo, 0, v3, vcc_lo
	v_mov_b32_dpp v3, v1 quad_perm:[1,0,3,2] row_mask:0xf bank_mask:0xf
	s_delay_alu instid0(VALU_DEP_1) | instskip(SKIP_1) | instid1(VALU_DEP_4)
	v_add_co_u32 v1, vcc_lo, v1, v3
	v_mov_b32_dpp v3, v4 quad_perm:[1,0,3,2] row_mask:0xf bank_mask:0xf
	v_add_co_ci_u32_e32 v2, vcc_lo, 0, v2, vcc_lo
	s_delay_alu instid0(VALU_DEP_3) | instskip(SKIP_1) | instid1(VALU_DEP_3)
	v_mov_b32_dpp v5, v1 quad_perm:[2,3,0,1] row_mask:0xf bank_mask:0xf
	v_add_co_u32 v1, vcc_lo, 0, v1
	v_add_co_ci_u32_e32 v2, vcc_lo, v3, v2, vcc_lo
	s_delay_alu instid0(VALU_DEP_2) | instskip(NEXT) | instid1(VALU_DEP_2)
	v_add_co_u32 v1, vcc_lo, v1, v5
	v_mov_b32_dpp v3, v2 quad_perm:[2,3,0,1] row_mask:0xf bank_mask:0xf
	v_add_co_ci_u32_e32 v2, vcc_lo, 0, v2, vcc_lo
	s_delay_alu instid0(VALU_DEP_3) | instskip(SKIP_1) | instid1(VALU_DEP_3)
	v_mov_b32_dpp v5, v1 row_ror:4 row_mask:0xf bank_mask:0xf
	v_add_co_u32 v1, vcc_lo, v1, 0
	v_add_co_ci_u32_e32 v2, vcc_lo, v2, v3, vcc_lo
	s_delay_alu instid0(VALU_DEP_2) | instskip(NEXT) | instid1(VALU_DEP_2)
	v_add_co_u32 v1, vcc_lo, v1, v5
	v_mov_b32_dpp v3, v2 row_ror:4 row_mask:0xf bank_mask:0xf
	v_add_co_ci_u32_e32 v2, vcc_lo, 0, v2, vcc_lo
	s_delay_alu instid0(VALU_DEP_3) | instskip(SKIP_1) | instid1(VALU_DEP_3)
	v_mov_b32_dpp v5, v1 row_ror:8 row_mask:0xf bank_mask:0xf
	v_add_co_u32 v1, vcc_lo, v1, 0
	v_add_co_ci_u32_e32 v2, vcc_lo, v2, v3, vcc_lo
	s_delay_alu instid0(VALU_DEP_2) | instskip(NEXT) | instid1(VALU_DEP_2)
	v_add_co_u32 v1, vcc_lo, v1, v5
	v_mov_b32_dpp v3, v2 row_ror:8 row_mask:0xf bank_mask:0xf
	v_add_co_ci_u32_e32 v2, vcc_lo, 0, v2, vcc_lo
	ds_swizzle_b32 v5, v1 offset:swizzle(BROADCAST,32,15)
	v_add_co_u32 v1, vcc_lo, v1, 0
	v_add_co_ci_u32_e32 v2, vcc_lo, v2, v3, vcc_lo
	ds_swizzle_b32 v3, v2 offset:swizzle(BROADCAST,32,15)
	s_waitcnt lgkmcnt(1)
	v_add_co_u32 v1, vcc_lo, v1, v5
	v_add_co_ci_u32_e32 v2, vcc_lo, 0, v2, vcc_lo
	ds_bpermute_b32 v1, v4, v1 offset:124
	s_waitcnt lgkmcnt(1)
	v_add_nc_u32_e32 v2, v3, v2
	v_mbcnt_lo_u32_b32 v3, -1, 0
	ds_bpermute_b32 v2, v4, v2 offset:124
	v_cmpx_eq_u32_e32 0, v3
	s_cbranch_execz .LBB34_454
; %bb.453:
	v_lshrrev_b32_e32 v4, 2, v0
	s_delay_alu instid0(VALU_DEP_1)
	v_and_b32_e32 v4, 24, v4
	s_waitcnt lgkmcnt(0)
	ds_store_b64 v4, v[1:2] offset:128
.LBB34_454:
	s_or_b32 exec_lo, exec_lo, s2
	s_delay_alu instid0(SALU_CYCLE_1)
	s_mov_b32 s2, exec_lo
	s_waitcnt lgkmcnt(0)
	s_barrier
	buffer_gl0_inv
	v_cmpx_gt_u32_e32 32, v0
	s_cbranch_execz .LBB34_456
; %bb.455:
	v_and_b32_e32 v4, 3, v3
	s_delay_alu instid0(VALU_DEP_1) | instskip(SKIP_4) | instid1(VALU_DEP_2)
	v_lshlrev_b32_e32 v1, 3, v4
	v_cmp_ne_u32_e32 vcc_lo, 3, v4
	ds_load_b64 v[1:2], v1 offset:128
	v_add_co_ci_u32_e32 v5, vcc_lo, 0, v3, vcc_lo
	v_cmp_gt_u32_e32 vcc_lo, 2, v4
	v_lshlrev_b32_e32 v5, 2, v5
	v_cndmask_b32_e64 v4, 0, 1, vcc_lo
	s_delay_alu instid0(VALU_DEP_1) | instskip(NEXT) | instid1(VALU_DEP_1)
	v_lshlrev_b32_e32 v4, 1, v4
	v_add_lshl_u32 v3, v4, v3, 2
	s_waitcnt lgkmcnt(0)
	ds_bpermute_b32 v6, v5, v1
	ds_bpermute_b32 v5, v5, v2
	s_waitcnt lgkmcnt(1)
	v_add_co_u32 v1, vcc_lo, v1, v6
	v_add_co_ci_u32_e32 v2, vcc_lo, 0, v2, vcc_lo
	ds_bpermute_b32 v4, v3, v1
	v_add_co_u32 v1, vcc_lo, 0, v1
	s_waitcnt lgkmcnt(1)
	v_add_co_ci_u32_e32 v2, vcc_lo, v5, v2, vcc_lo
	ds_bpermute_b32 v3, v3, v2
	s_waitcnt lgkmcnt(1)
	v_add_co_u32 v1, vcc_lo, v1, v4
	v_add_co_ci_u32_e32 v2, vcc_lo, 0, v2, vcc_lo
	s_delay_alu instid0(VALU_DEP_2) | instskip(SKIP_1) | instid1(VALU_DEP_2)
	v_add_co_u32 v1, vcc_lo, v1, 0
	s_waitcnt lgkmcnt(0)
	v_add_co_ci_u32_e32 v2, vcc_lo, v2, v3, vcc_lo
.LBB34_456:
	s_or_b32 exec_lo, exec_lo, s2
.LBB34_457:
	v_cmp_eq_u32_e64 s2, 0, v0
	s_branch .LBB34_605
.LBB34_458:
                                        ; implicit-def: $vgpr1_vgpr2
	s_cbranch_execnz .LBB34_544
	s_branch .LBB34_605
.LBB34_459:
	s_branch .LBB34_605
.LBB34_460:
                                        ; implicit-def: $vgpr1_vgpr2
	s_cbranch_execz .LBB34_457
; %bb.461:
	s_sub_i32 s2, s20, s3
	s_mov_b32 s3, exec_lo
                                        ; implicit-def: $vgpr1_vgpr2
	v_cmpx_gt_u32_e64 s2, v0
	s_cbranch_execz .LBB34_463
; %bb.462:
	global_load_u8 v1, v0, s[4:5]
	s_mov_b32 s6, 0
	s_delay_alu instid0(SALU_CYCLE_1)
	v_mov_b32_e32 v2, s6
	s_waitcnt vmcnt(0)
	v_cmp_ne_u16_e32 vcc_lo, 0, v1
	v_cndmask_b32_e64 v1, 0, 1, vcc_lo
.LBB34_463:
	s_or_b32 exec_lo, exec_lo, s3
	s_waitcnt lgkmcnt(0)
	v_mov_b32_e32 v3, 0
	v_or_b32_e32 v5, 0x80, v0
	v_mov_b32_e32 v4, 0
	s_delay_alu instid0(VALU_DEP_2) | instskip(NEXT) | instid1(VALU_DEP_2)
	v_cmp_gt_u32_e32 vcc_lo, s2, v5
	v_dual_mov_b32 v6, v4 :: v_dual_mov_b32 v5, v3
	s_and_saveexec_b32 s3, vcc_lo
	s_cbranch_execz .LBB34_465
; %bb.464:
	global_load_u8 v5, v0, s[4:5] offset:128
	s_mov_b32 s6, 0
	s_delay_alu instid0(SALU_CYCLE_1)
	v_mov_b32_e32 v6, s6
	s_waitcnt vmcnt(0)
	v_cmp_ne_u16_e32 vcc_lo, 0, v5
	v_cndmask_b32_e64 v5, 0, 1, vcc_lo
.LBB34_465:
	s_or_b32 exec_lo, exec_lo, s3
	v_or_b32_e32 v7, 0x100, v0
	s_mov_b32 s3, exec_lo
	s_delay_alu instid0(VALU_DEP_1)
	v_cmpx_gt_u32_e64 s2, v7
	s_cbranch_execz .LBB34_467
; %bb.466:
	global_load_u8 v3, v0, s[4:5] offset:256
	s_mov_b32 s6, 0
	s_delay_alu instid0(SALU_CYCLE_1)
	v_mov_b32_e32 v4, s6
	s_waitcnt vmcnt(0)
	v_cmp_ne_u16_e32 vcc_lo, 0, v3
	v_cndmask_b32_e64 v3, 0, 1, vcc_lo
.LBB34_467:
	s_or_b32 exec_lo, exec_lo, s3
	v_mov_b32_e32 v7, 0
	v_or_b32_e32 v9, 0x180, v0
	v_mov_b32_e32 v8, 0
	s_delay_alu instid0(VALU_DEP_2) | instskip(NEXT) | instid1(VALU_DEP_2)
	v_cmp_gt_u32_e32 vcc_lo, s2, v9
	v_dual_mov_b32 v10, v8 :: v_dual_mov_b32 v9, v7
	s_and_saveexec_b32 s3, vcc_lo
	s_cbranch_execz .LBB34_469
; %bb.468:
	global_load_u8 v9, v0, s[4:5] offset:384
	s_mov_b32 s6, 0
	s_delay_alu instid0(SALU_CYCLE_1)
	v_mov_b32_e32 v10, s6
	s_waitcnt vmcnt(0)
	v_cmp_ne_u16_e32 vcc_lo, 0, v9
	v_cndmask_b32_e64 v9, 0, 1, vcc_lo
.LBB34_469:
	s_or_b32 exec_lo, exec_lo, s3
	v_or_b32_e32 v11, 0x200, v0
	s_mov_b32 s3, exec_lo
	s_delay_alu instid0(VALU_DEP_1)
	v_cmpx_gt_u32_e64 s2, v11
	s_cbranch_execz .LBB34_471
; %bb.470:
	global_load_u8 v7, v0, s[4:5] offset:512
	s_mov_b32 s6, 0
	s_delay_alu instid0(SALU_CYCLE_1)
	v_mov_b32_e32 v8, s6
	s_waitcnt vmcnt(0)
	v_cmp_ne_u16_e32 vcc_lo, 0, v7
	v_cndmask_b32_e64 v7, 0, 1, vcc_lo
.LBB34_471:
	s_or_b32 exec_lo, exec_lo, s3
	;; [unrolled: 33-line block ×15, first 2 shown]
	v_mov_b32_e32 v63, 0
	v_or_b32_e32 v65, 0xf80, v0
	v_mov_b32_e32 v64, 0
	s_mov_b32 s3, exec_lo
	s_delay_alu instid0(VALU_DEP_2)
	v_cmpx_gt_u32_e64 s2, v65
	s_cbranch_execz .LBB34_525
; %bb.524:
	global_load_u8 v63, v0, s[4:5] offset:3968
	s_mov_b32 s4, 0
	s_delay_alu instid0(SALU_CYCLE_1)
	v_mov_b32_e32 v64, s4
	s_waitcnt vmcnt(0)
	v_cmp_ne_u16_e32 vcc_lo, 0, v63
	v_cndmask_b32_e64 v63, 0, 1, vcc_lo
.LBB34_525:
	s_or_b32 exec_lo, exec_lo, s3
	v_add_co_u32 v1, vcc_lo, v5, v1
	v_add_co_ci_u32_e32 v2, vcc_lo, v6, v2, vcc_lo
	s_min_u32 s2, s2, 0x80
	s_delay_alu instid0(VALU_DEP_2) | instskip(NEXT) | instid1(VALU_DEP_2)
	v_add_co_u32 v1, vcc_lo, v1, v3
	v_add_co_ci_u32_e32 v2, vcc_lo, v2, v4, vcc_lo
	v_mbcnt_lo_u32_b32 v3, -1, 0
	s_delay_alu instid0(VALU_DEP_3) | instskip(NEXT) | instid1(VALU_DEP_3)
	v_add_co_u32 v1, vcc_lo, v1, v9
	v_add_co_ci_u32_e32 v2, vcc_lo, v2, v10, vcc_lo
	s_delay_alu instid0(VALU_DEP_3) | instskip(NEXT) | instid1(VALU_DEP_3)
	v_add_nc_u32_e32 v5, 1, v3
	v_add_co_u32 v1, vcc_lo, v1, v7
	s_delay_alu instid0(VALU_DEP_3) | instskip(NEXT) | instid1(VALU_DEP_2)
	v_add_co_ci_u32_e32 v2, vcc_lo, v2, v8, vcc_lo
	v_add_co_u32 v1, vcc_lo, v1, v13
	s_delay_alu instid0(VALU_DEP_2) | instskip(NEXT) | instid1(VALU_DEP_2)
	v_add_co_ci_u32_e32 v2, vcc_lo, v2, v14, vcc_lo
	v_add_co_u32 v1, vcc_lo, v1, v11
	s_delay_alu instid0(VALU_DEP_2) | instskip(NEXT) | instid1(VALU_DEP_2)
	;; [unrolled: 3-line block ×24, first 2 shown]
	v_add_co_ci_u32_e32 v2, vcc_lo, v2, v56, vcc_lo
	v_add_co_u32 v1, vcc_lo, v1, v61
	s_delay_alu instid0(VALU_DEP_2) | instskip(SKIP_2) | instid1(VALU_DEP_4)
	v_add_co_ci_u32_e32 v2, vcc_lo, v2, v62, vcc_lo
	v_cmp_ne_u32_e32 vcc_lo, 31, v3
	v_add_co_ci_u32_e32 v4, vcc_lo, 0, v3, vcc_lo
	v_add_co_u32 v1, vcc_lo, v1, v59
	s_delay_alu instid0(VALU_DEP_4) | instskip(NEXT) | instid1(VALU_DEP_2)
	v_add_co_ci_u32_e32 v2, vcc_lo, v2, v60, vcc_lo
	v_add_co_u32 v1, vcc_lo, v1, v63
	s_delay_alu instid0(VALU_DEP_4) | instskip(NEXT) | instid1(VALU_DEP_3)
	v_lshlrev_b32_e32 v4, 2, v4
	v_add_co_ci_u32_e32 v2, vcc_lo, v2, v64, vcc_lo
	ds_bpermute_b32 v7, v4, v1
	ds_bpermute_b32 v6, v4, v2
	v_and_b32_e32 v4, 0x60, v0
	s_delay_alu instid0(VALU_DEP_1) | instskip(NEXT) | instid1(VALU_DEP_1)
	v_sub_nc_u32_e64 v4, s2, v4 clamp
	v_cmp_lt_u32_e32 vcc_lo, v5, v4
	v_mov_b32_e32 v5, v1
	s_and_saveexec_b32 s3, vcc_lo
	s_cbranch_execz .LBB34_527
; %bb.526:
	s_waitcnt lgkmcnt(1)
	v_add_co_u32 v5, vcc_lo, v1, v7
	v_add_co_ci_u32_e32 v2, vcc_lo, 0, v2, vcc_lo
	s_delay_alu instid0(VALU_DEP_2) | instskip(SKIP_1) | instid1(VALU_DEP_2)
	v_add_co_u32 v1, vcc_lo, 0, v5
	s_waitcnt lgkmcnt(0)
	v_add_co_ci_u32_e32 v2, vcc_lo, v6, v2, vcc_lo
.LBB34_527:
	s_or_b32 exec_lo, exec_lo, s3
	v_cmp_gt_u32_e32 vcc_lo, 30, v3
	v_add_nc_u32_e32 v8, 2, v3
	s_mov_b32 s3, exec_lo
	s_waitcnt lgkmcnt(0)
	v_cndmask_b32_e64 v6, 0, 1, vcc_lo
	s_delay_alu instid0(VALU_DEP_1) | instskip(NEXT) | instid1(VALU_DEP_1)
	v_lshlrev_b32_e32 v6, 1, v6
	v_add_lshl_u32 v6, v6, v3, 2
	ds_bpermute_b32 v7, v6, v5
	ds_bpermute_b32 v6, v6, v2
	v_cmpx_lt_u32_e64 v8, v4
	s_cbranch_execz .LBB34_529
; %bb.528:
	s_waitcnt lgkmcnt(1)
	v_add_co_u32 v5, vcc_lo, v1, v7
	v_add_co_ci_u32_e32 v2, vcc_lo, 0, v2, vcc_lo
	s_delay_alu instid0(VALU_DEP_2) | instskip(SKIP_1) | instid1(VALU_DEP_2)
	v_add_co_u32 v1, vcc_lo, 0, v5
	s_waitcnt lgkmcnt(0)
	v_add_co_ci_u32_e32 v2, vcc_lo, v6, v2, vcc_lo
.LBB34_529:
	s_or_b32 exec_lo, exec_lo, s3
	v_cmp_gt_u32_e32 vcc_lo, 28, v3
	v_add_nc_u32_e32 v8, 4, v3
	s_mov_b32 s3, exec_lo
	s_waitcnt lgkmcnt(0)
	v_cndmask_b32_e64 v6, 0, 1, vcc_lo
	s_delay_alu instid0(VALU_DEP_1) | instskip(NEXT) | instid1(VALU_DEP_1)
	v_lshlrev_b32_e32 v6, 2, v6
	v_add_lshl_u32 v6, v6, v3, 2
	ds_bpermute_b32 v7, v6, v5
	ds_bpermute_b32 v6, v6, v2
	v_cmpx_lt_u32_e64 v8, v4
	;; [unrolled: 22-line block ×3, first 2 shown]
	s_cbranch_execz .LBB34_533
; %bb.532:
	s_waitcnt lgkmcnt(1)
	v_add_co_u32 v5, vcc_lo, v1, v7
	v_add_co_ci_u32_e32 v2, vcc_lo, 0, v2, vcc_lo
	s_delay_alu instid0(VALU_DEP_2) | instskip(SKIP_1) | instid1(VALU_DEP_2)
	v_add_co_u32 v1, vcc_lo, 0, v5
	s_waitcnt lgkmcnt(0)
	v_add_co_ci_u32_e32 v2, vcc_lo, v6, v2, vcc_lo
.LBB34_533:
	s_or_b32 exec_lo, exec_lo, s3
	v_cmp_gt_u32_e32 vcc_lo, 16, v3
	s_mov_b32 s3, exec_lo
	s_waitcnt lgkmcnt(0)
	v_cndmask_b32_e64 v6, 0, 1, vcc_lo
	s_delay_alu instid0(VALU_DEP_1) | instskip(NEXT) | instid1(VALU_DEP_1)
	v_lshlrev_b32_e32 v6, 4, v6
	v_add_lshl_u32 v7, v6, v3, 2
	ds_bpermute_b32 v6, v7, v5
	ds_bpermute_b32 v5, v7, v2
	v_add_nc_u32_e32 v7, 16, v3
	s_delay_alu instid0(VALU_DEP_1)
	v_cmpx_lt_u32_e64 v7, v4
	s_cbranch_execz .LBB34_535
; %bb.534:
	s_waitcnt lgkmcnt(1)
	v_add_co_u32 v1, vcc_lo, v1, v6
	v_add_co_ci_u32_e32 v2, vcc_lo, 0, v2, vcc_lo
	s_delay_alu instid0(VALU_DEP_2) | instskip(SKIP_1) | instid1(VALU_DEP_2)
	v_add_co_u32 v1, vcc_lo, v1, 0
	s_waitcnt lgkmcnt(0)
	v_add_co_ci_u32_e32 v2, vcc_lo, v2, v5, vcc_lo
.LBB34_535:
	s_or_b32 exec_lo, exec_lo, s3
	s_delay_alu instid0(SALU_CYCLE_1)
	s_mov_b32 s3, exec_lo
	v_cmpx_eq_u32_e32 0, v3
	s_cbranch_execz .LBB34_537
; %bb.536:
	v_lshrrev_b32_e32 v4, 2, v0
	s_delay_alu instid0(VALU_DEP_1)
	v_and_b32_e32 v4, 24, v4
	ds_store_b64 v4, v[1:2] offset:256
.LBB34_537:
	s_or_b32 exec_lo, exec_lo, s3
	s_delay_alu instid0(SALU_CYCLE_1)
	s_mov_b32 s3, exec_lo
	s_waitcnt lgkmcnt(0)
	s_barrier
	buffer_gl0_inv
	v_cmpx_gt_u32_e32 4, v0
	s_cbranch_execz .LBB34_543
; %bb.538:
	v_lshlrev_b32_e32 v1, 3, v3
	s_add_i32 s2, s2, 31
	s_delay_alu instid0(SALU_CYCLE_1) | instskip(SKIP_2) | instid1(VALU_DEP_1)
	s_lshr_b32 s2, s2, 5
	ds_load_b64 v[1:2], v1 offset:256
	v_and_b32_e32 v4, 3, v3
	v_cmp_ne_u32_e32 vcc_lo, 3, v4
	v_add_co_ci_u32_e32 v5, vcc_lo, 0, v3, vcc_lo
	s_delay_alu instid0(VALU_DEP_1) | instskip(SKIP_4) | instid1(VALU_DEP_1)
	v_lshlrev_b32_e32 v5, 2, v5
	s_waitcnt lgkmcnt(0)
	ds_bpermute_b32 v7, v5, v1
	ds_bpermute_b32 v6, v5, v2
	v_add_nc_u32_e32 v5, 1, v4
	v_cmp_gt_u32_e32 vcc_lo, s2, v5
	v_mov_b32_e32 v5, v1
	s_and_saveexec_b32 s4, vcc_lo
	s_cbranch_execz .LBB34_540
; %bb.539:
	s_waitcnt lgkmcnt(1)
	v_add_co_u32 v5, vcc_lo, v1, v7
	v_add_co_ci_u32_e32 v2, vcc_lo, 0, v2, vcc_lo
	s_delay_alu instid0(VALU_DEP_2) | instskip(SKIP_1) | instid1(VALU_DEP_2)
	v_add_co_u32 v1, vcc_lo, 0, v5
	s_waitcnt lgkmcnt(0)
	v_add_co_ci_u32_e32 v2, vcc_lo, v6, v2, vcc_lo
.LBB34_540:
	s_or_b32 exec_lo, exec_lo, s4
	v_cmp_gt_u32_e32 vcc_lo, 2, v4
	v_add_nc_u32_e32 v4, 2, v4
	s_waitcnt lgkmcnt(0)
	v_cndmask_b32_e64 v6, 0, 1, vcc_lo
	s_delay_alu instid0(VALU_DEP_2) | instskip(NEXT) | instid1(VALU_DEP_2)
	v_cmp_gt_u32_e32 vcc_lo, s2, v4
	v_lshlrev_b32_e32 v6, 1, v6
	s_delay_alu instid0(VALU_DEP_1)
	v_add_lshl_u32 v3, v6, v3, 2
	ds_bpermute_b32 v5, v3, v5
	ds_bpermute_b32 v3, v3, v2
	s_and_saveexec_b32 s2, vcc_lo
	s_cbranch_execz .LBB34_542
; %bb.541:
	s_waitcnt lgkmcnt(1)
	v_add_co_u32 v1, vcc_lo, v1, v5
	v_add_co_ci_u32_e32 v2, vcc_lo, 0, v2, vcc_lo
	s_delay_alu instid0(VALU_DEP_2) | instskip(SKIP_1) | instid1(VALU_DEP_2)
	v_add_co_u32 v1, vcc_lo, v1, 0
	s_waitcnt lgkmcnt(0)
	v_add_co_ci_u32_e32 v2, vcc_lo, v2, v3, vcc_lo
.LBB34_542:
	s_or_b32 exec_lo, exec_lo, s2
.LBB34_543:
	s_delay_alu instid0(SALU_CYCLE_1)
	s_or_b32 exec_lo, exec_lo, s3
	v_cmp_eq_u32_e64 s2, 0, v0
	s_branch .LBB34_605
.LBB34_544:
	s_cmp_eq_u32 s26, 16
                                        ; implicit-def: $vgpr1_vgpr2
	s_cbranch_scc0 .LBB34_605
; %bb.545:
	s_lshl_b32 s3, s18, 11
	s_lshr_b64 s[4:5], s[20:21], 11
	s_mov_b32 s19, 0
	s_add_u32 s16, s24, s3
	s_addc_u32 s17, s25, 0
	s_cmp_lg_u64 s[4:5], s[18:19]
	s_cbranch_scc0 .LBB34_551
; %bb.546:
	s_clause 0x1
	global_load_u8 v1, v0, s[16:17]
	global_load_u8 v2, v0, s[16:17] offset:128
	s_waitcnt lgkmcnt(0)
	s_clause 0xd
	global_load_u8 v3, v0, s[16:17] offset:256
	global_load_u8 v4, v0, s[16:17] offset:384
	;; [unrolled: 1-line block ×14, first 2 shown]
	s_waitcnt vmcnt(15)
	v_cmp_ne_u16_e32 vcc_lo, 0, v1
	v_cndmask_b32_e64 v1, 0, 1, vcc_lo
	s_waitcnt vmcnt(14)
	v_cmp_ne_u16_e32 vcc_lo, 0, v2
	v_cndmask_b32_e64 v2, 0, 1, vcc_lo
	s_waitcnt vmcnt(13)
	v_cmp_ne_u16_e32 vcc_lo, 0, v3
	s_delay_alu instid0(VALU_DEP_2)
	v_add_co_u32 v1, s2, v2, v1
	v_cndmask_b32_e64 v3, 0, 1, vcc_lo
	s_waitcnt vmcnt(12)
	v_cmp_ne_u16_e32 vcc_lo, 0, v4
	v_add_co_ci_u32_e64 v4, null, 0, 0, s2
	s_waitcnt vmcnt(11)
	v_cmp_ne_u16_e64 s2, 0, v5
	v_cndmask_b32_e64 v2, 0, 1, vcc_lo
	v_add_co_u32 v1, vcc_lo, v1, v3
	v_add_co_ci_u32_e32 v4, vcc_lo, 0, v4, vcc_lo
	s_delay_alu instid0(VALU_DEP_4) | instskip(NEXT) | instid1(VALU_DEP_3)
	v_cndmask_b32_e64 v3, 0, 1, s2
	v_add_co_u32 v1, vcc_lo, v1, v2
	s_waitcnt vmcnt(10)
	v_cmp_ne_u16_e64 s2, 0, v6
	v_add_co_ci_u32_e32 v4, vcc_lo, 0, v4, vcc_lo
	s_delay_alu instid0(VALU_DEP_3) | instskip(NEXT) | instid1(VALU_DEP_3)
	v_add_co_u32 v1, vcc_lo, v1, v3
	v_cndmask_b32_e64 v2, 0, 1, s2
	s_waitcnt vmcnt(9)
	v_cmp_ne_u16_e64 s2, 0, v7
	v_add_co_ci_u32_e32 v4, vcc_lo, 0, v4, vcc_lo
	s_delay_alu instid0(VALU_DEP_3) | instskip(NEXT) | instid1(VALU_DEP_3)
	v_add_co_u32 v1, vcc_lo, v1, v2
	v_cndmask_b32_e64 v3, 0, 1, s2
	;; [unrolled: 6-line block ×11, first 2 shown]
	s_delay_alu instid0(VALU_DEP_3) | instskip(SKIP_2) | instid1(VALU_DEP_3)
	v_add_co_ci_u32_e32 v3, vcc_lo, 0, v4, vcc_lo
	v_mov_b32_e32 v4, 0
	s_mov_b32 s2, exec_lo
	v_add_co_u32 v1, vcc_lo, v1, v2
	s_delay_alu instid0(VALU_DEP_3) | instskip(NEXT) | instid1(VALU_DEP_2)
	v_add_co_ci_u32_e32 v2, vcc_lo, 0, v3, vcc_lo
	v_mov_b32_dpp v3, v1 quad_perm:[1,0,3,2] row_mask:0xf bank_mask:0xf
	s_delay_alu instid0(VALU_DEP_1) | instskip(SKIP_1) | instid1(VALU_DEP_4)
	v_add_co_u32 v1, vcc_lo, v1, v3
	v_mov_b32_dpp v3, v4 quad_perm:[1,0,3,2] row_mask:0xf bank_mask:0xf
	v_add_co_ci_u32_e32 v2, vcc_lo, 0, v2, vcc_lo
	s_delay_alu instid0(VALU_DEP_3) | instskip(SKIP_1) | instid1(VALU_DEP_3)
	v_mov_b32_dpp v5, v1 quad_perm:[2,3,0,1] row_mask:0xf bank_mask:0xf
	v_add_co_u32 v1, vcc_lo, 0, v1
	v_add_co_ci_u32_e32 v2, vcc_lo, v3, v2, vcc_lo
	s_delay_alu instid0(VALU_DEP_2) | instskip(NEXT) | instid1(VALU_DEP_2)
	v_add_co_u32 v1, vcc_lo, v1, v5
	v_mov_b32_dpp v3, v2 quad_perm:[2,3,0,1] row_mask:0xf bank_mask:0xf
	v_add_co_ci_u32_e32 v2, vcc_lo, 0, v2, vcc_lo
	s_delay_alu instid0(VALU_DEP_3) | instskip(SKIP_1) | instid1(VALU_DEP_3)
	v_mov_b32_dpp v5, v1 row_ror:4 row_mask:0xf bank_mask:0xf
	v_add_co_u32 v1, vcc_lo, v1, 0
	v_add_co_ci_u32_e32 v2, vcc_lo, v2, v3, vcc_lo
	s_delay_alu instid0(VALU_DEP_2) | instskip(NEXT) | instid1(VALU_DEP_2)
	v_add_co_u32 v1, vcc_lo, v1, v5
	v_mov_b32_dpp v3, v2 row_ror:4 row_mask:0xf bank_mask:0xf
	v_add_co_ci_u32_e32 v2, vcc_lo, 0, v2, vcc_lo
	s_delay_alu instid0(VALU_DEP_3) | instskip(SKIP_1) | instid1(VALU_DEP_3)
	v_mov_b32_dpp v5, v1 row_ror:8 row_mask:0xf bank_mask:0xf
	v_add_co_u32 v1, vcc_lo, v1, 0
	v_add_co_ci_u32_e32 v2, vcc_lo, v2, v3, vcc_lo
	s_delay_alu instid0(VALU_DEP_2) | instskip(NEXT) | instid1(VALU_DEP_2)
	v_add_co_u32 v1, vcc_lo, v1, v5
	v_mov_b32_dpp v3, v2 row_ror:8 row_mask:0xf bank_mask:0xf
	v_add_co_ci_u32_e32 v2, vcc_lo, 0, v2, vcc_lo
	ds_swizzle_b32 v5, v1 offset:swizzle(BROADCAST,32,15)
	v_add_co_u32 v1, vcc_lo, v1, 0
	v_add_co_ci_u32_e32 v2, vcc_lo, v2, v3, vcc_lo
	ds_swizzle_b32 v3, v2 offset:swizzle(BROADCAST,32,15)
	s_waitcnt lgkmcnt(1)
	v_add_co_u32 v1, vcc_lo, v1, v5
	v_add_co_ci_u32_e32 v2, vcc_lo, 0, v2, vcc_lo
	ds_bpermute_b32 v1, v4, v1 offset:124
	s_waitcnt lgkmcnt(1)
	v_add_nc_u32_e32 v2, v3, v2
	v_mbcnt_lo_u32_b32 v3, -1, 0
	ds_bpermute_b32 v2, v4, v2 offset:124
	v_cmpx_eq_u32_e32 0, v3
	s_cbranch_execz .LBB34_548
; %bb.547:
	v_lshrrev_b32_e32 v4, 2, v0
	s_delay_alu instid0(VALU_DEP_1)
	v_and_b32_e32 v4, 24, v4
	s_waitcnt lgkmcnt(0)
	ds_store_b64 v4, v[1:2] offset:32
.LBB34_548:
	s_or_b32 exec_lo, exec_lo, s2
	s_delay_alu instid0(SALU_CYCLE_1)
	s_mov_b32 s2, exec_lo
	s_waitcnt lgkmcnt(0)
	s_barrier
	buffer_gl0_inv
	v_cmpx_gt_u32_e32 32, v0
	s_cbranch_execz .LBB34_550
; %bb.549:
	v_and_b32_e32 v4, 3, v3
	s_delay_alu instid0(VALU_DEP_1) | instskip(SKIP_4) | instid1(VALU_DEP_2)
	v_lshlrev_b32_e32 v1, 3, v4
	v_cmp_ne_u32_e32 vcc_lo, 3, v4
	ds_load_b64 v[1:2], v1 offset:32
	v_add_co_ci_u32_e32 v5, vcc_lo, 0, v3, vcc_lo
	v_cmp_gt_u32_e32 vcc_lo, 2, v4
	v_lshlrev_b32_e32 v5, 2, v5
	v_cndmask_b32_e64 v4, 0, 1, vcc_lo
	s_delay_alu instid0(VALU_DEP_1) | instskip(NEXT) | instid1(VALU_DEP_1)
	v_lshlrev_b32_e32 v4, 1, v4
	v_add_lshl_u32 v3, v4, v3, 2
	s_waitcnt lgkmcnt(0)
	ds_bpermute_b32 v6, v5, v1
	ds_bpermute_b32 v5, v5, v2
	s_waitcnt lgkmcnt(1)
	v_add_co_u32 v1, vcc_lo, v1, v6
	v_add_co_ci_u32_e32 v2, vcc_lo, 0, v2, vcc_lo
	ds_bpermute_b32 v4, v3, v1
	v_add_co_u32 v1, vcc_lo, 0, v1
	s_waitcnt lgkmcnt(1)
	v_add_co_ci_u32_e32 v2, vcc_lo, v5, v2, vcc_lo
	ds_bpermute_b32 v3, v3, v2
	s_waitcnt lgkmcnt(1)
	v_add_co_u32 v1, vcc_lo, v1, v4
	v_add_co_ci_u32_e32 v2, vcc_lo, 0, v2, vcc_lo
	s_delay_alu instid0(VALU_DEP_2) | instskip(SKIP_1) | instid1(VALU_DEP_2)
	v_add_co_u32 v1, vcc_lo, v1, 0
	s_waitcnt lgkmcnt(0)
	v_add_co_ci_u32_e32 v2, vcc_lo, v2, v3, vcc_lo
.LBB34_550:
	s_or_b32 exec_lo, exec_lo, s2
	s_mov_b32 s2, 0
	s_branch .LBB34_552
.LBB34_551:
	s_mov_b32 s2, -1
                                        ; implicit-def: $vgpr1_vgpr2
.LBB34_552:
	s_delay_alu instid0(SALU_CYCLE_1)
	s_and_b32 vcc_lo, exec_lo, s2
	s_cbranch_vccz .LBB34_604
; %bb.553:
	s_sub_i32 s27, s20, s3
	s_mov_b32 s2, exec_lo
                                        ; implicit-def: $vgpr1_vgpr2_vgpr3_vgpr4_vgpr5_vgpr6_vgpr7_vgpr8_vgpr9_vgpr10_vgpr11_vgpr12_vgpr13_vgpr14_vgpr15_vgpr16_vgpr17_vgpr18_vgpr19_vgpr20_vgpr21_vgpr22_vgpr23_vgpr24_vgpr25_vgpr26_vgpr27_vgpr28_vgpr29_vgpr30_vgpr31_vgpr32
	v_cmpx_gt_u32_e64 s27, v0
	s_cbranch_execz .LBB34_555
; %bb.554:
	global_load_u8 v1, v0, s[16:17]
	v_mov_b32_e32 v2, 0
	s_waitcnt vmcnt(0)
	v_cmp_ne_u16_e32 vcc_lo, 0, v1
	v_cndmask_b32_e64 v1, 0, 1, vcc_lo
.LBB34_555:
	s_or_b32 exec_lo, exec_lo, s2
	v_or_b32_e32 v33, 0x80, v0
	s_delay_alu instid0(VALU_DEP_1)
	v_cmp_gt_u32_e32 vcc_lo, s27, v33
	s_and_saveexec_b32 s3, vcc_lo
	s_cbranch_execz .LBB34_557
; %bb.556:
	s_waitcnt lgkmcnt(0)
	global_load_u8 v3, v0, s[16:17] offset:128
	v_mov_b32_e32 v4, 0
	s_waitcnt vmcnt(0)
	v_cmp_ne_u16_e64 s2, 0, v3
	s_delay_alu instid0(VALU_DEP_1)
	v_cndmask_b32_e64 v3, 0, 1, s2
.LBB34_557:
	s_or_b32 exec_lo, exec_lo, s3
	v_or_b32_e32 v33, 0x100, v0
	s_delay_alu instid0(VALU_DEP_1) | instskip(NEXT) | instid1(VALU_DEP_1)
	v_cmp_gt_u32_e64 s2, s27, v33
	s_and_saveexec_b32 s4, s2
	s_cbranch_execz .LBB34_559
; %bb.558:
	s_waitcnt lgkmcnt(1)
	global_load_u8 v5, v0, s[16:17] offset:256
	v_mov_b32_e32 v6, 0
	s_waitcnt vmcnt(0)
	v_cmp_ne_u16_e64 s3, 0, v5
	s_delay_alu instid0(VALU_DEP_1)
	v_cndmask_b32_e64 v5, 0, 1, s3
.LBB34_559:
	s_or_b32 exec_lo, exec_lo, s4
	v_or_b32_e32 v33, 0x180, v0
	s_delay_alu instid0(VALU_DEP_1) | instskip(NEXT) | instid1(VALU_DEP_1)
	v_cmp_gt_u32_e64 s3, s27, v33
	s_and_saveexec_b32 s5, s3
	s_cbranch_execz .LBB34_561
; %bb.560:
	global_load_u8 v7, v0, s[16:17] offset:384
	v_mov_b32_e32 v8, 0
	s_waitcnt vmcnt(0)
	v_cmp_ne_u16_e64 s4, 0, v7
	s_delay_alu instid0(VALU_DEP_1)
	v_cndmask_b32_e64 v7, 0, 1, s4
.LBB34_561:
	s_or_b32 exec_lo, exec_lo, s5
	v_or_b32_e32 v33, 0x200, v0
	s_delay_alu instid0(VALU_DEP_1) | instskip(NEXT) | instid1(VALU_DEP_1)
	v_cmp_gt_u32_e64 s4, s27, v33
	s_and_saveexec_b32 s6, s4
	s_cbranch_execz .LBB34_563
; %bb.562:
	global_load_u8 v9, v0, s[16:17] offset:512
	v_mov_b32_e32 v10, 0
	s_waitcnt vmcnt(0)
	v_cmp_ne_u16_e64 s5, 0, v9
	s_delay_alu instid0(VALU_DEP_1)
	v_cndmask_b32_e64 v9, 0, 1, s5
.LBB34_563:
	;; [unrolled: 14-line block ×13, first 2 shown]
	s_or_b32 exec_lo, exec_lo, s28
	s_waitcnt lgkmcnt(0)
	v_dual_cndmask_b32 v3, 0, v3 :: v_dual_cndmask_b32 v4, 0, v4
	v_cndmask_b32_e64 v5, 0, v5, s2
	v_cndmask_b32_e64 v6, 0, v6, s2
	s_min_u32 s2, s27, 0x80
	s_delay_alu instid0(VALU_DEP_3) | instskip(SKIP_2) | instid1(VALU_DEP_3)
	v_add_co_u32 v1, vcc_lo, v3, v1
	v_add_co_ci_u32_e32 v2, vcc_lo, v4, v2, vcc_lo
	v_cndmask_b32_e64 v3, 0, v7, s3
	v_add_co_u32 v1, vcc_lo, v1, v5
	s_delay_alu instid0(VALU_DEP_3) | instskip(SKIP_2) | instid1(VALU_DEP_4)
	v_add_co_ci_u32_e32 v2, vcc_lo, v2, v6, vcc_lo
	v_cndmask_b32_e64 v4, 0, v8, s3
	v_cndmask_b32_e64 v5, 0, v9, s4
	v_add_co_u32 v1, vcc_lo, v1, v3
	v_cndmask_b32_e64 v3, 0, v10, s4
	s_delay_alu instid0(VALU_DEP_4) | instskip(SKIP_1) | instid1(VALU_DEP_4)
	v_add_co_ci_u32_e32 v2, vcc_lo, v2, v4, vcc_lo
	v_cndmask_b32_e64 v4, 0, v11, s5
	v_add_co_u32 v1, vcc_lo, v1, v5
	s_delay_alu instid0(VALU_DEP_3) | instskip(SKIP_2) | instid1(VALU_DEP_4)
	v_add_co_ci_u32_e32 v2, vcc_lo, v2, v3, vcc_lo
	v_cndmask_b32_e64 v3, 0, v12, s5
	v_cndmask_b32_e64 v5, 0, v13, s6
	v_add_co_u32 v1, vcc_lo, v1, v4
	v_cndmask_b32_e64 v4, 0, v15, s7
	s_delay_alu instid0(VALU_DEP_4) | instskip(SKIP_1) | instid1(VALU_DEP_4)
	v_add_co_ci_u32_e32 v2, vcc_lo, v2, v3, vcc_lo
	v_cndmask_b32_e64 v3, 0, v14, s6
	v_add_co_u32 v1, vcc_lo, v1, v5
	v_cndmask_b32_e64 v5, 0, v17, s8
	v_cndmask_b32_e64 v6, 0, v31, s15
	s_delay_alu instid0(VALU_DEP_4) | instskip(SKIP_3) | instid1(VALU_DEP_3)
	v_add_co_ci_u32_e32 v2, vcc_lo, v2, v3, vcc_lo
	v_cndmask_b32_e64 v3, 0, v16, s7
	v_add_co_u32 v1, vcc_lo, v1, v4
	v_cndmask_b32_e64 v4, 0, v19, s9
	v_add_co_ci_u32_e32 v2, vcc_lo, v2, v3, vcc_lo
	v_cndmask_b32_e64 v3, 0, v18, s8
	s_delay_alu instid0(VALU_DEP_4) | instskip(SKIP_1) | instid1(VALU_DEP_3)
	v_add_co_u32 v1, vcc_lo, v1, v5
	v_cndmask_b32_e64 v5, 0, v21, s10
	v_add_co_ci_u32_e32 v2, vcc_lo, v2, v3, vcc_lo
	v_cndmask_b32_e64 v3, 0, v20, s9
	s_delay_alu instid0(VALU_DEP_4) | instskip(SKIP_1) | instid1(VALU_DEP_3)
	;; [unrolled: 5-line block ×5, first 2 shown]
	v_add_co_u32 v1, vcc_lo, v1, v5
	v_cndmask_b32_e64 v5, 0, v28, s13
	v_add_co_ci_u32_e32 v2, vcc_lo, v2, v3, vcc_lo
	v_mbcnt_lo_u32_b32 v3, -1, 0
	s_delay_alu instid0(VALU_DEP_4) | instskip(NEXT) | instid1(VALU_DEP_3)
	v_add_co_u32 v1, vcc_lo, v1, v4
	v_add_co_ci_u32_e32 v2, vcc_lo, v2, v5, vcc_lo
	s_delay_alu instid0(VALU_DEP_3) | instskip(SKIP_3) | instid1(VALU_DEP_3)
	v_cmp_ne_u32_e32 vcc_lo, 31, v3
	v_cndmask_b32_e64 v5, 0, v29, s14
	v_cndmask_b32_e64 v4, 0, v30, s14
	v_add_co_ci_u32_e32 v7, vcc_lo, 0, v3, vcc_lo
	v_add_co_u32 v1, vcc_lo, v1, v5
	s_delay_alu instid0(VALU_DEP_3) | instskip(SKIP_1) | instid1(VALU_DEP_3)
	v_add_co_ci_u32_e32 v2, vcc_lo, v2, v4, vcc_lo
	v_cndmask_b32_e64 v4, 0, v32, s15
	v_add_co_u32 v1, vcc_lo, v1, v6
	v_lshlrev_b32_e32 v5, 2, v7
	s_delay_alu instid0(VALU_DEP_3)
	v_add_co_ci_u32_e32 v2, vcc_lo, v2, v4, vcc_lo
	v_and_b32_e32 v4, 0x60, v0
	ds_bpermute_b32 v7, v5, v1
	ds_bpermute_b32 v6, v5, v2
	v_add_nc_u32_e32 v5, 1, v3
	v_sub_nc_u32_e64 v4, s2, v4 clamp
	s_delay_alu instid0(VALU_DEP_1)
	v_cmp_lt_u32_e32 vcc_lo, v5, v4
	v_mov_b32_e32 v5, v1
	s_and_saveexec_b32 s3, vcc_lo
	s_cbranch_execz .LBB34_587
; %bb.586:
	s_waitcnt lgkmcnt(1)
	v_add_co_u32 v5, vcc_lo, v1, v7
	v_add_co_ci_u32_e32 v2, vcc_lo, 0, v2, vcc_lo
	s_delay_alu instid0(VALU_DEP_2) | instskip(SKIP_1) | instid1(VALU_DEP_2)
	v_add_co_u32 v1, vcc_lo, v5, 0
	s_waitcnt lgkmcnt(0)
	v_add_co_ci_u32_e32 v2, vcc_lo, v2, v6, vcc_lo
.LBB34_587:
	s_or_b32 exec_lo, exec_lo, s3
	v_cmp_gt_u32_e32 vcc_lo, 30, v3
	v_add_nc_u32_e32 v8, 2, v3
	s_mov_b32 s3, exec_lo
	s_waitcnt lgkmcnt(0)
	v_cndmask_b32_e64 v6, 0, 1, vcc_lo
	s_delay_alu instid0(VALU_DEP_1) | instskip(NEXT) | instid1(VALU_DEP_1)
	v_lshlrev_b32_e32 v6, 1, v6
	v_add_lshl_u32 v6, v6, v3, 2
	ds_bpermute_b32 v7, v6, v5
	ds_bpermute_b32 v6, v6, v2
	v_cmpx_lt_u32_e64 v8, v4
	s_cbranch_execz .LBB34_589
; %bb.588:
	s_waitcnt lgkmcnt(1)
	v_add_co_u32 v5, vcc_lo, v1, v7
	v_add_co_ci_u32_e32 v2, vcc_lo, 0, v2, vcc_lo
	s_delay_alu instid0(VALU_DEP_2) | instskip(SKIP_1) | instid1(VALU_DEP_2)
	v_add_co_u32 v1, vcc_lo, 0, v5
	s_waitcnt lgkmcnt(0)
	v_add_co_ci_u32_e32 v2, vcc_lo, v6, v2, vcc_lo
.LBB34_589:
	s_or_b32 exec_lo, exec_lo, s3
	v_cmp_gt_u32_e32 vcc_lo, 28, v3
	v_add_nc_u32_e32 v8, 4, v3
	s_mov_b32 s3, exec_lo
	s_waitcnt lgkmcnt(0)
	v_cndmask_b32_e64 v6, 0, 1, vcc_lo
	s_delay_alu instid0(VALU_DEP_1) | instskip(NEXT) | instid1(VALU_DEP_1)
	v_lshlrev_b32_e32 v6, 2, v6
	v_add_lshl_u32 v6, v6, v3, 2
	ds_bpermute_b32 v7, v6, v5
	ds_bpermute_b32 v6, v6, v2
	v_cmpx_lt_u32_e64 v8, v4
	;; [unrolled: 22-line block ×3, first 2 shown]
	s_cbranch_execz .LBB34_593
; %bb.592:
	s_waitcnt lgkmcnt(1)
	v_add_co_u32 v5, vcc_lo, v1, v7
	v_add_co_ci_u32_e32 v2, vcc_lo, 0, v2, vcc_lo
	s_delay_alu instid0(VALU_DEP_2) | instskip(SKIP_1) | instid1(VALU_DEP_2)
	v_add_co_u32 v1, vcc_lo, 0, v5
	s_waitcnt lgkmcnt(0)
	v_add_co_ci_u32_e32 v2, vcc_lo, v6, v2, vcc_lo
.LBB34_593:
	s_or_b32 exec_lo, exec_lo, s3
	v_cmp_gt_u32_e32 vcc_lo, 16, v3
	s_mov_b32 s3, exec_lo
	s_waitcnt lgkmcnt(0)
	v_cndmask_b32_e64 v6, 0, 1, vcc_lo
	s_delay_alu instid0(VALU_DEP_1) | instskip(NEXT) | instid1(VALU_DEP_1)
	v_lshlrev_b32_e32 v6, 4, v6
	v_add_lshl_u32 v7, v6, v3, 2
	ds_bpermute_b32 v6, v7, v5
	ds_bpermute_b32 v5, v7, v2
	v_add_nc_u32_e32 v7, 16, v3
	s_delay_alu instid0(VALU_DEP_1)
	v_cmpx_lt_u32_e64 v7, v4
	s_cbranch_execz .LBB34_595
; %bb.594:
	s_waitcnt lgkmcnt(1)
	v_add_co_u32 v1, vcc_lo, v1, v6
	v_add_co_ci_u32_e32 v2, vcc_lo, 0, v2, vcc_lo
	s_delay_alu instid0(VALU_DEP_2) | instskip(SKIP_1) | instid1(VALU_DEP_2)
	v_add_co_u32 v1, vcc_lo, v1, 0
	s_waitcnt lgkmcnt(0)
	v_add_co_ci_u32_e32 v2, vcc_lo, v2, v5, vcc_lo
.LBB34_595:
	s_or_b32 exec_lo, exec_lo, s3
	s_delay_alu instid0(SALU_CYCLE_1)
	s_mov_b32 s3, exec_lo
	v_cmpx_eq_u32_e32 0, v3
	s_cbranch_execz .LBB34_597
; %bb.596:
	v_lshrrev_b32_e32 v4, 2, v0
	s_delay_alu instid0(VALU_DEP_1)
	v_and_b32_e32 v4, 24, v4
	ds_store_b64 v4, v[1:2] offset:256
.LBB34_597:
	s_or_b32 exec_lo, exec_lo, s3
	s_delay_alu instid0(SALU_CYCLE_1)
	s_mov_b32 s3, exec_lo
	s_waitcnt lgkmcnt(0)
	s_barrier
	buffer_gl0_inv
	v_cmpx_gt_u32_e32 4, v0
	s_cbranch_execz .LBB34_603
; %bb.598:
	v_lshlrev_b32_e32 v1, 3, v3
	s_add_i32 s2, s2, 31
	s_delay_alu instid0(SALU_CYCLE_1) | instskip(SKIP_2) | instid1(VALU_DEP_1)
	s_lshr_b32 s2, s2, 5
	ds_load_b64 v[1:2], v1 offset:256
	v_and_b32_e32 v4, 3, v3
	v_cmp_ne_u32_e32 vcc_lo, 3, v4
	v_add_co_ci_u32_e32 v5, vcc_lo, 0, v3, vcc_lo
	s_delay_alu instid0(VALU_DEP_1) | instskip(SKIP_4) | instid1(VALU_DEP_1)
	v_lshlrev_b32_e32 v5, 2, v5
	s_waitcnt lgkmcnt(0)
	ds_bpermute_b32 v7, v5, v1
	ds_bpermute_b32 v6, v5, v2
	v_add_nc_u32_e32 v5, 1, v4
	v_cmp_gt_u32_e32 vcc_lo, s2, v5
	v_mov_b32_e32 v5, v1
	s_and_saveexec_b32 s4, vcc_lo
	s_cbranch_execz .LBB34_600
; %bb.599:
	s_waitcnt lgkmcnt(1)
	v_add_co_u32 v5, vcc_lo, v1, v7
	v_add_co_ci_u32_e32 v2, vcc_lo, 0, v2, vcc_lo
	s_delay_alu instid0(VALU_DEP_2) | instskip(SKIP_1) | instid1(VALU_DEP_2)
	v_add_co_u32 v1, vcc_lo, 0, v5
	s_waitcnt lgkmcnt(0)
	v_add_co_ci_u32_e32 v2, vcc_lo, v6, v2, vcc_lo
.LBB34_600:
	s_or_b32 exec_lo, exec_lo, s4
	v_cmp_gt_u32_e32 vcc_lo, 2, v4
	v_add_nc_u32_e32 v4, 2, v4
	s_waitcnt lgkmcnt(0)
	v_cndmask_b32_e64 v6, 0, 1, vcc_lo
	s_delay_alu instid0(VALU_DEP_2) | instskip(NEXT) | instid1(VALU_DEP_2)
	v_cmp_gt_u32_e32 vcc_lo, s2, v4
	v_lshlrev_b32_e32 v6, 1, v6
	s_delay_alu instid0(VALU_DEP_1)
	v_add_lshl_u32 v3, v6, v3, 2
	ds_bpermute_b32 v5, v3, v5
	ds_bpermute_b32 v3, v3, v2
	s_and_saveexec_b32 s2, vcc_lo
	s_cbranch_execz .LBB34_602
; %bb.601:
	s_waitcnt lgkmcnt(1)
	v_add_co_u32 v1, vcc_lo, v1, v5
	v_add_co_ci_u32_e32 v2, vcc_lo, 0, v2, vcc_lo
	s_delay_alu instid0(VALU_DEP_2) | instskip(SKIP_1) | instid1(VALU_DEP_2)
	v_add_co_u32 v1, vcc_lo, v1, 0
	s_waitcnt lgkmcnt(0)
	v_add_co_ci_u32_e32 v2, vcc_lo, v2, v3, vcc_lo
.LBB34_602:
	s_or_b32 exec_lo, exec_lo, s2
.LBB34_603:
	s_delay_alu instid0(SALU_CYCLE_1)
	s_or_b32 exec_lo, exec_lo, s3
.LBB34_604:
	v_cmp_eq_u32_e64 s2, 0, v0
.LBB34_605:
	s_branch .LBB34_758
.LBB34_606:
	s_cmp_gt_i32 s26, 3
	s_cbranch_scc0 .LBB34_616
; %bb.607:
	s_cmp_gt_i32 s26, 7
	s_cbranch_scc0 .LBB34_617
; %bb.608:
	s_cmp_eq_u32 s26, 8
                                        ; implicit-def: $vgpr1_vgpr2
	s_cbranch_scc0 .LBB34_618
; %bb.609:
	s_lshl_b32 s3, s18, 10
	s_lshr_b64 s[4:5], s[20:21], 10
	s_mov_b32 s19, 0
	s_add_u32 s8, s24, s3
	s_addc_u32 s9, s25, 0
	s_cmp_lg_u64 s[4:5], s[18:19]
	s_cbranch_scc0 .LBB34_619
; %bb.610:
	s_clause 0x1
	global_load_u8 v1, v0, s[8:9]
	global_load_u8 v2, v0, s[8:9] offset:128
	s_waitcnt lgkmcnt(0)
	s_clause 0x5
	global_load_u8 v3, v0, s[8:9] offset:256
	global_load_u8 v4, v0, s[8:9] offset:384
	;; [unrolled: 1-line block ×6, first 2 shown]
	s_waitcnt vmcnt(7)
	v_cmp_ne_u16_e32 vcc_lo, 0, v1
	v_cndmask_b32_e64 v1, 0, 1, vcc_lo
	s_waitcnt vmcnt(6)
	v_cmp_ne_u16_e32 vcc_lo, 0, v2
	v_cndmask_b32_e64 v2, 0, 1, vcc_lo
	s_waitcnt vmcnt(5)
	v_cmp_ne_u16_e32 vcc_lo, 0, v3
	s_delay_alu instid0(VALU_DEP_2)
	v_add_co_u32 v1, s2, v2, v1
	v_cndmask_b32_e64 v3, 0, 1, vcc_lo
	s_waitcnt vmcnt(4)
	v_cmp_ne_u16_e32 vcc_lo, 0, v4
	v_add_co_ci_u32_e64 v4, null, 0, 0, s2
	s_waitcnt vmcnt(3)
	v_cmp_ne_u16_e64 s2, 0, v5
	v_cndmask_b32_e64 v2, 0, 1, vcc_lo
	v_add_co_u32 v1, vcc_lo, v1, v3
	v_add_co_ci_u32_e32 v4, vcc_lo, 0, v4, vcc_lo
	s_delay_alu instid0(VALU_DEP_4) | instskip(NEXT) | instid1(VALU_DEP_3)
	v_cndmask_b32_e64 v3, 0, 1, s2
	v_add_co_u32 v1, vcc_lo, v1, v2
	s_waitcnt vmcnt(2)
	v_cmp_ne_u16_e64 s2, 0, v6
	v_add_co_ci_u32_e32 v4, vcc_lo, 0, v4, vcc_lo
	s_delay_alu instid0(VALU_DEP_3) | instskip(NEXT) | instid1(VALU_DEP_3)
	v_add_co_u32 v1, vcc_lo, v1, v3
	v_cndmask_b32_e64 v2, 0, 1, s2
	s_waitcnt vmcnt(1)
	v_cmp_ne_u16_e64 s2, 0, v7
	v_add_co_ci_u32_e32 v4, vcc_lo, 0, v4, vcc_lo
	s_delay_alu instid0(VALU_DEP_3) | instskip(NEXT) | instid1(VALU_DEP_3)
	v_add_co_u32 v1, vcc_lo, v1, v2
	v_cndmask_b32_e64 v3, 0, 1, s2
	;; [unrolled: 6-line block ×3, first 2 shown]
	s_delay_alu instid0(VALU_DEP_3) | instskip(SKIP_2) | instid1(VALU_DEP_3)
	v_add_co_ci_u32_e32 v3, vcc_lo, 0, v4, vcc_lo
	v_mov_b32_e32 v4, 0
	s_mov_b32 s2, exec_lo
	v_add_co_u32 v1, vcc_lo, v1, v2
	s_delay_alu instid0(VALU_DEP_3) | instskip(NEXT) | instid1(VALU_DEP_2)
	v_add_co_ci_u32_e32 v2, vcc_lo, 0, v3, vcc_lo
	v_mov_b32_dpp v3, v1 quad_perm:[1,0,3,2] row_mask:0xf bank_mask:0xf
	s_delay_alu instid0(VALU_DEP_1) | instskip(SKIP_1) | instid1(VALU_DEP_4)
	v_add_co_u32 v1, vcc_lo, v1, v3
	v_mov_b32_dpp v3, v4 quad_perm:[1,0,3,2] row_mask:0xf bank_mask:0xf
	v_add_co_ci_u32_e32 v2, vcc_lo, 0, v2, vcc_lo
	s_delay_alu instid0(VALU_DEP_3) | instskip(SKIP_1) | instid1(VALU_DEP_3)
	v_mov_b32_dpp v5, v1 quad_perm:[2,3,0,1] row_mask:0xf bank_mask:0xf
	v_add_co_u32 v1, vcc_lo, 0, v1
	v_add_co_ci_u32_e32 v2, vcc_lo, v3, v2, vcc_lo
	s_delay_alu instid0(VALU_DEP_2) | instskip(NEXT) | instid1(VALU_DEP_2)
	v_add_co_u32 v1, vcc_lo, v1, v5
	v_mov_b32_dpp v3, v2 quad_perm:[2,3,0,1] row_mask:0xf bank_mask:0xf
	v_add_co_ci_u32_e32 v2, vcc_lo, 0, v2, vcc_lo
	s_delay_alu instid0(VALU_DEP_3) | instskip(SKIP_1) | instid1(VALU_DEP_3)
	v_mov_b32_dpp v5, v1 row_ror:4 row_mask:0xf bank_mask:0xf
	v_add_co_u32 v1, vcc_lo, v1, 0
	v_add_co_ci_u32_e32 v2, vcc_lo, v2, v3, vcc_lo
	s_delay_alu instid0(VALU_DEP_2) | instskip(NEXT) | instid1(VALU_DEP_2)
	v_add_co_u32 v1, vcc_lo, v1, v5
	v_mov_b32_dpp v3, v2 row_ror:4 row_mask:0xf bank_mask:0xf
	v_add_co_ci_u32_e32 v2, vcc_lo, 0, v2, vcc_lo
	s_delay_alu instid0(VALU_DEP_3) | instskip(SKIP_1) | instid1(VALU_DEP_3)
	v_mov_b32_dpp v5, v1 row_ror:8 row_mask:0xf bank_mask:0xf
	v_add_co_u32 v1, vcc_lo, v1, 0
	v_add_co_ci_u32_e32 v2, vcc_lo, v2, v3, vcc_lo
	s_delay_alu instid0(VALU_DEP_2) | instskip(NEXT) | instid1(VALU_DEP_2)
	v_add_co_u32 v1, vcc_lo, v1, v5
	v_mov_b32_dpp v3, v2 row_ror:8 row_mask:0xf bank_mask:0xf
	v_add_co_ci_u32_e32 v2, vcc_lo, 0, v2, vcc_lo
	ds_swizzle_b32 v5, v1 offset:swizzle(BROADCAST,32,15)
	v_add_co_u32 v1, vcc_lo, v1, 0
	v_add_co_ci_u32_e32 v2, vcc_lo, v2, v3, vcc_lo
	ds_swizzle_b32 v3, v2 offset:swizzle(BROADCAST,32,15)
	s_waitcnt lgkmcnt(1)
	v_add_co_u32 v1, vcc_lo, v1, v5
	v_add_co_ci_u32_e32 v2, vcc_lo, 0, v2, vcc_lo
	ds_bpermute_b32 v1, v4, v1 offset:124
	s_waitcnt lgkmcnt(1)
	v_add_nc_u32_e32 v2, v3, v2
	v_mbcnt_lo_u32_b32 v3, -1, 0
	ds_bpermute_b32 v2, v4, v2 offset:124
	v_cmpx_eq_u32_e32 0, v3
	s_cbranch_execz .LBB34_612
; %bb.611:
	v_lshrrev_b32_e32 v4, 2, v0
	s_delay_alu instid0(VALU_DEP_1)
	v_and_b32_e32 v4, 24, v4
	s_waitcnt lgkmcnt(0)
	ds_store_b64 v4, v[1:2] offset:224
.LBB34_612:
	s_or_b32 exec_lo, exec_lo, s2
	s_delay_alu instid0(SALU_CYCLE_1)
	s_mov_b32 s2, exec_lo
	s_waitcnt lgkmcnt(0)
	s_barrier
	buffer_gl0_inv
	v_cmpx_gt_u32_e32 32, v0
	s_cbranch_execz .LBB34_614
; %bb.613:
	v_lshl_or_b32 v1, v3, 3, 0xe0
	v_and_b32_e32 v4, 3, v3
	ds_load_b64 v[1:2], v1
	v_cmp_ne_u32_e32 vcc_lo, 3, v4
	v_add_co_ci_u32_e32 v5, vcc_lo, 0, v3, vcc_lo
	v_cmp_gt_u32_e32 vcc_lo, 2, v4
	s_delay_alu instid0(VALU_DEP_2) | instskip(SKIP_1) | instid1(VALU_DEP_1)
	v_lshlrev_b32_e32 v5, 2, v5
	v_cndmask_b32_e64 v4, 0, 1, vcc_lo
	v_lshlrev_b32_e32 v4, 1, v4
	s_waitcnt lgkmcnt(0)
	ds_bpermute_b32 v6, v5, v1
	ds_bpermute_b32 v5, v5, v2
	v_add_lshl_u32 v3, v4, v3, 2
	s_waitcnt lgkmcnt(1)
	v_add_co_u32 v1, vcc_lo, v1, v6
	v_add_co_ci_u32_e32 v2, vcc_lo, 0, v2, vcc_lo
	ds_bpermute_b32 v4, v3, v1
	v_add_co_u32 v1, vcc_lo, 0, v1
	s_waitcnt lgkmcnt(1)
	v_add_co_ci_u32_e32 v2, vcc_lo, v5, v2, vcc_lo
	ds_bpermute_b32 v3, v3, v2
	s_waitcnt lgkmcnt(1)
	v_add_co_u32 v1, vcc_lo, v1, v4
	v_add_co_ci_u32_e32 v2, vcc_lo, 0, v2, vcc_lo
	s_delay_alu instid0(VALU_DEP_2) | instskip(SKIP_1) | instid1(VALU_DEP_2)
	v_add_co_u32 v1, vcc_lo, v1, 0
	s_waitcnt lgkmcnt(0)
	v_add_co_ci_u32_e32 v2, vcc_lo, v2, v3, vcc_lo
.LBB34_614:
	s_or_b32 exec_lo, exec_lo, s2
.LBB34_615:
	v_cmp_eq_u32_e64 s2, 0, v0
	s_branch .LBB34_692
.LBB34_616:
                                        ; implicit-def: $vgpr1_vgpr2
	s_cbranch_execnz .LBB34_693
	s_branch .LBB34_758
.LBB34_617:
                                        ; implicit-def: $vgpr1_vgpr2
	s_cbranch_execnz .LBB34_655
	s_branch .LBB34_692
.LBB34_618:
	s_branch .LBB34_692
.LBB34_619:
                                        ; implicit-def: $vgpr1_vgpr2
	s_cbranch_execz .LBB34_615
; %bb.620:
	s_sub_i32 s10, s20, s3
	s_mov_b32 s2, exec_lo
                                        ; implicit-def: $vgpr1_vgpr2_vgpr3_vgpr4_vgpr5_vgpr6_vgpr7_vgpr8_vgpr9_vgpr10_vgpr11_vgpr12_vgpr13_vgpr14_vgpr15_vgpr16
	v_cmpx_gt_u32_e64 s10, v0
	s_cbranch_execz .LBB34_622
; %bb.621:
	global_load_u8 v1, v0, s[8:9]
	v_mov_b32_e32 v2, 0
	s_waitcnt vmcnt(0)
	v_cmp_ne_u16_e32 vcc_lo, 0, v1
	v_cndmask_b32_e64 v1, 0, 1, vcc_lo
.LBB34_622:
	s_or_b32 exec_lo, exec_lo, s2
	v_or_b32_e32 v17, 0x80, v0
	s_delay_alu instid0(VALU_DEP_1)
	v_cmp_gt_u32_e32 vcc_lo, s10, v17
	s_and_saveexec_b32 s3, vcc_lo
	s_cbranch_execz .LBB34_624
; %bb.623:
	s_waitcnt lgkmcnt(0)
	global_load_u8 v3, v0, s[8:9] offset:128
	v_mov_b32_e32 v4, 0
	s_waitcnt vmcnt(0)
	v_cmp_ne_u16_e64 s2, 0, v3
	s_delay_alu instid0(VALU_DEP_1)
	v_cndmask_b32_e64 v3, 0, 1, s2
.LBB34_624:
	s_or_b32 exec_lo, exec_lo, s3
	v_or_b32_e32 v17, 0x100, v0
	s_delay_alu instid0(VALU_DEP_1) | instskip(NEXT) | instid1(VALU_DEP_1)
	v_cmp_gt_u32_e64 s2, s10, v17
	s_and_saveexec_b32 s4, s2
	s_cbranch_execz .LBB34_626
; %bb.625:
	s_waitcnt lgkmcnt(1)
	global_load_u8 v5, v0, s[8:9] offset:256
	v_mov_b32_e32 v6, 0
	s_waitcnt vmcnt(0)
	v_cmp_ne_u16_e64 s3, 0, v5
	s_delay_alu instid0(VALU_DEP_1)
	v_cndmask_b32_e64 v5, 0, 1, s3
.LBB34_626:
	s_or_b32 exec_lo, exec_lo, s4
	v_or_b32_e32 v17, 0x180, v0
	s_delay_alu instid0(VALU_DEP_1) | instskip(NEXT) | instid1(VALU_DEP_1)
	v_cmp_gt_u32_e64 s3, s10, v17
	s_and_saveexec_b32 s5, s3
	s_cbranch_execz .LBB34_628
; %bb.627:
	global_load_u8 v7, v0, s[8:9] offset:384
	v_mov_b32_e32 v8, 0
	s_waitcnt vmcnt(0)
	v_cmp_ne_u16_e64 s4, 0, v7
	s_delay_alu instid0(VALU_DEP_1)
	v_cndmask_b32_e64 v7, 0, 1, s4
.LBB34_628:
	s_or_b32 exec_lo, exec_lo, s5
	v_or_b32_e32 v17, 0x200, v0
	s_delay_alu instid0(VALU_DEP_1) | instskip(NEXT) | instid1(VALU_DEP_1)
	v_cmp_gt_u32_e64 s4, s10, v17
	s_and_saveexec_b32 s6, s4
	s_cbranch_execz .LBB34_630
; %bb.629:
	global_load_u8 v9, v0, s[8:9] offset:512
	v_mov_b32_e32 v10, 0
	s_waitcnt vmcnt(0)
	v_cmp_ne_u16_e64 s5, 0, v9
	s_delay_alu instid0(VALU_DEP_1)
	v_cndmask_b32_e64 v9, 0, 1, s5
.LBB34_630:
	;; [unrolled: 14-line block ×5, first 2 shown]
	s_or_b32 exec_lo, exec_lo, s11
	s_waitcnt lgkmcnt(0)
	v_dual_cndmask_b32 v3, 0, v3 :: v_dual_cndmask_b32 v4, 0, v4
	v_cndmask_b32_e64 v5, 0, v5, s2
	v_cndmask_b32_e64 v6, 0, v6, s2
	s_min_u32 s2, s10, 0x80
	s_delay_alu instid0(VALU_DEP_3) | instskip(SKIP_2) | instid1(VALU_DEP_3)
	v_add_co_u32 v1, vcc_lo, v3, v1
	v_add_co_ci_u32_e32 v2, vcc_lo, v4, v2, vcc_lo
	v_cndmask_b32_e64 v3, 0, v7, s3
	v_add_co_u32 v1, vcc_lo, v1, v5
	s_delay_alu instid0(VALU_DEP_3) | instskip(SKIP_2) | instid1(VALU_DEP_4)
	v_add_co_ci_u32_e32 v2, vcc_lo, v2, v6, vcc_lo
	v_cndmask_b32_e64 v4, 0, v8, s3
	v_cndmask_b32_e64 v5, 0, v9, s4
	v_add_co_u32 v1, vcc_lo, v1, v3
	v_cndmask_b32_e64 v3, 0, v10, s4
	s_delay_alu instid0(VALU_DEP_4) | instskip(SKIP_1) | instid1(VALU_DEP_4)
	v_add_co_ci_u32_e32 v2, vcc_lo, v2, v4, vcc_lo
	v_cndmask_b32_e64 v4, 0, v11, s5
	v_add_co_u32 v1, vcc_lo, v1, v5
	s_delay_alu instid0(VALU_DEP_3) | instskip(SKIP_2) | instid1(VALU_DEP_4)
	v_add_co_ci_u32_e32 v2, vcc_lo, v2, v3, vcc_lo
	v_cndmask_b32_e64 v5, 0, v12, s5
	v_mbcnt_lo_u32_b32 v3, -1, 0
	v_add_co_u32 v1, vcc_lo, v1, v4
	v_cndmask_b32_e64 v4, 0, v14, s6
	s_delay_alu instid0(VALU_DEP_4) | instskip(NEXT) | instid1(VALU_DEP_4)
	v_add_co_ci_u32_e32 v2, vcc_lo, v2, v5, vcc_lo
	v_cmp_ne_u32_e32 vcc_lo, 31, v3
	v_cndmask_b32_e64 v5, 0, v13, s6
	v_cndmask_b32_e64 v6, 0, v15, s7
	v_add_co_ci_u32_e32 v7, vcc_lo, 0, v3, vcc_lo
	s_delay_alu instid0(VALU_DEP_3) | instskip(SKIP_2) | instid1(VALU_DEP_3)
	v_add_co_u32 v1, vcc_lo, v1, v5
	v_add_co_ci_u32_e32 v2, vcc_lo, v2, v4, vcc_lo
	v_cndmask_b32_e64 v4, 0, v16, s7
	v_add_co_u32 v1, vcc_lo, v1, v6
	v_lshlrev_b32_e32 v5, 2, v7
	s_delay_alu instid0(VALU_DEP_3)
	v_add_co_ci_u32_e32 v2, vcc_lo, v2, v4, vcc_lo
	v_and_b32_e32 v4, 0x60, v0
	ds_bpermute_b32 v7, v5, v1
	ds_bpermute_b32 v6, v5, v2
	v_add_nc_u32_e32 v5, 1, v3
	v_sub_nc_u32_e64 v4, s2, v4 clamp
	s_delay_alu instid0(VALU_DEP_1)
	v_cmp_lt_u32_e32 vcc_lo, v5, v4
	v_mov_b32_e32 v5, v1
	s_and_saveexec_b32 s3, vcc_lo
	s_cbranch_execz .LBB34_638
; %bb.637:
	s_waitcnt lgkmcnt(1)
	v_add_co_u32 v5, vcc_lo, v1, v7
	v_add_co_ci_u32_e32 v2, vcc_lo, 0, v2, vcc_lo
	s_delay_alu instid0(VALU_DEP_2) | instskip(SKIP_1) | instid1(VALU_DEP_2)
	v_add_co_u32 v1, vcc_lo, v5, 0
	s_waitcnt lgkmcnt(0)
	v_add_co_ci_u32_e32 v2, vcc_lo, v2, v6, vcc_lo
.LBB34_638:
	s_or_b32 exec_lo, exec_lo, s3
	v_cmp_gt_u32_e32 vcc_lo, 30, v3
	v_add_nc_u32_e32 v8, 2, v3
	s_mov_b32 s3, exec_lo
	s_waitcnt lgkmcnt(0)
	v_cndmask_b32_e64 v6, 0, 1, vcc_lo
	s_delay_alu instid0(VALU_DEP_1) | instskip(NEXT) | instid1(VALU_DEP_1)
	v_lshlrev_b32_e32 v6, 1, v6
	v_add_lshl_u32 v6, v6, v3, 2
	ds_bpermute_b32 v7, v6, v5
	ds_bpermute_b32 v6, v6, v2
	v_cmpx_lt_u32_e64 v8, v4
	s_cbranch_execz .LBB34_640
; %bb.639:
	s_waitcnt lgkmcnt(1)
	v_add_co_u32 v5, vcc_lo, v1, v7
	v_add_co_ci_u32_e32 v2, vcc_lo, 0, v2, vcc_lo
	s_delay_alu instid0(VALU_DEP_2) | instskip(SKIP_1) | instid1(VALU_DEP_2)
	v_add_co_u32 v1, vcc_lo, 0, v5
	s_waitcnt lgkmcnt(0)
	v_add_co_ci_u32_e32 v2, vcc_lo, v6, v2, vcc_lo
.LBB34_640:
	s_or_b32 exec_lo, exec_lo, s3
	v_cmp_gt_u32_e32 vcc_lo, 28, v3
	v_add_nc_u32_e32 v8, 4, v3
	s_mov_b32 s3, exec_lo
	s_waitcnt lgkmcnt(0)
	v_cndmask_b32_e64 v6, 0, 1, vcc_lo
	s_delay_alu instid0(VALU_DEP_1) | instskip(NEXT) | instid1(VALU_DEP_1)
	v_lshlrev_b32_e32 v6, 2, v6
	v_add_lshl_u32 v6, v6, v3, 2
	ds_bpermute_b32 v7, v6, v5
	ds_bpermute_b32 v6, v6, v2
	v_cmpx_lt_u32_e64 v8, v4
	;; [unrolled: 22-line block ×3, first 2 shown]
	s_cbranch_execz .LBB34_644
; %bb.643:
	s_waitcnt lgkmcnt(1)
	v_add_co_u32 v5, vcc_lo, v1, v7
	v_add_co_ci_u32_e32 v2, vcc_lo, 0, v2, vcc_lo
	s_delay_alu instid0(VALU_DEP_2) | instskip(SKIP_1) | instid1(VALU_DEP_2)
	v_add_co_u32 v1, vcc_lo, 0, v5
	s_waitcnt lgkmcnt(0)
	v_add_co_ci_u32_e32 v2, vcc_lo, v6, v2, vcc_lo
.LBB34_644:
	s_or_b32 exec_lo, exec_lo, s3
	v_cmp_gt_u32_e32 vcc_lo, 16, v3
	s_mov_b32 s3, exec_lo
	s_waitcnt lgkmcnt(0)
	v_cndmask_b32_e64 v6, 0, 1, vcc_lo
	s_delay_alu instid0(VALU_DEP_1) | instskip(NEXT) | instid1(VALU_DEP_1)
	v_lshlrev_b32_e32 v6, 4, v6
	v_add_lshl_u32 v7, v6, v3, 2
	ds_bpermute_b32 v6, v7, v5
	ds_bpermute_b32 v5, v7, v2
	v_add_nc_u32_e32 v7, 16, v3
	s_delay_alu instid0(VALU_DEP_1)
	v_cmpx_lt_u32_e64 v7, v4
	s_cbranch_execz .LBB34_646
; %bb.645:
	s_waitcnt lgkmcnt(1)
	v_add_co_u32 v1, vcc_lo, v1, v6
	v_add_co_ci_u32_e32 v2, vcc_lo, 0, v2, vcc_lo
	s_delay_alu instid0(VALU_DEP_2) | instskip(SKIP_1) | instid1(VALU_DEP_2)
	v_add_co_u32 v1, vcc_lo, v1, 0
	s_waitcnt lgkmcnt(0)
	v_add_co_ci_u32_e32 v2, vcc_lo, v2, v5, vcc_lo
.LBB34_646:
	s_or_b32 exec_lo, exec_lo, s3
	s_delay_alu instid0(SALU_CYCLE_1)
	s_mov_b32 s3, exec_lo
	v_cmpx_eq_u32_e32 0, v3
	s_cbranch_execz .LBB34_648
; %bb.647:
	v_lshrrev_b32_e32 v4, 2, v0
	s_delay_alu instid0(VALU_DEP_1)
	v_and_b32_e32 v4, 24, v4
	ds_store_b64 v4, v[1:2] offset:256
.LBB34_648:
	s_or_b32 exec_lo, exec_lo, s3
	s_delay_alu instid0(SALU_CYCLE_1)
	s_mov_b32 s3, exec_lo
	s_waitcnt lgkmcnt(0)
	s_barrier
	buffer_gl0_inv
	v_cmpx_gt_u32_e32 4, v0
	s_cbranch_execz .LBB34_654
; %bb.649:
	v_lshlrev_b32_e32 v1, 3, v3
	s_add_i32 s2, s2, 31
	s_delay_alu instid0(SALU_CYCLE_1) | instskip(SKIP_2) | instid1(VALU_DEP_1)
	s_lshr_b32 s2, s2, 5
	ds_load_b64 v[1:2], v1 offset:256
	v_and_b32_e32 v4, 3, v3
	v_cmp_ne_u32_e32 vcc_lo, 3, v4
	v_add_co_ci_u32_e32 v5, vcc_lo, 0, v3, vcc_lo
	s_delay_alu instid0(VALU_DEP_1) | instskip(SKIP_4) | instid1(VALU_DEP_1)
	v_lshlrev_b32_e32 v5, 2, v5
	s_waitcnt lgkmcnt(0)
	ds_bpermute_b32 v7, v5, v1
	ds_bpermute_b32 v6, v5, v2
	v_add_nc_u32_e32 v5, 1, v4
	v_cmp_gt_u32_e32 vcc_lo, s2, v5
	v_mov_b32_e32 v5, v1
	s_and_saveexec_b32 s4, vcc_lo
	s_cbranch_execz .LBB34_651
; %bb.650:
	s_waitcnt lgkmcnt(1)
	v_add_co_u32 v5, vcc_lo, v1, v7
	v_add_co_ci_u32_e32 v2, vcc_lo, 0, v2, vcc_lo
	s_delay_alu instid0(VALU_DEP_2) | instskip(SKIP_1) | instid1(VALU_DEP_2)
	v_add_co_u32 v1, vcc_lo, 0, v5
	s_waitcnt lgkmcnt(0)
	v_add_co_ci_u32_e32 v2, vcc_lo, v6, v2, vcc_lo
.LBB34_651:
	s_or_b32 exec_lo, exec_lo, s4
	v_cmp_gt_u32_e32 vcc_lo, 2, v4
	v_add_nc_u32_e32 v4, 2, v4
	s_waitcnt lgkmcnt(0)
	v_cndmask_b32_e64 v6, 0, 1, vcc_lo
	s_delay_alu instid0(VALU_DEP_2) | instskip(NEXT) | instid1(VALU_DEP_2)
	v_cmp_gt_u32_e32 vcc_lo, s2, v4
	v_lshlrev_b32_e32 v6, 1, v6
	s_delay_alu instid0(VALU_DEP_1)
	v_add_lshl_u32 v3, v6, v3, 2
	ds_bpermute_b32 v5, v3, v5
	ds_bpermute_b32 v3, v3, v2
	s_and_saveexec_b32 s2, vcc_lo
	s_cbranch_execz .LBB34_653
; %bb.652:
	s_waitcnt lgkmcnt(1)
	v_add_co_u32 v1, vcc_lo, v1, v5
	v_add_co_ci_u32_e32 v2, vcc_lo, 0, v2, vcc_lo
	s_delay_alu instid0(VALU_DEP_2) | instskip(SKIP_1) | instid1(VALU_DEP_2)
	v_add_co_u32 v1, vcc_lo, v1, 0
	s_waitcnt lgkmcnt(0)
	v_add_co_ci_u32_e32 v2, vcc_lo, v2, v3, vcc_lo
.LBB34_653:
	s_or_b32 exec_lo, exec_lo, s2
.LBB34_654:
	s_delay_alu instid0(SALU_CYCLE_1)
	s_or_b32 exec_lo, exec_lo, s3
	v_cmp_eq_u32_e64 s2, 0, v0
	s_branch .LBB34_692
.LBB34_655:
	s_cmp_eq_u32 s26, 4
                                        ; implicit-def: $vgpr1_vgpr2
	s_cbranch_scc0 .LBB34_692
; %bb.656:
	s_lshl_b32 s2, s18, 9
	s_lshr_b64 s[6:7], s[20:21], 9
	s_mov_b32 s19, 0
	s_add_u32 s4, s24, s2
	s_addc_u32 s5, s25, 0
	s_cmp_lg_u64 s[6:7], s[18:19]
	s_cbranch_scc0 .LBB34_662
; %bb.657:
	s_clause 0x1
	global_load_u8 v1, v0, s[4:5]
	global_load_u8 v2, v0, s[4:5] offset:128
	s_waitcnt lgkmcnt(0)
	s_clause 0x1
	global_load_u8 v3, v0, s[4:5] offset:256
	global_load_u8 v4, v0, s[4:5] offset:384
	s_waitcnt vmcnt(3)
	v_cmp_ne_u16_e32 vcc_lo, 0, v1
	v_cndmask_b32_e64 v1, 0, 1, vcc_lo
	s_waitcnt vmcnt(2)
	v_cmp_ne_u16_e32 vcc_lo, 0, v2
	v_cndmask_b32_e64 v2, 0, 1, vcc_lo
	s_waitcnt vmcnt(1)
	v_cmp_ne_u16_e32 vcc_lo, 0, v3
	s_delay_alu instid0(VALU_DEP_2)
	v_add_co_u32 v1, s3, v2, v1
	v_cndmask_b32_e64 v3, 0, 1, vcc_lo
	s_waitcnt vmcnt(0)
	v_cmp_ne_u16_e32 vcc_lo, 0, v4
	v_add_co_ci_u32_e64 v4, null, 0, 0, s3
	s_mov_b32 s3, exec_lo
	v_cndmask_b32_e64 v2, 0, 1, vcc_lo
	v_add_co_u32 v1, vcc_lo, v1, v3
	s_delay_alu instid0(VALU_DEP_3) | instskip(SKIP_1) | instid1(VALU_DEP_3)
	v_add_co_ci_u32_e32 v3, vcc_lo, 0, v4, vcc_lo
	v_mov_b32_e32 v4, 0
	v_add_co_u32 v1, vcc_lo, v1, v2
	s_delay_alu instid0(VALU_DEP_3) | instskip(NEXT) | instid1(VALU_DEP_2)
	v_add_co_ci_u32_e32 v2, vcc_lo, 0, v3, vcc_lo
	v_mov_b32_dpp v3, v1 quad_perm:[1,0,3,2] row_mask:0xf bank_mask:0xf
	s_delay_alu instid0(VALU_DEP_1) | instskip(SKIP_1) | instid1(VALU_DEP_4)
	v_add_co_u32 v1, vcc_lo, v1, v3
	v_mov_b32_dpp v3, v4 quad_perm:[1,0,3,2] row_mask:0xf bank_mask:0xf
	v_add_co_ci_u32_e32 v2, vcc_lo, 0, v2, vcc_lo
	s_delay_alu instid0(VALU_DEP_3) | instskip(SKIP_1) | instid1(VALU_DEP_3)
	v_mov_b32_dpp v5, v1 quad_perm:[2,3,0,1] row_mask:0xf bank_mask:0xf
	v_add_co_u32 v1, vcc_lo, 0, v1
	v_add_co_ci_u32_e32 v2, vcc_lo, v3, v2, vcc_lo
	s_delay_alu instid0(VALU_DEP_2) | instskip(NEXT) | instid1(VALU_DEP_2)
	v_add_co_u32 v1, vcc_lo, v1, v5
	v_mov_b32_dpp v3, v2 quad_perm:[2,3,0,1] row_mask:0xf bank_mask:0xf
	v_add_co_ci_u32_e32 v2, vcc_lo, 0, v2, vcc_lo
	s_delay_alu instid0(VALU_DEP_3) | instskip(SKIP_1) | instid1(VALU_DEP_3)
	v_mov_b32_dpp v5, v1 row_ror:4 row_mask:0xf bank_mask:0xf
	v_add_co_u32 v1, vcc_lo, v1, 0
	v_add_co_ci_u32_e32 v2, vcc_lo, v2, v3, vcc_lo
	s_delay_alu instid0(VALU_DEP_2) | instskip(NEXT) | instid1(VALU_DEP_2)
	v_add_co_u32 v1, vcc_lo, v1, v5
	v_mov_b32_dpp v3, v2 row_ror:4 row_mask:0xf bank_mask:0xf
	v_add_co_ci_u32_e32 v2, vcc_lo, 0, v2, vcc_lo
	s_delay_alu instid0(VALU_DEP_3) | instskip(SKIP_1) | instid1(VALU_DEP_3)
	v_mov_b32_dpp v5, v1 row_ror:8 row_mask:0xf bank_mask:0xf
	v_add_co_u32 v1, vcc_lo, v1, 0
	v_add_co_ci_u32_e32 v2, vcc_lo, v2, v3, vcc_lo
	s_delay_alu instid0(VALU_DEP_2) | instskip(NEXT) | instid1(VALU_DEP_2)
	v_add_co_u32 v1, vcc_lo, v1, v5
	v_mov_b32_dpp v3, v2 row_ror:8 row_mask:0xf bank_mask:0xf
	v_add_co_ci_u32_e32 v2, vcc_lo, 0, v2, vcc_lo
	ds_swizzle_b32 v5, v1 offset:swizzle(BROADCAST,32,15)
	v_add_co_u32 v1, vcc_lo, v1, 0
	v_add_co_ci_u32_e32 v2, vcc_lo, v2, v3, vcc_lo
	ds_swizzle_b32 v3, v2 offset:swizzle(BROADCAST,32,15)
	s_waitcnt lgkmcnt(1)
	v_add_co_u32 v1, vcc_lo, v1, v5
	v_add_co_ci_u32_e32 v2, vcc_lo, 0, v2, vcc_lo
	ds_bpermute_b32 v1, v4, v1 offset:124
	s_waitcnt lgkmcnt(1)
	v_add_nc_u32_e32 v2, v3, v2
	v_mbcnt_lo_u32_b32 v3, -1, 0
	ds_bpermute_b32 v2, v4, v2 offset:124
	v_cmpx_eq_u32_e32 0, v3
	s_cbranch_execz .LBB34_659
; %bb.658:
	v_lshrrev_b32_e32 v4, 2, v0
	s_delay_alu instid0(VALU_DEP_1)
	v_and_b32_e32 v4, 24, v4
	s_waitcnt lgkmcnt(0)
	ds_store_b64 v4, v[1:2] offset:160
.LBB34_659:
	s_or_b32 exec_lo, exec_lo, s3
	s_delay_alu instid0(SALU_CYCLE_1)
	s_mov_b32 s3, exec_lo
	s_waitcnt lgkmcnt(0)
	s_barrier
	buffer_gl0_inv
	v_cmpx_gt_u32_e32 32, v0
	s_cbranch_execz .LBB34_661
; %bb.660:
	v_and_b32_e32 v4, 3, v3
	s_delay_alu instid0(VALU_DEP_1) | instskip(SKIP_4) | instid1(VALU_DEP_2)
	v_lshlrev_b32_e32 v1, 3, v4
	v_cmp_ne_u32_e32 vcc_lo, 3, v4
	ds_load_b64 v[1:2], v1 offset:160
	v_add_co_ci_u32_e32 v5, vcc_lo, 0, v3, vcc_lo
	v_cmp_gt_u32_e32 vcc_lo, 2, v4
	v_lshlrev_b32_e32 v5, 2, v5
	v_cndmask_b32_e64 v4, 0, 1, vcc_lo
	s_delay_alu instid0(VALU_DEP_1) | instskip(NEXT) | instid1(VALU_DEP_1)
	v_lshlrev_b32_e32 v4, 1, v4
	v_add_lshl_u32 v3, v4, v3, 2
	s_waitcnt lgkmcnt(0)
	ds_bpermute_b32 v6, v5, v1
	ds_bpermute_b32 v5, v5, v2
	s_waitcnt lgkmcnt(1)
	v_add_co_u32 v1, vcc_lo, v1, v6
	v_add_co_ci_u32_e32 v2, vcc_lo, 0, v2, vcc_lo
	ds_bpermute_b32 v4, v3, v1
	v_add_co_u32 v1, vcc_lo, 0, v1
	s_waitcnt lgkmcnt(1)
	v_add_co_ci_u32_e32 v2, vcc_lo, v5, v2, vcc_lo
	ds_bpermute_b32 v3, v3, v2
	s_waitcnt lgkmcnt(1)
	v_add_co_u32 v1, vcc_lo, v1, v4
	v_add_co_ci_u32_e32 v2, vcc_lo, 0, v2, vcc_lo
	s_delay_alu instid0(VALU_DEP_2) | instskip(SKIP_1) | instid1(VALU_DEP_2)
	v_add_co_u32 v1, vcc_lo, v1, 0
	s_waitcnt lgkmcnt(0)
	v_add_co_ci_u32_e32 v2, vcc_lo, v2, v3, vcc_lo
.LBB34_661:
	s_or_b32 exec_lo, exec_lo, s3
	s_mov_b32 s3, 0
	s_branch .LBB34_663
.LBB34_662:
	s_mov_b32 s3, -1
                                        ; implicit-def: $vgpr1_vgpr2
.LBB34_663:
	s_delay_alu instid0(SALU_CYCLE_1)
	s_and_b32 vcc_lo, exec_lo, s3
	s_cbranch_vccz .LBB34_691
; %bb.664:
	s_sub_i32 s6, s20, s2
	s_mov_b32 s2, exec_lo
                                        ; implicit-def: $vgpr1_vgpr2_vgpr3_vgpr4_vgpr5_vgpr6_vgpr7_vgpr8
	v_cmpx_gt_u32_e64 s6, v0
	s_cbranch_execz .LBB34_666
; %bb.665:
	global_load_u8 v1, v0, s[4:5]
	v_mov_b32_e32 v2, 0
	s_waitcnt vmcnt(0)
	v_cmp_ne_u16_e32 vcc_lo, 0, v1
	v_cndmask_b32_e64 v1, 0, 1, vcc_lo
.LBB34_666:
	s_or_b32 exec_lo, exec_lo, s2
	v_or_b32_e32 v9, 0x80, v0
	s_delay_alu instid0(VALU_DEP_1)
	v_cmp_gt_u32_e32 vcc_lo, s6, v9
	s_and_saveexec_b32 s3, vcc_lo
	s_cbranch_execz .LBB34_668
; %bb.667:
	s_waitcnt lgkmcnt(0)
	global_load_u8 v3, v0, s[4:5] offset:128
	v_mov_b32_e32 v4, 0
	s_waitcnt vmcnt(0)
	v_cmp_ne_u16_e64 s2, 0, v3
	s_delay_alu instid0(VALU_DEP_1)
	v_cndmask_b32_e64 v3, 0, 1, s2
.LBB34_668:
	s_or_b32 exec_lo, exec_lo, s3
	v_or_b32_e32 v9, 0x100, v0
	s_delay_alu instid0(VALU_DEP_1) | instskip(NEXT) | instid1(VALU_DEP_1)
	v_cmp_gt_u32_e64 s2, s6, v9
	s_and_saveexec_b32 s7, s2
	s_cbranch_execz .LBB34_670
; %bb.669:
	s_waitcnt lgkmcnt(1)
	global_load_u8 v5, v0, s[4:5] offset:256
	v_mov_b32_e32 v6, 0
	s_waitcnt vmcnt(0)
	v_cmp_ne_u16_e64 s3, 0, v5
	s_delay_alu instid0(VALU_DEP_1)
	v_cndmask_b32_e64 v5, 0, 1, s3
.LBB34_670:
	s_or_b32 exec_lo, exec_lo, s7
	v_or_b32_e32 v9, 0x180, v0
	s_delay_alu instid0(VALU_DEP_1) | instskip(NEXT) | instid1(VALU_DEP_1)
	v_cmp_gt_u32_e64 s3, s6, v9
	s_and_saveexec_b32 s7, s3
	s_cbranch_execz .LBB34_672
; %bb.671:
	global_load_u8 v7, v0, s[4:5] offset:384
	v_mov_b32_e32 v8, 0
	s_waitcnt vmcnt(0)
	v_cmp_ne_u16_e64 s4, 0, v7
	s_delay_alu instid0(VALU_DEP_1)
	v_cndmask_b32_e64 v7, 0, 1, s4
.LBB34_672:
	s_or_b32 exec_lo, exec_lo, s7
	s_waitcnt lgkmcnt(0)
	v_dual_cndmask_b32 v9, 0, v3 :: v_dual_cndmask_b32 v4, 0, v4
	v_mbcnt_lo_u32_b32 v3, -1, 0
	v_cndmask_b32_e64 v5, 0, v5, s2
	s_delay_alu instid0(VALU_DEP_3) | instskip(NEXT) | instid1(VALU_DEP_4)
	v_add_co_u32 v1, vcc_lo, v9, v1
	v_add_co_ci_u32_e32 v2, vcc_lo, v4, v2, vcc_lo
	s_delay_alu instid0(VALU_DEP_4)
	v_cmp_ne_u32_e32 vcc_lo, 31, v3
	v_cndmask_b32_e64 v4, 0, v6, s2
	v_cndmask_b32_e64 v6, 0, v7, s3
	s_min_u32 s2, s6, 0x80
	v_add_co_ci_u32_e32 v7, vcc_lo, 0, v3, vcc_lo
	v_add_co_u32 v1, vcc_lo, v1, v5
	v_add_co_ci_u32_e32 v2, vcc_lo, v2, v4, vcc_lo
	v_cndmask_b32_e64 v4, 0, v8, s3
	s_delay_alu instid0(VALU_DEP_3) | instskip(SKIP_1) | instid1(VALU_DEP_3)
	v_add_co_u32 v1, vcc_lo, v1, v6
	v_lshlrev_b32_e32 v5, 2, v7
	v_add_co_ci_u32_e32 v2, vcc_lo, v2, v4, vcc_lo
	v_and_b32_e32 v4, 0x60, v0
	ds_bpermute_b32 v7, v5, v1
	ds_bpermute_b32 v6, v5, v2
	v_add_nc_u32_e32 v5, 1, v3
	v_sub_nc_u32_e64 v4, s2, v4 clamp
	s_delay_alu instid0(VALU_DEP_1)
	v_cmp_lt_u32_e32 vcc_lo, v5, v4
	v_mov_b32_e32 v5, v1
	s_and_saveexec_b32 s3, vcc_lo
	s_cbranch_execz .LBB34_674
; %bb.673:
	s_waitcnt lgkmcnt(1)
	v_add_co_u32 v5, vcc_lo, v1, v7
	v_add_co_ci_u32_e32 v2, vcc_lo, 0, v2, vcc_lo
	s_delay_alu instid0(VALU_DEP_2) | instskip(SKIP_1) | instid1(VALU_DEP_2)
	v_add_co_u32 v1, vcc_lo, v5, 0
	s_waitcnt lgkmcnt(0)
	v_add_co_ci_u32_e32 v2, vcc_lo, v2, v6, vcc_lo
.LBB34_674:
	s_or_b32 exec_lo, exec_lo, s3
	v_cmp_gt_u32_e32 vcc_lo, 30, v3
	v_add_nc_u32_e32 v8, 2, v3
	s_mov_b32 s3, exec_lo
	s_waitcnt lgkmcnt(0)
	v_cndmask_b32_e64 v6, 0, 1, vcc_lo
	s_delay_alu instid0(VALU_DEP_1) | instskip(NEXT) | instid1(VALU_DEP_1)
	v_lshlrev_b32_e32 v6, 1, v6
	v_add_lshl_u32 v6, v6, v3, 2
	ds_bpermute_b32 v7, v6, v5
	ds_bpermute_b32 v6, v6, v2
	v_cmpx_lt_u32_e64 v8, v4
	s_cbranch_execz .LBB34_676
; %bb.675:
	s_waitcnt lgkmcnt(1)
	v_add_co_u32 v5, vcc_lo, v1, v7
	v_add_co_ci_u32_e32 v2, vcc_lo, 0, v2, vcc_lo
	s_delay_alu instid0(VALU_DEP_2) | instskip(SKIP_1) | instid1(VALU_DEP_2)
	v_add_co_u32 v1, vcc_lo, 0, v5
	s_waitcnt lgkmcnt(0)
	v_add_co_ci_u32_e32 v2, vcc_lo, v6, v2, vcc_lo
.LBB34_676:
	s_or_b32 exec_lo, exec_lo, s3
	v_cmp_gt_u32_e32 vcc_lo, 28, v3
	v_add_nc_u32_e32 v8, 4, v3
	s_mov_b32 s3, exec_lo
	s_waitcnt lgkmcnt(0)
	v_cndmask_b32_e64 v6, 0, 1, vcc_lo
	s_delay_alu instid0(VALU_DEP_1) | instskip(NEXT) | instid1(VALU_DEP_1)
	v_lshlrev_b32_e32 v6, 2, v6
	v_add_lshl_u32 v6, v6, v3, 2
	ds_bpermute_b32 v7, v6, v5
	ds_bpermute_b32 v6, v6, v2
	v_cmpx_lt_u32_e64 v8, v4
	s_cbranch_execz .LBB34_678
; %bb.677:
	s_waitcnt lgkmcnt(1)
	v_add_co_u32 v5, vcc_lo, v1, v7
	v_add_co_ci_u32_e32 v2, vcc_lo, 0, v2, vcc_lo
	s_delay_alu instid0(VALU_DEP_2) | instskip(SKIP_1) | instid1(VALU_DEP_2)
	v_add_co_u32 v1, vcc_lo, 0, v5
	s_waitcnt lgkmcnt(0)
	v_add_co_ci_u32_e32 v2, vcc_lo, v6, v2, vcc_lo
.LBB34_678:
	s_or_b32 exec_lo, exec_lo, s3
	v_cmp_gt_u32_e32 vcc_lo, 24, v3
	v_add_nc_u32_e32 v8, 8, v3
	s_mov_b32 s3, exec_lo
	s_waitcnt lgkmcnt(0)
	v_cndmask_b32_e64 v6, 0, 1, vcc_lo
	s_delay_alu instid0(VALU_DEP_1) | instskip(NEXT) | instid1(VALU_DEP_1)
	v_lshlrev_b32_e32 v6, 3, v6
	v_add_lshl_u32 v6, v6, v3, 2
	ds_bpermute_b32 v7, v6, v5
	ds_bpermute_b32 v6, v6, v2
	v_cmpx_lt_u32_e64 v8, v4
	s_cbranch_execz .LBB34_680
; %bb.679:
	s_waitcnt lgkmcnt(1)
	v_add_co_u32 v5, vcc_lo, v1, v7
	v_add_co_ci_u32_e32 v2, vcc_lo, 0, v2, vcc_lo
	s_delay_alu instid0(VALU_DEP_2) | instskip(SKIP_1) | instid1(VALU_DEP_2)
	v_add_co_u32 v1, vcc_lo, 0, v5
	s_waitcnt lgkmcnt(0)
	v_add_co_ci_u32_e32 v2, vcc_lo, v6, v2, vcc_lo
.LBB34_680:
	s_or_b32 exec_lo, exec_lo, s3
	v_cmp_gt_u32_e32 vcc_lo, 16, v3
	s_mov_b32 s3, exec_lo
	s_waitcnt lgkmcnt(0)
	v_cndmask_b32_e64 v6, 0, 1, vcc_lo
	s_delay_alu instid0(VALU_DEP_1) | instskip(NEXT) | instid1(VALU_DEP_1)
	v_lshlrev_b32_e32 v6, 4, v6
	v_add_lshl_u32 v7, v6, v3, 2
	ds_bpermute_b32 v6, v7, v5
	ds_bpermute_b32 v5, v7, v2
	v_add_nc_u32_e32 v7, 16, v3
	s_delay_alu instid0(VALU_DEP_1)
	v_cmpx_lt_u32_e64 v7, v4
	s_cbranch_execz .LBB34_682
; %bb.681:
	s_waitcnt lgkmcnt(1)
	v_add_co_u32 v1, vcc_lo, v1, v6
	v_add_co_ci_u32_e32 v2, vcc_lo, 0, v2, vcc_lo
	s_delay_alu instid0(VALU_DEP_2) | instskip(SKIP_1) | instid1(VALU_DEP_2)
	v_add_co_u32 v1, vcc_lo, v1, 0
	s_waitcnt lgkmcnt(0)
	v_add_co_ci_u32_e32 v2, vcc_lo, v2, v5, vcc_lo
.LBB34_682:
	s_or_b32 exec_lo, exec_lo, s3
	s_delay_alu instid0(SALU_CYCLE_1)
	s_mov_b32 s3, exec_lo
	v_cmpx_eq_u32_e32 0, v3
	s_cbranch_execz .LBB34_684
; %bb.683:
	v_lshrrev_b32_e32 v4, 2, v0
	s_delay_alu instid0(VALU_DEP_1)
	v_and_b32_e32 v4, 24, v4
	ds_store_b64 v4, v[1:2] offset:256
.LBB34_684:
	s_or_b32 exec_lo, exec_lo, s3
	s_delay_alu instid0(SALU_CYCLE_1)
	s_mov_b32 s3, exec_lo
	s_waitcnt lgkmcnt(0)
	s_barrier
	buffer_gl0_inv
	v_cmpx_gt_u32_e32 4, v0
	s_cbranch_execz .LBB34_690
; %bb.685:
	v_lshlrev_b32_e32 v1, 3, v3
	s_add_i32 s2, s2, 31
	s_delay_alu instid0(SALU_CYCLE_1) | instskip(SKIP_2) | instid1(VALU_DEP_1)
	s_lshr_b32 s2, s2, 5
	ds_load_b64 v[1:2], v1 offset:256
	v_and_b32_e32 v4, 3, v3
	v_cmp_ne_u32_e32 vcc_lo, 3, v4
	v_add_co_ci_u32_e32 v5, vcc_lo, 0, v3, vcc_lo
	s_delay_alu instid0(VALU_DEP_1) | instskip(SKIP_4) | instid1(VALU_DEP_1)
	v_lshlrev_b32_e32 v5, 2, v5
	s_waitcnt lgkmcnt(0)
	ds_bpermute_b32 v7, v5, v1
	ds_bpermute_b32 v6, v5, v2
	v_add_nc_u32_e32 v5, 1, v4
	v_cmp_gt_u32_e32 vcc_lo, s2, v5
	v_mov_b32_e32 v5, v1
	s_and_saveexec_b32 s4, vcc_lo
	s_cbranch_execz .LBB34_687
; %bb.686:
	s_waitcnt lgkmcnt(1)
	v_add_co_u32 v5, vcc_lo, v1, v7
	v_add_co_ci_u32_e32 v2, vcc_lo, 0, v2, vcc_lo
	s_delay_alu instid0(VALU_DEP_2) | instskip(SKIP_1) | instid1(VALU_DEP_2)
	v_add_co_u32 v1, vcc_lo, 0, v5
	s_waitcnt lgkmcnt(0)
	v_add_co_ci_u32_e32 v2, vcc_lo, v6, v2, vcc_lo
.LBB34_687:
	s_or_b32 exec_lo, exec_lo, s4
	v_cmp_gt_u32_e32 vcc_lo, 2, v4
	v_add_nc_u32_e32 v4, 2, v4
	s_waitcnt lgkmcnt(0)
	v_cndmask_b32_e64 v6, 0, 1, vcc_lo
	s_delay_alu instid0(VALU_DEP_2) | instskip(NEXT) | instid1(VALU_DEP_2)
	v_cmp_gt_u32_e32 vcc_lo, s2, v4
	v_lshlrev_b32_e32 v6, 1, v6
	s_delay_alu instid0(VALU_DEP_1)
	v_add_lshl_u32 v3, v6, v3, 2
	ds_bpermute_b32 v5, v3, v5
	ds_bpermute_b32 v3, v3, v2
	s_and_saveexec_b32 s2, vcc_lo
	s_cbranch_execz .LBB34_689
; %bb.688:
	s_waitcnt lgkmcnt(1)
	v_add_co_u32 v1, vcc_lo, v1, v5
	v_add_co_ci_u32_e32 v2, vcc_lo, 0, v2, vcc_lo
	s_delay_alu instid0(VALU_DEP_2) | instskip(SKIP_1) | instid1(VALU_DEP_2)
	v_add_co_u32 v1, vcc_lo, v1, 0
	s_waitcnt lgkmcnt(0)
	v_add_co_ci_u32_e32 v2, vcc_lo, v2, v3, vcc_lo
.LBB34_689:
	s_or_b32 exec_lo, exec_lo, s2
.LBB34_690:
	s_delay_alu instid0(SALU_CYCLE_1)
	s_or_b32 exec_lo, exec_lo, s3
.LBB34_691:
	v_cmp_eq_u32_e64 s2, 0, v0
.LBB34_692:
	s_branch .LBB34_758
.LBB34_693:
	s_cmp_gt_i32 s26, 1
	s_cbranch_scc0 .LBB34_702
; %bb.694:
	s_cmp_eq_u32 s26, 2
                                        ; implicit-def: $vgpr1_vgpr2
	s_cbranch_scc0 .LBB34_703
; %bb.695:
	s_lshl_b32 s4, s18, 8
	s_lshr_b64 s[6:7], s[20:21], 8
	s_mov_b32 s19, 0
	s_add_u32 s2, s24, s4
	s_addc_u32 s3, s25, 0
	s_cmp_lg_u64 s[6:7], s[18:19]
	s_cbranch_scc0 .LBB34_704
; %bb.696:
	s_clause 0x1
	global_load_u8 v1, v0, s[2:3]
	global_load_u8 v2, v0, s[2:3] offset:128
	v_mov_b32_e32 v4, 0
	s_waitcnt vmcnt(1)
	v_cmp_ne_u16_e32 vcc_lo, 0, v1
	v_cndmask_b32_e64 v1, 0, 1, vcc_lo
	s_waitcnt vmcnt(0)
	v_cmp_ne_u16_e32 vcc_lo, 0, v2
	v_cndmask_b32_e64 v2, 0, 1, vcc_lo
	s_delay_alu instid0(VALU_DEP_1) | instskip(NEXT) | instid1(VALU_DEP_1)
	v_add_co_u32 v1, s5, v2, v1
	v_add_co_ci_u32_e64 v2, null, 0, 0, s5
	s_mov_b32 s5, exec_lo
	s_waitcnt lgkmcnt(0)
	s_delay_alu instid0(VALU_DEP_2) | instskip(NEXT) | instid1(VALU_DEP_1)
	v_mov_b32_dpp v3, v1 quad_perm:[1,0,3,2] row_mask:0xf bank_mask:0xf
	v_add_co_u32 v1, vcc_lo, v1, v3
	v_mov_b32_dpp v3, v4 quad_perm:[1,0,3,2] row_mask:0xf bank_mask:0xf
	v_add_co_ci_u32_e32 v2, vcc_lo, 0, v2, vcc_lo
	s_delay_alu instid0(VALU_DEP_3) | instskip(SKIP_1) | instid1(VALU_DEP_3)
	v_mov_b32_dpp v5, v1 quad_perm:[2,3,0,1] row_mask:0xf bank_mask:0xf
	v_add_co_u32 v1, vcc_lo, 0, v1
	v_add_co_ci_u32_e32 v2, vcc_lo, v3, v2, vcc_lo
	s_delay_alu instid0(VALU_DEP_2) | instskip(NEXT) | instid1(VALU_DEP_2)
	v_add_co_u32 v1, vcc_lo, v1, v5
	v_mov_b32_dpp v3, v2 quad_perm:[2,3,0,1] row_mask:0xf bank_mask:0xf
	v_add_co_ci_u32_e32 v2, vcc_lo, 0, v2, vcc_lo
	s_delay_alu instid0(VALU_DEP_3) | instskip(SKIP_1) | instid1(VALU_DEP_3)
	v_mov_b32_dpp v5, v1 row_ror:4 row_mask:0xf bank_mask:0xf
	v_add_co_u32 v1, vcc_lo, v1, 0
	v_add_co_ci_u32_e32 v2, vcc_lo, v2, v3, vcc_lo
	s_delay_alu instid0(VALU_DEP_2) | instskip(NEXT) | instid1(VALU_DEP_2)
	v_add_co_u32 v1, vcc_lo, v1, v5
	v_mov_b32_dpp v3, v2 row_ror:4 row_mask:0xf bank_mask:0xf
	v_add_co_ci_u32_e32 v2, vcc_lo, 0, v2, vcc_lo
	s_delay_alu instid0(VALU_DEP_3) | instskip(SKIP_1) | instid1(VALU_DEP_3)
	v_mov_b32_dpp v5, v1 row_ror:8 row_mask:0xf bank_mask:0xf
	v_add_co_u32 v1, vcc_lo, v1, 0
	v_add_co_ci_u32_e32 v2, vcc_lo, v2, v3, vcc_lo
	s_delay_alu instid0(VALU_DEP_2) | instskip(NEXT) | instid1(VALU_DEP_2)
	v_add_co_u32 v1, vcc_lo, v1, v5
	v_mov_b32_dpp v3, v2 row_ror:8 row_mask:0xf bank_mask:0xf
	v_add_co_ci_u32_e32 v2, vcc_lo, 0, v2, vcc_lo
	ds_swizzle_b32 v5, v1 offset:swizzle(BROADCAST,32,15)
	v_add_co_u32 v1, vcc_lo, v1, 0
	v_add_co_ci_u32_e32 v2, vcc_lo, v2, v3, vcc_lo
	ds_swizzle_b32 v3, v2 offset:swizzle(BROADCAST,32,15)
	s_waitcnt lgkmcnt(1)
	v_add_co_u32 v1, vcc_lo, v1, v5
	v_add_co_ci_u32_e32 v2, vcc_lo, 0, v2, vcc_lo
	ds_bpermute_b32 v1, v4, v1 offset:124
	s_waitcnt lgkmcnt(1)
	v_add_nc_u32_e32 v2, v3, v2
	v_mbcnt_lo_u32_b32 v3, -1, 0
	ds_bpermute_b32 v2, v4, v2 offset:124
	v_cmpx_eq_u32_e32 0, v3
	s_cbranch_execz .LBB34_698
; %bb.697:
	v_lshrrev_b32_e32 v4, 2, v0
	s_delay_alu instid0(VALU_DEP_1)
	v_and_b32_e32 v4, 24, v4
	s_waitcnt lgkmcnt(0)
	ds_store_b64 v4, v[1:2] offset:96
.LBB34_698:
	s_or_b32 exec_lo, exec_lo, s5
	s_delay_alu instid0(SALU_CYCLE_1)
	s_mov_b32 s5, exec_lo
	s_waitcnt lgkmcnt(0)
	s_barrier
	buffer_gl0_inv
	v_cmpx_gt_u32_e32 32, v0
	s_cbranch_execz .LBB34_700
; %bb.699:
	v_and_b32_e32 v4, 3, v3
	s_delay_alu instid0(VALU_DEP_1) | instskip(SKIP_4) | instid1(VALU_DEP_2)
	v_lshlrev_b32_e32 v1, 3, v4
	v_cmp_ne_u32_e32 vcc_lo, 3, v4
	ds_load_b64 v[1:2], v1 offset:96
	v_add_co_ci_u32_e32 v5, vcc_lo, 0, v3, vcc_lo
	v_cmp_gt_u32_e32 vcc_lo, 2, v4
	v_lshlrev_b32_e32 v5, 2, v5
	v_cndmask_b32_e64 v4, 0, 1, vcc_lo
	s_delay_alu instid0(VALU_DEP_1) | instskip(NEXT) | instid1(VALU_DEP_1)
	v_lshlrev_b32_e32 v4, 1, v4
	v_add_lshl_u32 v3, v4, v3, 2
	s_waitcnt lgkmcnt(0)
	ds_bpermute_b32 v6, v5, v1
	ds_bpermute_b32 v5, v5, v2
	s_waitcnt lgkmcnt(1)
	v_add_co_u32 v1, vcc_lo, v1, v6
	v_add_co_ci_u32_e32 v2, vcc_lo, 0, v2, vcc_lo
	ds_bpermute_b32 v4, v3, v1
	v_add_co_u32 v1, vcc_lo, 0, v1
	s_waitcnt lgkmcnt(1)
	v_add_co_ci_u32_e32 v2, vcc_lo, v5, v2, vcc_lo
	ds_bpermute_b32 v3, v3, v2
	s_waitcnt lgkmcnt(1)
	v_add_co_u32 v1, vcc_lo, v1, v4
	v_add_co_ci_u32_e32 v2, vcc_lo, 0, v2, vcc_lo
	s_delay_alu instid0(VALU_DEP_2) | instskip(SKIP_1) | instid1(VALU_DEP_2)
	v_add_co_u32 v1, vcc_lo, v1, 0
	s_waitcnt lgkmcnt(0)
	v_add_co_ci_u32_e32 v2, vcc_lo, v2, v3, vcc_lo
.LBB34_700:
	s_or_b32 exec_lo, exec_lo, s5
.LBB34_701:
	v_cmp_eq_u32_e64 s2, 0, v0
	s_branch .LBB34_758
.LBB34_702:
                                        ; implicit-def: $vgpr1_vgpr2
	s_cbranch_execnz .LBB34_728
	s_branch .LBB34_758
.LBB34_703:
	s_branch .LBB34_758
.LBB34_704:
                                        ; implicit-def: $vgpr1_vgpr2
	s_cbranch_execz .LBB34_701
; %bb.705:
	s_sub_i32 s4, s20, s4
	s_mov_b32 s5, exec_lo
                                        ; implicit-def: $vgpr1_vgpr2_vgpr3_vgpr4
	v_cmpx_gt_u32_e64 s4, v0
	s_cbranch_execz .LBB34_707
; %bb.706:
	global_load_u8 v1, v0, s[2:3]
	v_mov_b32_e32 v2, 0
	s_waitcnt vmcnt(0)
	v_cmp_ne_u16_e32 vcc_lo, 0, v1
	v_cndmask_b32_e64 v1, 0, 1, vcc_lo
.LBB34_707:
	s_or_b32 exec_lo, exec_lo, s5
	s_waitcnt lgkmcnt(1)
	v_or_b32_e32 v5, 0x80, v0
	s_delay_alu instid0(VALU_DEP_1)
	v_cmp_gt_u32_e32 vcc_lo, s4, v5
	s_and_saveexec_b32 s5, vcc_lo
	s_cbranch_execz .LBB34_709
; %bb.708:
	s_waitcnt lgkmcnt(0)
	global_load_u8 v3, v0, s[2:3] offset:128
	v_mov_b32_e32 v4, 0
	s_waitcnt vmcnt(0)
	v_cmp_ne_u16_e64 s2, 0, v3
	s_delay_alu instid0(VALU_DEP_1)
	v_cndmask_b32_e64 v3, 0, 1, s2
.LBB34_709:
	s_or_b32 exec_lo, exec_lo, s5
	v_mbcnt_lo_u32_b32 v5, -1, 0
	s_waitcnt lgkmcnt(0)
	s_delay_alu instid0(VALU_DEP_2) | instskip(NEXT) | instid1(VALU_DEP_2)
	v_dual_cndmask_b32 v3, 0, v3 :: v_dual_cndmask_b32 v4, 0, v4
	v_cmp_ne_u32_e64 s2, 31, v5
	s_delay_alu instid0(VALU_DEP_2) | instskip(NEXT) | instid1(VALU_DEP_3)
	v_add_co_u32 v1, vcc_lo, v3, v1
	v_add_co_ci_u32_e32 v2, vcc_lo, v4, v2, vcc_lo
	s_delay_alu instid0(VALU_DEP_3) | instskip(SKIP_3) | instid1(VALU_DEP_3)
	v_add_co_ci_u32_e64 v6, s2, 0, v5, s2
	v_and_b32_e32 v3, 0x60, v0
	s_min_u32 s2, s4, 0x80
	v_add_nc_u32_e32 v4, 1, v5
	v_lshlrev_b32_e32 v6, 2, v6
	s_delay_alu instid0(VALU_DEP_3)
	v_sub_nc_u32_e64 v3, s2, v3 clamp
	ds_bpermute_b32 v7, v6, v1
	ds_bpermute_b32 v6, v6, v2
	v_cmp_lt_u32_e32 vcc_lo, v4, v3
	v_mov_b32_e32 v4, v1
	s_and_saveexec_b32 s3, vcc_lo
	s_cbranch_execz .LBB34_711
; %bb.710:
	s_waitcnt lgkmcnt(1)
	v_add_co_u32 v4, vcc_lo, v1, v7
	v_add_co_ci_u32_e32 v2, vcc_lo, 0, v2, vcc_lo
	s_delay_alu instid0(VALU_DEP_2) | instskip(SKIP_1) | instid1(VALU_DEP_2)
	v_add_co_u32 v1, vcc_lo, 0, v4
	s_waitcnt lgkmcnt(0)
	v_add_co_ci_u32_e32 v2, vcc_lo, v6, v2, vcc_lo
.LBB34_711:
	s_or_b32 exec_lo, exec_lo, s3
	v_cmp_gt_u32_e32 vcc_lo, 30, v5
	v_add_nc_u32_e32 v8, 2, v5
	s_mov_b32 s3, exec_lo
	s_waitcnt lgkmcnt(0)
	v_cndmask_b32_e64 v6, 0, 1, vcc_lo
	s_delay_alu instid0(VALU_DEP_1) | instskip(NEXT) | instid1(VALU_DEP_1)
	v_lshlrev_b32_e32 v6, 1, v6
	v_add_lshl_u32 v6, v6, v5, 2
	ds_bpermute_b32 v7, v6, v4
	ds_bpermute_b32 v6, v6, v2
	v_cmpx_lt_u32_e64 v8, v3
	s_cbranch_execz .LBB34_713
; %bb.712:
	s_waitcnt lgkmcnt(1)
	v_add_co_u32 v4, vcc_lo, v1, v7
	v_add_co_ci_u32_e32 v2, vcc_lo, 0, v2, vcc_lo
	s_delay_alu instid0(VALU_DEP_2) | instskip(SKIP_1) | instid1(VALU_DEP_2)
	v_add_co_u32 v1, vcc_lo, 0, v4
	s_waitcnt lgkmcnt(0)
	v_add_co_ci_u32_e32 v2, vcc_lo, v6, v2, vcc_lo
.LBB34_713:
	s_or_b32 exec_lo, exec_lo, s3
	v_cmp_gt_u32_e32 vcc_lo, 28, v5
	v_add_nc_u32_e32 v8, 4, v5
	s_mov_b32 s3, exec_lo
	s_waitcnt lgkmcnt(0)
	v_cndmask_b32_e64 v6, 0, 1, vcc_lo
	s_delay_alu instid0(VALU_DEP_1) | instskip(NEXT) | instid1(VALU_DEP_1)
	v_lshlrev_b32_e32 v6, 2, v6
	v_add_lshl_u32 v6, v6, v5, 2
	ds_bpermute_b32 v7, v6, v4
	ds_bpermute_b32 v6, v6, v2
	v_cmpx_lt_u32_e64 v8, v3
	s_cbranch_execz .LBB34_715
; %bb.714:
	s_waitcnt lgkmcnt(1)
	v_add_co_u32 v4, vcc_lo, v1, v7
	v_add_co_ci_u32_e32 v2, vcc_lo, 0, v2, vcc_lo
	s_delay_alu instid0(VALU_DEP_2) | instskip(SKIP_1) | instid1(VALU_DEP_2)
	v_add_co_u32 v1, vcc_lo, 0, v4
	s_waitcnt lgkmcnt(0)
	v_add_co_ci_u32_e32 v2, vcc_lo, v6, v2, vcc_lo
.LBB34_715:
	s_or_b32 exec_lo, exec_lo, s3
	v_cmp_gt_u32_e32 vcc_lo, 24, v5
	v_add_nc_u32_e32 v8, 8, v5
	s_mov_b32 s3, exec_lo
	s_waitcnt lgkmcnt(0)
	v_cndmask_b32_e64 v6, 0, 1, vcc_lo
	s_delay_alu instid0(VALU_DEP_1) | instskip(NEXT) | instid1(VALU_DEP_1)
	v_lshlrev_b32_e32 v6, 3, v6
	v_add_lshl_u32 v6, v6, v5, 2
	ds_bpermute_b32 v7, v6, v4
	ds_bpermute_b32 v6, v6, v2
	v_cmpx_lt_u32_e64 v8, v3
	s_cbranch_execz .LBB34_717
; %bb.716:
	s_waitcnt lgkmcnt(1)
	v_add_co_u32 v4, vcc_lo, v1, v7
	v_add_co_ci_u32_e32 v2, vcc_lo, 0, v2, vcc_lo
	s_delay_alu instid0(VALU_DEP_2) | instskip(SKIP_1) | instid1(VALU_DEP_2)
	v_add_co_u32 v1, vcc_lo, 0, v4
	s_waitcnt lgkmcnt(0)
	v_add_co_ci_u32_e32 v2, vcc_lo, v6, v2, vcc_lo
.LBB34_717:
	s_or_b32 exec_lo, exec_lo, s3
	v_cmp_gt_u32_e32 vcc_lo, 16, v5
	s_mov_b32 s3, exec_lo
	s_waitcnt lgkmcnt(0)
	v_cndmask_b32_e64 v6, 0, 1, vcc_lo
	s_delay_alu instid0(VALU_DEP_1) | instskip(NEXT) | instid1(VALU_DEP_1)
	v_lshlrev_b32_e32 v6, 4, v6
	v_add_lshl_u32 v7, v6, v5, 2
	ds_bpermute_b32 v6, v7, v4
	ds_bpermute_b32 v4, v7, v2
	v_add_nc_u32_e32 v7, 16, v5
	s_delay_alu instid0(VALU_DEP_1)
	v_cmpx_lt_u32_e64 v7, v3
	s_cbranch_execz .LBB34_719
; %bb.718:
	s_waitcnt lgkmcnt(1)
	v_add_co_u32 v1, vcc_lo, v1, v6
	v_add_co_ci_u32_e32 v2, vcc_lo, 0, v2, vcc_lo
	s_delay_alu instid0(VALU_DEP_2) | instskip(SKIP_1) | instid1(VALU_DEP_2)
	v_add_co_u32 v1, vcc_lo, v1, 0
	s_waitcnt lgkmcnt(0)
	v_add_co_ci_u32_e32 v2, vcc_lo, v2, v4, vcc_lo
.LBB34_719:
	s_or_b32 exec_lo, exec_lo, s3
	s_delay_alu instid0(SALU_CYCLE_1)
	s_mov_b32 s3, exec_lo
	v_cmpx_eq_u32_e32 0, v5
	s_cbranch_execz .LBB34_721
; %bb.720:
	v_lshrrev_b32_e32 v3, 2, v0
	s_delay_alu instid0(VALU_DEP_1)
	v_and_b32_e32 v3, 24, v3
	ds_store_b64 v3, v[1:2] offset:256
.LBB34_721:
	s_or_b32 exec_lo, exec_lo, s3
	s_delay_alu instid0(SALU_CYCLE_1)
	s_mov_b32 s3, exec_lo
	s_waitcnt lgkmcnt(0)
	s_barrier
	buffer_gl0_inv
	v_cmpx_gt_u32_e32 4, v0
	s_cbranch_execz .LBB34_727
; %bb.722:
	v_lshlrev_b32_e32 v1, 3, v5
	s_add_i32 s2, s2, 31
	s_delay_alu instid0(SALU_CYCLE_1) | instskip(SKIP_2) | instid1(VALU_DEP_1)
	s_lshr_b32 s2, s2, 5
	ds_load_b64 v[1:2], v1 offset:256
	v_and_b32_e32 v3, 3, v5
	v_cmp_ne_u32_e32 vcc_lo, 3, v3
	v_add_co_ci_u32_e32 v4, vcc_lo, 0, v5, vcc_lo
	s_delay_alu instid0(VALU_DEP_1) | instskip(SKIP_4) | instid1(VALU_DEP_1)
	v_lshlrev_b32_e32 v4, 2, v4
	s_waitcnt lgkmcnt(0)
	ds_bpermute_b32 v7, v4, v1
	ds_bpermute_b32 v6, v4, v2
	v_add_nc_u32_e32 v4, 1, v3
	v_cmp_gt_u32_e32 vcc_lo, s2, v4
	v_mov_b32_e32 v4, v1
	s_and_saveexec_b32 s4, vcc_lo
	s_cbranch_execz .LBB34_724
; %bb.723:
	s_waitcnt lgkmcnt(1)
	v_add_co_u32 v4, vcc_lo, v1, v7
	v_add_co_ci_u32_e32 v2, vcc_lo, 0, v2, vcc_lo
	s_delay_alu instid0(VALU_DEP_2) | instskip(SKIP_1) | instid1(VALU_DEP_2)
	v_add_co_u32 v1, vcc_lo, 0, v4
	s_waitcnt lgkmcnt(0)
	v_add_co_ci_u32_e32 v2, vcc_lo, v6, v2, vcc_lo
.LBB34_724:
	s_or_b32 exec_lo, exec_lo, s4
	v_cmp_gt_u32_e32 vcc_lo, 2, v3
	v_add_nc_u32_e32 v3, 2, v3
	s_waitcnt lgkmcnt(0)
	v_cndmask_b32_e64 v6, 0, 1, vcc_lo
	s_delay_alu instid0(VALU_DEP_2) | instskip(NEXT) | instid1(VALU_DEP_2)
	v_cmp_gt_u32_e32 vcc_lo, s2, v3
	v_lshlrev_b32_e32 v6, 1, v6
	s_delay_alu instid0(VALU_DEP_1)
	v_add_lshl_u32 v6, v6, v5, 2
	ds_bpermute_b32 v5, v6, v4
	ds_bpermute_b32 v4, v6, v2
	s_and_saveexec_b32 s2, vcc_lo
	s_cbranch_execz .LBB34_726
; %bb.725:
	s_waitcnt lgkmcnt(1)
	v_add_co_u32 v1, vcc_lo, v1, v5
	v_add_co_ci_u32_e32 v2, vcc_lo, 0, v2, vcc_lo
	s_delay_alu instid0(VALU_DEP_2) | instskip(SKIP_1) | instid1(VALU_DEP_2)
	v_add_co_u32 v1, vcc_lo, v1, 0
	s_waitcnt lgkmcnt(0)
	v_add_co_ci_u32_e32 v2, vcc_lo, v2, v4, vcc_lo
.LBB34_726:
	s_or_b32 exec_lo, exec_lo, s2
.LBB34_727:
	s_delay_alu instid0(SALU_CYCLE_1)
	s_or_b32 exec_lo, exec_lo, s3
	v_cmp_eq_u32_e64 s2, 0, v0
	s_branch .LBB34_758
.LBB34_728:
	s_cmp_eq_u32 s26, 1
                                        ; implicit-def: $vgpr1_vgpr2
	s_cbranch_scc0 .LBB34_758
; %bb.729:
	s_waitcnt lgkmcnt(0)
	v_mbcnt_lo_u32_b32 v3, -1, 0
	s_mov_b32 s19, 0
	s_lshr_b64 s[4:5], s[20:21], 7
	s_lshl_b32 s2, s18, 7
	s_cmp_lg_u64 s[4:5], s[18:19]
	s_cbranch_scc0 .LBB34_735
; %bb.730:
	s_add_u32 s4, s24, s2
	s_addc_u32 s5, s25, 0
	v_mov_b32_e32 v4, 0
	global_load_u8 v1, v0, s[4:5]
	s_waitcnt vmcnt(0)
	v_cmp_ne_u16_e32 vcc_lo, 0, v1
	v_cndmask_b32_e64 v1, 0, 1, vcc_lo
	s_delay_alu instid0(VALU_DEP_1) | instskip(NEXT) | instid1(VALU_DEP_1)
	v_mov_b32_dpp v2, v1 quad_perm:[1,0,3,2] row_mask:0xf bank_mask:0xf
	v_add_co_u32 v1, s3, v2, v1
	v_mov_b32_dpp v2, v4 quad_perm:[1,0,3,2] row_mask:0xf bank_mask:0xf
	v_add_co_ci_u32_e64 v5, null, 0, 0, s3
	s_delay_alu instid0(VALU_DEP_3) | instskip(SKIP_1) | instid1(VALU_DEP_3)
	v_mov_b32_dpp v6, v1 quad_perm:[2,3,0,1] row_mask:0xf bank_mask:0xf
	v_add_co_u32 v1, vcc_lo, 0, v1
	v_add_co_ci_u32_e32 v2, vcc_lo, v2, v5, vcc_lo
	s_mov_b32 s3, exec_lo
	s_delay_alu instid0(VALU_DEP_2) | instskip(NEXT) | instid1(VALU_DEP_2)
	v_add_co_u32 v1, vcc_lo, v1, v6
	v_mov_b32_dpp v5, v2 quad_perm:[2,3,0,1] row_mask:0xf bank_mask:0xf
	v_add_co_ci_u32_e32 v2, vcc_lo, 0, v2, vcc_lo
	s_delay_alu instid0(VALU_DEP_3) | instskip(SKIP_1) | instid1(VALU_DEP_3)
	v_mov_b32_dpp v6, v1 row_ror:4 row_mask:0xf bank_mask:0xf
	v_add_co_u32 v1, vcc_lo, v1, 0
	v_add_co_ci_u32_e32 v2, vcc_lo, v2, v5, vcc_lo
	s_delay_alu instid0(VALU_DEP_2) | instskip(NEXT) | instid1(VALU_DEP_2)
	v_add_co_u32 v1, vcc_lo, v1, v6
	v_mov_b32_dpp v5, v2 row_ror:4 row_mask:0xf bank_mask:0xf
	v_add_co_ci_u32_e32 v2, vcc_lo, 0, v2, vcc_lo
	s_delay_alu instid0(VALU_DEP_3) | instskip(SKIP_1) | instid1(VALU_DEP_3)
	v_mov_b32_dpp v6, v1 row_ror:8 row_mask:0xf bank_mask:0xf
	v_add_co_u32 v1, vcc_lo, v1, 0
	v_add_co_ci_u32_e32 v2, vcc_lo, v2, v5, vcc_lo
	s_delay_alu instid0(VALU_DEP_2) | instskip(NEXT) | instid1(VALU_DEP_2)
	v_add_co_u32 v1, vcc_lo, v1, v6
	v_mov_b32_dpp v5, v2 row_ror:8 row_mask:0xf bank_mask:0xf
	v_add_co_ci_u32_e32 v2, vcc_lo, 0, v2, vcc_lo
	ds_swizzle_b32 v6, v1 offset:swizzle(BROADCAST,32,15)
	v_add_co_u32 v1, vcc_lo, v1, 0
	v_add_co_ci_u32_e32 v2, vcc_lo, v2, v5, vcc_lo
	ds_swizzle_b32 v5, v2 offset:swizzle(BROADCAST,32,15)
	s_waitcnt lgkmcnt(1)
	v_add_co_u32 v1, vcc_lo, v1, v6
	v_add_co_ci_u32_e32 v2, vcc_lo, 0, v2, vcc_lo
	ds_bpermute_b32 v1, v4, v1 offset:124
	s_waitcnt lgkmcnt(1)
	v_add_nc_u32_e32 v2, v5, v2
	ds_bpermute_b32 v2, v4, v2 offset:124
	v_cmpx_eq_u32_e32 0, v3
	s_cbranch_execz .LBB34_732
; %bb.731:
	v_lshrrev_b32_e32 v4, 2, v0
	s_delay_alu instid0(VALU_DEP_1)
	v_and_b32_e32 v4, 24, v4
	s_waitcnt lgkmcnt(0)
	ds_store_b64 v4, v[1:2] offset:64
.LBB34_732:
	s_or_b32 exec_lo, exec_lo, s3
	s_delay_alu instid0(SALU_CYCLE_1)
	s_mov_b32 s3, exec_lo
	s_waitcnt lgkmcnt(0)
	s_barrier
	buffer_gl0_inv
	v_cmpx_gt_u32_e32 32, v0
	s_cbranch_execz .LBB34_734
; %bb.733:
	v_and_b32_e32 v4, 3, v3
	s_delay_alu instid0(VALU_DEP_1) | instskip(SKIP_4) | instid1(VALU_DEP_2)
	v_lshlrev_b32_e32 v1, 3, v4
	v_cmp_ne_u32_e32 vcc_lo, 3, v4
	ds_load_b64 v[1:2], v1 offset:64
	v_add_co_ci_u32_e32 v5, vcc_lo, 0, v3, vcc_lo
	v_cmp_gt_u32_e32 vcc_lo, 2, v4
	v_lshlrev_b32_e32 v5, 2, v5
	v_cndmask_b32_e64 v4, 0, 1, vcc_lo
	s_delay_alu instid0(VALU_DEP_1) | instskip(NEXT) | instid1(VALU_DEP_1)
	v_lshlrev_b32_e32 v4, 1, v4
	v_add_lshl_u32 v4, v4, v3, 2
	s_waitcnt lgkmcnt(0)
	ds_bpermute_b32 v6, v5, v1
	ds_bpermute_b32 v5, v5, v2
	s_waitcnt lgkmcnt(1)
	v_add_co_u32 v1, vcc_lo, v1, v6
	v_add_co_ci_u32_e32 v2, vcc_lo, 0, v2, vcc_lo
	ds_bpermute_b32 v6, v4, v1
	v_add_co_u32 v1, vcc_lo, 0, v1
	s_waitcnt lgkmcnt(1)
	v_add_co_ci_u32_e32 v2, vcc_lo, v5, v2, vcc_lo
	ds_bpermute_b32 v4, v4, v2
	s_waitcnt lgkmcnt(1)
	v_add_co_u32 v1, vcc_lo, v1, v6
	v_add_co_ci_u32_e32 v2, vcc_lo, 0, v2, vcc_lo
	s_delay_alu instid0(VALU_DEP_2) | instskip(SKIP_1) | instid1(VALU_DEP_2)
	v_add_co_u32 v1, vcc_lo, v1, 0
	s_waitcnt lgkmcnt(0)
	v_add_co_ci_u32_e32 v2, vcc_lo, v2, v4, vcc_lo
.LBB34_734:
	s_or_b32 exec_lo, exec_lo, s3
	s_branch .LBB34_757
.LBB34_735:
                                        ; implicit-def: $vgpr1_vgpr2
	s_cbranch_execz .LBB34_757
; %bb.736:
	s_sub_i32 s3, s20, s2
	s_mov_b32 s4, exec_lo
                                        ; implicit-def: $vgpr1_vgpr2
	v_cmpx_gt_u32_e64 s3, v0
	s_cbranch_execz .LBB34_738
; %bb.737:
	s_add_u32 s6, s24, s2
	s_addc_u32 s7, s25, 0
	s_mov_b32 s2, 0
	global_load_u8 v1, v0, s[6:7]
	v_mov_b32_e32 v2, s2
	s_waitcnt vmcnt(0)
	v_cmp_ne_u16_e32 vcc_lo, 0, v1
	v_cndmask_b32_e64 v1, 0, 1, vcc_lo
.LBB34_738:
	s_or_b32 exec_lo, exec_lo, s4
	v_cmp_ne_u32_e32 vcc_lo, 31, v3
	s_min_u32 s2, s3, 0x80
	v_add_nc_u32_e32 v5, 1, v3
	v_add_co_ci_u32_e32 v4, vcc_lo, 0, v3, vcc_lo
	s_delay_alu instid0(VALU_DEP_1) | instskip(SKIP_3) | instid1(VALU_DEP_1)
	v_lshlrev_b32_e32 v4, 2, v4
	ds_bpermute_b32 v7, v4, v1
	ds_bpermute_b32 v6, v4, v2
	v_and_b32_e32 v4, 0x60, v0
	v_sub_nc_u32_e64 v4, s2, v4 clamp
	s_delay_alu instid0(VALU_DEP_1)
	v_cmp_lt_u32_e32 vcc_lo, v5, v4
	v_mov_b32_e32 v5, v1
	s_and_saveexec_b32 s3, vcc_lo
	s_cbranch_execz .LBB34_740
; %bb.739:
	s_waitcnt lgkmcnt(1)
	v_add_co_u32 v5, vcc_lo, v1, v7
	v_add_co_ci_u32_e32 v2, vcc_lo, 0, v2, vcc_lo
	s_delay_alu instid0(VALU_DEP_2) | instskip(SKIP_1) | instid1(VALU_DEP_2)
	v_add_co_u32 v1, vcc_lo, 0, v5
	s_waitcnt lgkmcnt(0)
	v_add_co_ci_u32_e32 v2, vcc_lo, v6, v2, vcc_lo
.LBB34_740:
	s_or_b32 exec_lo, exec_lo, s3
	v_cmp_gt_u32_e32 vcc_lo, 30, v3
	v_add_nc_u32_e32 v8, 2, v3
	s_mov_b32 s3, exec_lo
	s_waitcnt lgkmcnt(0)
	v_cndmask_b32_e64 v6, 0, 1, vcc_lo
	s_delay_alu instid0(VALU_DEP_1) | instskip(NEXT) | instid1(VALU_DEP_1)
	v_lshlrev_b32_e32 v6, 1, v6
	v_add_lshl_u32 v6, v6, v3, 2
	ds_bpermute_b32 v7, v6, v5
	ds_bpermute_b32 v6, v6, v2
	v_cmpx_lt_u32_e64 v8, v4
	s_cbranch_execz .LBB34_742
; %bb.741:
	s_waitcnt lgkmcnt(1)
	v_add_co_u32 v5, vcc_lo, v1, v7
	v_add_co_ci_u32_e32 v2, vcc_lo, 0, v2, vcc_lo
	s_delay_alu instid0(VALU_DEP_2) | instskip(SKIP_1) | instid1(VALU_DEP_2)
	v_add_co_u32 v1, vcc_lo, 0, v5
	s_waitcnt lgkmcnt(0)
	v_add_co_ci_u32_e32 v2, vcc_lo, v6, v2, vcc_lo
.LBB34_742:
	s_or_b32 exec_lo, exec_lo, s3
	v_cmp_gt_u32_e32 vcc_lo, 28, v3
	v_add_nc_u32_e32 v8, 4, v3
	s_mov_b32 s3, exec_lo
	s_waitcnt lgkmcnt(0)
	v_cndmask_b32_e64 v6, 0, 1, vcc_lo
	s_delay_alu instid0(VALU_DEP_1) | instskip(NEXT) | instid1(VALU_DEP_1)
	v_lshlrev_b32_e32 v6, 2, v6
	v_add_lshl_u32 v6, v6, v3, 2
	ds_bpermute_b32 v7, v6, v5
	ds_bpermute_b32 v6, v6, v2
	v_cmpx_lt_u32_e64 v8, v4
	;; [unrolled: 22-line block ×3, first 2 shown]
	s_cbranch_execz .LBB34_746
; %bb.745:
	s_waitcnt lgkmcnt(1)
	v_add_co_u32 v5, vcc_lo, v1, v7
	v_add_co_ci_u32_e32 v2, vcc_lo, 0, v2, vcc_lo
	s_delay_alu instid0(VALU_DEP_2) | instskip(SKIP_1) | instid1(VALU_DEP_2)
	v_add_co_u32 v1, vcc_lo, 0, v5
	s_waitcnt lgkmcnt(0)
	v_add_co_ci_u32_e32 v2, vcc_lo, v6, v2, vcc_lo
.LBB34_746:
	s_or_b32 exec_lo, exec_lo, s3
	v_cmp_gt_u32_e32 vcc_lo, 16, v3
	s_mov_b32 s3, exec_lo
	s_waitcnt lgkmcnt(0)
	v_cndmask_b32_e64 v6, 0, 1, vcc_lo
	s_delay_alu instid0(VALU_DEP_1) | instskip(NEXT) | instid1(VALU_DEP_1)
	v_lshlrev_b32_e32 v6, 4, v6
	v_add_lshl_u32 v7, v6, v3, 2
	ds_bpermute_b32 v6, v7, v5
	ds_bpermute_b32 v5, v7, v2
	v_add_nc_u32_e32 v7, 16, v3
	s_delay_alu instid0(VALU_DEP_1)
	v_cmpx_lt_u32_e64 v7, v4
	s_cbranch_execz .LBB34_748
; %bb.747:
	s_waitcnt lgkmcnt(1)
	v_add_co_u32 v1, vcc_lo, v1, v6
	v_add_co_ci_u32_e32 v2, vcc_lo, 0, v2, vcc_lo
	s_delay_alu instid0(VALU_DEP_2) | instskip(SKIP_1) | instid1(VALU_DEP_2)
	v_add_co_u32 v1, vcc_lo, v1, 0
	s_waitcnt lgkmcnt(0)
	v_add_co_ci_u32_e32 v2, vcc_lo, v2, v5, vcc_lo
.LBB34_748:
	s_or_b32 exec_lo, exec_lo, s3
	s_delay_alu instid0(SALU_CYCLE_1)
	s_mov_b32 s3, exec_lo
	v_cmpx_eq_u32_e32 0, v3
	s_cbranch_execz .LBB34_750
; %bb.749:
	v_lshrrev_b32_e32 v4, 2, v0
	s_delay_alu instid0(VALU_DEP_1)
	v_and_b32_e32 v4, 24, v4
	ds_store_b64 v4, v[1:2] offset:256
.LBB34_750:
	s_or_b32 exec_lo, exec_lo, s3
	s_delay_alu instid0(SALU_CYCLE_1)
	s_mov_b32 s3, exec_lo
	s_waitcnt lgkmcnt(0)
	s_barrier
	buffer_gl0_inv
	v_cmpx_gt_u32_e32 4, v0
	s_cbranch_execz .LBB34_756
; %bb.751:
	v_lshlrev_b32_e32 v1, 3, v3
	s_add_i32 s2, s2, 31
	s_delay_alu instid0(SALU_CYCLE_1) | instskip(SKIP_2) | instid1(VALU_DEP_1)
	s_lshr_b32 s2, s2, 5
	ds_load_b64 v[1:2], v1 offset:256
	v_and_b32_e32 v4, 3, v3
	v_cmp_ne_u32_e32 vcc_lo, 3, v4
	v_add_co_ci_u32_e32 v5, vcc_lo, 0, v3, vcc_lo
	s_delay_alu instid0(VALU_DEP_1) | instskip(SKIP_4) | instid1(VALU_DEP_1)
	v_lshlrev_b32_e32 v5, 2, v5
	s_waitcnt lgkmcnt(0)
	ds_bpermute_b32 v7, v5, v1
	ds_bpermute_b32 v6, v5, v2
	v_add_nc_u32_e32 v5, 1, v4
	v_cmp_gt_u32_e32 vcc_lo, s2, v5
	v_mov_b32_e32 v5, v1
	s_and_saveexec_b32 s4, vcc_lo
	s_cbranch_execz .LBB34_753
; %bb.752:
	s_waitcnt lgkmcnt(1)
	v_add_co_u32 v5, vcc_lo, v1, v7
	v_add_co_ci_u32_e32 v2, vcc_lo, 0, v2, vcc_lo
	s_delay_alu instid0(VALU_DEP_2) | instskip(SKIP_1) | instid1(VALU_DEP_2)
	v_add_co_u32 v1, vcc_lo, 0, v5
	s_waitcnt lgkmcnt(0)
	v_add_co_ci_u32_e32 v2, vcc_lo, v6, v2, vcc_lo
.LBB34_753:
	s_or_b32 exec_lo, exec_lo, s4
	v_cmp_gt_u32_e32 vcc_lo, 2, v4
	v_add_nc_u32_e32 v4, 2, v4
	s_waitcnt lgkmcnt(0)
	v_cndmask_b32_e64 v6, 0, 1, vcc_lo
	s_delay_alu instid0(VALU_DEP_2) | instskip(NEXT) | instid1(VALU_DEP_2)
	v_cmp_gt_u32_e32 vcc_lo, s2, v4
	v_lshlrev_b32_e32 v6, 1, v6
	s_delay_alu instid0(VALU_DEP_1)
	v_add_lshl_u32 v3, v6, v3, 2
	ds_bpermute_b32 v5, v3, v5
	ds_bpermute_b32 v3, v3, v2
	s_and_saveexec_b32 s2, vcc_lo
	s_cbranch_execz .LBB34_755
; %bb.754:
	s_waitcnt lgkmcnt(1)
	v_add_co_u32 v1, vcc_lo, v1, v5
	v_add_co_ci_u32_e32 v2, vcc_lo, 0, v2, vcc_lo
	s_delay_alu instid0(VALU_DEP_2) | instskip(SKIP_1) | instid1(VALU_DEP_2)
	v_add_co_u32 v1, vcc_lo, v1, 0
	s_waitcnt lgkmcnt(0)
	v_add_co_ci_u32_e32 v2, vcc_lo, v2, v3, vcc_lo
.LBB34_755:
	s_or_b32 exec_lo, exec_lo, s2
.LBB34_756:
	s_delay_alu instid0(SALU_CYCLE_1)
	s_or_b32 exec_lo, exec_lo, s3
.LBB34_757:
	v_cmp_eq_u32_e64 s2, 0, v0
.LBB34_758:
	s_delay_alu instid0(VALU_DEP_1)
	s_and_saveexec_b32 s3, s2
	s_cbranch_execz .LBB34_760
; %bb.759:
	s_load_b64 s[0:1], s[0:1], 0x28
	s_cmp_lg_u64 s[20:21], 0
	s_cselect_b32 vcc_lo, -1, 0
	s_lshl_b64 s[2:3], s[18:19], 3
	v_cndmask_b32_e32 v0, 0, v1, vcc_lo
	v_cndmask_b32_e32 v2, 0, v2, vcc_lo
	s_waitcnt lgkmcnt(0)
	s_delay_alu instid0(VALU_DEP_2) | instskip(NEXT) | instid1(VALU_DEP_2)
	v_add_co_u32 v0, vcc_lo, v0, s0
	v_add_co_ci_u32_e32 v1, vcc_lo, s1, v2, vcc_lo
	v_mov_b32_e32 v2, 0
	s_add_u32 s0, s22, s2
	s_addc_u32 s1, s23, s3
	global_store_b64 v2, v[0:1], s[0:1]
.LBB34_760:
	s_nop 0
	s_sendmsg sendmsg(MSG_DEALLOC_VGPRS)
	s_endpgm
	.section	.rodata,"a",@progbits
	.p2align	6, 0x0
	.amdhsa_kernel _ZN7rocprim17ROCPRIM_400000_NS6detail17trampoline_kernelINS0_14default_configENS1_22reduce_config_selectorIbEEZNS1_11reduce_implILb1ES3_N6hipcub16HIPCUB_304000_NS22TransformInputIteratorIb7NonZeroIaEPalEEPllNS8_6detail34convert_binary_result_type_wrapperINS8_3SumESD_lEEEE10hipError_tPvRmT1_T2_T3_mT4_P12ihipStream_tbEUlT_E1_NS1_11comp_targetILNS1_3genE9ELNS1_11target_archE1100ELNS1_3gpuE3ELNS1_3repE0EEENS1_30default_config_static_selectorELNS0_4arch9wavefront6targetE0EEEvSM_
		.amdhsa_group_segment_fixed_size 288
		.amdhsa_private_segment_fixed_size 20
		.amdhsa_kernarg_size 56
		.amdhsa_user_sgpr_count 15
		.amdhsa_user_sgpr_dispatch_ptr 0
		.amdhsa_user_sgpr_queue_ptr 0
		.amdhsa_user_sgpr_kernarg_segment_ptr 1
		.amdhsa_user_sgpr_dispatch_id 0
		.amdhsa_user_sgpr_private_segment_size 0
		.amdhsa_wavefront_size32 1
		.amdhsa_uses_dynamic_stack 0
		.amdhsa_enable_private_segment 1
		.amdhsa_system_sgpr_workgroup_id_x 1
		.amdhsa_system_sgpr_workgroup_id_y 0
		.amdhsa_system_sgpr_workgroup_id_z 0
		.amdhsa_system_sgpr_workgroup_info 0
		.amdhsa_system_vgpr_workitem_id 0
		.amdhsa_next_free_vgpr 256
		.amdhsa_next_free_sgpr 29
		.amdhsa_reserve_vcc 1
		.amdhsa_float_round_mode_32 0
		.amdhsa_float_round_mode_16_64 0
		.amdhsa_float_denorm_mode_32 3
		.amdhsa_float_denorm_mode_16_64 3
		.amdhsa_dx10_clamp 1
		.amdhsa_ieee_mode 1
		.amdhsa_fp16_overflow 0
		.amdhsa_workgroup_processor_mode 1
		.amdhsa_memory_ordered 1
		.amdhsa_forward_progress 0
		.amdhsa_shared_vgpr_count 0
		.amdhsa_exception_fp_ieee_invalid_op 0
		.amdhsa_exception_fp_denorm_src 0
		.amdhsa_exception_fp_ieee_div_zero 0
		.amdhsa_exception_fp_ieee_overflow 0
		.amdhsa_exception_fp_ieee_underflow 0
		.amdhsa_exception_fp_ieee_inexact 0
		.amdhsa_exception_int_div_zero 0
	.end_amdhsa_kernel
	.section	.text._ZN7rocprim17ROCPRIM_400000_NS6detail17trampoline_kernelINS0_14default_configENS1_22reduce_config_selectorIbEEZNS1_11reduce_implILb1ES3_N6hipcub16HIPCUB_304000_NS22TransformInputIteratorIb7NonZeroIaEPalEEPllNS8_6detail34convert_binary_result_type_wrapperINS8_3SumESD_lEEEE10hipError_tPvRmT1_T2_T3_mT4_P12ihipStream_tbEUlT_E1_NS1_11comp_targetILNS1_3genE9ELNS1_11target_archE1100ELNS1_3gpuE3ELNS1_3repE0EEENS1_30default_config_static_selectorELNS0_4arch9wavefront6targetE0EEEvSM_,"axG",@progbits,_ZN7rocprim17ROCPRIM_400000_NS6detail17trampoline_kernelINS0_14default_configENS1_22reduce_config_selectorIbEEZNS1_11reduce_implILb1ES3_N6hipcub16HIPCUB_304000_NS22TransformInputIteratorIb7NonZeroIaEPalEEPllNS8_6detail34convert_binary_result_type_wrapperINS8_3SumESD_lEEEE10hipError_tPvRmT1_T2_T3_mT4_P12ihipStream_tbEUlT_E1_NS1_11comp_targetILNS1_3genE9ELNS1_11target_archE1100ELNS1_3gpuE3ELNS1_3repE0EEENS1_30default_config_static_selectorELNS0_4arch9wavefront6targetE0EEEvSM_,comdat
.Lfunc_end34:
	.size	_ZN7rocprim17ROCPRIM_400000_NS6detail17trampoline_kernelINS0_14default_configENS1_22reduce_config_selectorIbEEZNS1_11reduce_implILb1ES3_N6hipcub16HIPCUB_304000_NS22TransformInputIteratorIb7NonZeroIaEPalEEPllNS8_6detail34convert_binary_result_type_wrapperINS8_3SumESD_lEEEE10hipError_tPvRmT1_T2_T3_mT4_P12ihipStream_tbEUlT_E1_NS1_11comp_targetILNS1_3genE9ELNS1_11target_archE1100ELNS1_3gpuE3ELNS1_3repE0EEENS1_30default_config_static_selectorELNS0_4arch9wavefront6targetE0EEEvSM_, .Lfunc_end34-_ZN7rocprim17ROCPRIM_400000_NS6detail17trampoline_kernelINS0_14default_configENS1_22reduce_config_selectorIbEEZNS1_11reduce_implILb1ES3_N6hipcub16HIPCUB_304000_NS22TransformInputIteratorIb7NonZeroIaEPalEEPllNS8_6detail34convert_binary_result_type_wrapperINS8_3SumESD_lEEEE10hipError_tPvRmT1_T2_T3_mT4_P12ihipStream_tbEUlT_E1_NS1_11comp_targetILNS1_3genE9ELNS1_11target_archE1100ELNS1_3gpuE3ELNS1_3repE0EEENS1_30default_config_static_selectorELNS0_4arch9wavefront6targetE0EEEvSM_
                                        ; -- End function
	.section	.AMDGPU.csdata,"",@progbits
; Kernel info:
; codeLenInByte = 46172
; NumSgprs: 31
; NumVgprs: 256
; ScratchSize: 20
; MemoryBound: 0
; FloatMode: 240
; IeeeMode: 1
; LDSByteSize: 288 bytes/workgroup (compile time only)
; SGPRBlocks: 3
; VGPRBlocks: 31
; NumSGPRsForWavesPerEU: 31
; NumVGPRsForWavesPerEU: 256
; Occupancy: 5
; WaveLimiterHint : 1
; COMPUTE_PGM_RSRC2:SCRATCH_EN: 1
; COMPUTE_PGM_RSRC2:USER_SGPR: 15
; COMPUTE_PGM_RSRC2:TRAP_HANDLER: 0
; COMPUTE_PGM_RSRC2:TGID_X_EN: 1
; COMPUTE_PGM_RSRC2:TGID_Y_EN: 0
; COMPUTE_PGM_RSRC2:TGID_Z_EN: 0
; COMPUTE_PGM_RSRC2:TIDIG_COMP_CNT: 0
	.section	.text._ZN7rocprim17ROCPRIM_400000_NS6detail17trampoline_kernelINS0_14default_configENS1_22reduce_config_selectorIbEEZNS1_11reduce_implILb1ES3_N6hipcub16HIPCUB_304000_NS22TransformInputIteratorIb7NonZeroIaEPalEEPllNS8_6detail34convert_binary_result_type_wrapperINS8_3SumESD_lEEEE10hipError_tPvRmT1_T2_T3_mT4_P12ihipStream_tbEUlT_E1_NS1_11comp_targetILNS1_3genE8ELNS1_11target_archE1030ELNS1_3gpuE2ELNS1_3repE0EEENS1_30default_config_static_selectorELNS0_4arch9wavefront6targetE0EEEvSM_,"axG",@progbits,_ZN7rocprim17ROCPRIM_400000_NS6detail17trampoline_kernelINS0_14default_configENS1_22reduce_config_selectorIbEEZNS1_11reduce_implILb1ES3_N6hipcub16HIPCUB_304000_NS22TransformInputIteratorIb7NonZeroIaEPalEEPllNS8_6detail34convert_binary_result_type_wrapperINS8_3SumESD_lEEEE10hipError_tPvRmT1_T2_T3_mT4_P12ihipStream_tbEUlT_E1_NS1_11comp_targetILNS1_3genE8ELNS1_11target_archE1030ELNS1_3gpuE2ELNS1_3repE0EEENS1_30default_config_static_selectorELNS0_4arch9wavefront6targetE0EEEvSM_,comdat
	.protected	_ZN7rocprim17ROCPRIM_400000_NS6detail17trampoline_kernelINS0_14default_configENS1_22reduce_config_selectorIbEEZNS1_11reduce_implILb1ES3_N6hipcub16HIPCUB_304000_NS22TransformInputIteratorIb7NonZeroIaEPalEEPllNS8_6detail34convert_binary_result_type_wrapperINS8_3SumESD_lEEEE10hipError_tPvRmT1_T2_T3_mT4_P12ihipStream_tbEUlT_E1_NS1_11comp_targetILNS1_3genE8ELNS1_11target_archE1030ELNS1_3gpuE2ELNS1_3repE0EEENS1_30default_config_static_selectorELNS0_4arch9wavefront6targetE0EEEvSM_ ; -- Begin function _ZN7rocprim17ROCPRIM_400000_NS6detail17trampoline_kernelINS0_14default_configENS1_22reduce_config_selectorIbEEZNS1_11reduce_implILb1ES3_N6hipcub16HIPCUB_304000_NS22TransformInputIteratorIb7NonZeroIaEPalEEPllNS8_6detail34convert_binary_result_type_wrapperINS8_3SumESD_lEEEE10hipError_tPvRmT1_T2_T3_mT4_P12ihipStream_tbEUlT_E1_NS1_11comp_targetILNS1_3genE8ELNS1_11target_archE1030ELNS1_3gpuE2ELNS1_3repE0EEENS1_30default_config_static_selectorELNS0_4arch9wavefront6targetE0EEEvSM_
	.globl	_ZN7rocprim17ROCPRIM_400000_NS6detail17trampoline_kernelINS0_14default_configENS1_22reduce_config_selectorIbEEZNS1_11reduce_implILb1ES3_N6hipcub16HIPCUB_304000_NS22TransformInputIteratorIb7NonZeroIaEPalEEPllNS8_6detail34convert_binary_result_type_wrapperINS8_3SumESD_lEEEE10hipError_tPvRmT1_T2_T3_mT4_P12ihipStream_tbEUlT_E1_NS1_11comp_targetILNS1_3genE8ELNS1_11target_archE1030ELNS1_3gpuE2ELNS1_3repE0EEENS1_30default_config_static_selectorELNS0_4arch9wavefront6targetE0EEEvSM_
	.p2align	8
	.type	_ZN7rocprim17ROCPRIM_400000_NS6detail17trampoline_kernelINS0_14default_configENS1_22reduce_config_selectorIbEEZNS1_11reduce_implILb1ES3_N6hipcub16HIPCUB_304000_NS22TransformInputIteratorIb7NonZeroIaEPalEEPllNS8_6detail34convert_binary_result_type_wrapperINS8_3SumESD_lEEEE10hipError_tPvRmT1_T2_T3_mT4_P12ihipStream_tbEUlT_E1_NS1_11comp_targetILNS1_3genE8ELNS1_11target_archE1030ELNS1_3gpuE2ELNS1_3repE0EEENS1_30default_config_static_selectorELNS0_4arch9wavefront6targetE0EEEvSM_,@function
_ZN7rocprim17ROCPRIM_400000_NS6detail17trampoline_kernelINS0_14default_configENS1_22reduce_config_selectorIbEEZNS1_11reduce_implILb1ES3_N6hipcub16HIPCUB_304000_NS22TransformInputIteratorIb7NonZeroIaEPalEEPllNS8_6detail34convert_binary_result_type_wrapperINS8_3SumESD_lEEEE10hipError_tPvRmT1_T2_T3_mT4_P12ihipStream_tbEUlT_E1_NS1_11comp_targetILNS1_3genE8ELNS1_11target_archE1030ELNS1_3gpuE2ELNS1_3repE0EEENS1_30default_config_static_selectorELNS0_4arch9wavefront6targetE0EEEvSM_: ; @_ZN7rocprim17ROCPRIM_400000_NS6detail17trampoline_kernelINS0_14default_configENS1_22reduce_config_selectorIbEEZNS1_11reduce_implILb1ES3_N6hipcub16HIPCUB_304000_NS22TransformInputIteratorIb7NonZeroIaEPalEEPllNS8_6detail34convert_binary_result_type_wrapperINS8_3SumESD_lEEEE10hipError_tPvRmT1_T2_T3_mT4_P12ihipStream_tbEUlT_E1_NS1_11comp_targetILNS1_3genE8ELNS1_11target_archE1030ELNS1_3gpuE2ELNS1_3repE0EEENS1_30default_config_static_selectorELNS0_4arch9wavefront6targetE0EEEvSM_
; %bb.0:
	.section	.rodata,"a",@progbits
	.p2align	6, 0x0
	.amdhsa_kernel _ZN7rocprim17ROCPRIM_400000_NS6detail17trampoline_kernelINS0_14default_configENS1_22reduce_config_selectorIbEEZNS1_11reduce_implILb1ES3_N6hipcub16HIPCUB_304000_NS22TransformInputIteratorIb7NonZeroIaEPalEEPllNS8_6detail34convert_binary_result_type_wrapperINS8_3SumESD_lEEEE10hipError_tPvRmT1_T2_T3_mT4_P12ihipStream_tbEUlT_E1_NS1_11comp_targetILNS1_3genE8ELNS1_11target_archE1030ELNS1_3gpuE2ELNS1_3repE0EEENS1_30default_config_static_selectorELNS0_4arch9wavefront6targetE0EEEvSM_
		.amdhsa_group_segment_fixed_size 0
		.amdhsa_private_segment_fixed_size 0
		.amdhsa_kernarg_size 56
		.amdhsa_user_sgpr_count 15
		.amdhsa_user_sgpr_dispatch_ptr 0
		.amdhsa_user_sgpr_queue_ptr 0
		.amdhsa_user_sgpr_kernarg_segment_ptr 1
		.amdhsa_user_sgpr_dispatch_id 0
		.amdhsa_user_sgpr_private_segment_size 0
		.amdhsa_wavefront_size32 1
		.amdhsa_uses_dynamic_stack 0
		.amdhsa_enable_private_segment 0
		.amdhsa_system_sgpr_workgroup_id_x 1
		.amdhsa_system_sgpr_workgroup_id_y 0
		.amdhsa_system_sgpr_workgroup_id_z 0
		.amdhsa_system_sgpr_workgroup_info 0
		.amdhsa_system_vgpr_workitem_id 0
		.amdhsa_next_free_vgpr 1
		.amdhsa_next_free_sgpr 1
		.amdhsa_reserve_vcc 0
		.amdhsa_float_round_mode_32 0
		.amdhsa_float_round_mode_16_64 0
		.amdhsa_float_denorm_mode_32 3
		.amdhsa_float_denorm_mode_16_64 3
		.amdhsa_dx10_clamp 1
		.amdhsa_ieee_mode 1
		.amdhsa_fp16_overflow 0
		.amdhsa_workgroup_processor_mode 1
		.amdhsa_memory_ordered 1
		.amdhsa_forward_progress 0
		.amdhsa_shared_vgpr_count 0
		.amdhsa_exception_fp_ieee_invalid_op 0
		.amdhsa_exception_fp_denorm_src 0
		.amdhsa_exception_fp_ieee_div_zero 0
		.amdhsa_exception_fp_ieee_overflow 0
		.amdhsa_exception_fp_ieee_underflow 0
		.amdhsa_exception_fp_ieee_inexact 0
		.amdhsa_exception_int_div_zero 0
	.end_amdhsa_kernel
	.section	.text._ZN7rocprim17ROCPRIM_400000_NS6detail17trampoline_kernelINS0_14default_configENS1_22reduce_config_selectorIbEEZNS1_11reduce_implILb1ES3_N6hipcub16HIPCUB_304000_NS22TransformInputIteratorIb7NonZeroIaEPalEEPllNS8_6detail34convert_binary_result_type_wrapperINS8_3SumESD_lEEEE10hipError_tPvRmT1_T2_T3_mT4_P12ihipStream_tbEUlT_E1_NS1_11comp_targetILNS1_3genE8ELNS1_11target_archE1030ELNS1_3gpuE2ELNS1_3repE0EEENS1_30default_config_static_selectorELNS0_4arch9wavefront6targetE0EEEvSM_,"axG",@progbits,_ZN7rocprim17ROCPRIM_400000_NS6detail17trampoline_kernelINS0_14default_configENS1_22reduce_config_selectorIbEEZNS1_11reduce_implILb1ES3_N6hipcub16HIPCUB_304000_NS22TransformInputIteratorIb7NonZeroIaEPalEEPllNS8_6detail34convert_binary_result_type_wrapperINS8_3SumESD_lEEEE10hipError_tPvRmT1_T2_T3_mT4_P12ihipStream_tbEUlT_E1_NS1_11comp_targetILNS1_3genE8ELNS1_11target_archE1030ELNS1_3gpuE2ELNS1_3repE0EEENS1_30default_config_static_selectorELNS0_4arch9wavefront6targetE0EEEvSM_,comdat
.Lfunc_end35:
	.size	_ZN7rocprim17ROCPRIM_400000_NS6detail17trampoline_kernelINS0_14default_configENS1_22reduce_config_selectorIbEEZNS1_11reduce_implILb1ES3_N6hipcub16HIPCUB_304000_NS22TransformInputIteratorIb7NonZeroIaEPalEEPllNS8_6detail34convert_binary_result_type_wrapperINS8_3SumESD_lEEEE10hipError_tPvRmT1_T2_T3_mT4_P12ihipStream_tbEUlT_E1_NS1_11comp_targetILNS1_3genE8ELNS1_11target_archE1030ELNS1_3gpuE2ELNS1_3repE0EEENS1_30default_config_static_selectorELNS0_4arch9wavefront6targetE0EEEvSM_, .Lfunc_end35-_ZN7rocprim17ROCPRIM_400000_NS6detail17trampoline_kernelINS0_14default_configENS1_22reduce_config_selectorIbEEZNS1_11reduce_implILb1ES3_N6hipcub16HIPCUB_304000_NS22TransformInputIteratorIb7NonZeroIaEPalEEPllNS8_6detail34convert_binary_result_type_wrapperINS8_3SumESD_lEEEE10hipError_tPvRmT1_T2_T3_mT4_P12ihipStream_tbEUlT_E1_NS1_11comp_targetILNS1_3genE8ELNS1_11target_archE1030ELNS1_3gpuE2ELNS1_3repE0EEENS1_30default_config_static_selectorELNS0_4arch9wavefront6targetE0EEEvSM_
                                        ; -- End function
	.section	.AMDGPU.csdata,"",@progbits
; Kernel info:
; codeLenInByte = 0
; NumSgprs: 0
; NumVgprs: 0
; ScratchSize: 0
; MemoryBound: 0
; FloatMode: 240
; IeeeMode: 1
; LDSByteSize: 0 bytes/workgroup (compile time only)
; SGPRBlocks: 0
; VGPRBlocks: 0
; NumSGPRsForWavesPerEU: 1
; NumVGPRsForWavesPerEU: 1
; Occupancy: 16
; WaveLimiterHint : 0
; COMPUTE_PGM_RSRC2:SCRATCH_EN: 0
; COMPUTE_PGM_RSRC2:USER_SGPR: 15
; COMPUTE_PGM_RSRC2:TRAP_HANDLER: 0
; COMPUTE_PGM_RSRC2:TGID_X_EN: 1
; COMPUTE_PGM_RSRC2:TGID_Y_EN: 0
; COMPUTE_PGM_RSRC2:TGID_Z_EN: 0
; COMPUTE_PGM_RSRC2:TIDIG_COMP_CNT: 0
	.section	.text._ZN7rocprim17ROCPRIM_400000_NS6detail31init_lookback_scan_state_kernelINS1_19lookback_scan_stateImLb0ELb1EEENS1_16block_id_wrapperIjLb0EEEEEvT_jT0_jPNS7_10value_typeE,"axG",@progbits,_ZN7rocprim17ROCPRIM_400000_NS6detail31init_lookback_scan_state_kernelINS1_19lookback_scan_stateImLb0ELb1EEENS1_16block_id_wrapperIjLb0EEEEEvT_jT0_jPNS7_10value_typeE,comdat
	.protected	_ZN7rocprim17ROCPRIM_400000_NS6detail31init_lookback_scan_state_kernelINS1_19lookback_scan_stateImLb0ELb1EEENS1_16block_id_wrapperIjLb0EEEEEvT_jT0_jPNS7_10value_typeE ; -- Begin function _ZN7rocprim17ROCPRIM_400000_NS6detail31init_lookback_scan_state_kernelINS1_19lookback_scan_stateImLb0ELb1EEENS1_16block_id_wrapperIjLb0EEEEEvT_jT0_jPNS7_10value_typeE
	.globl	_ZN7rocprim17ROCPRIM_400000_NS6detail31init_lookback_scan_state_kernelINS1_19lookback_scan_stateImLb0ELb1EEENS1_16block_id_wrapperIjLb0EEEEEvT_jT0_jPNS7_10value_typeE
	.p2align	8
	.type	_ZN7rocprim17ROCPRIM_400000_NS6detail31init_lookback_scan_state_kernelINS1_19lookback_scan_stateImLb0ELb1EEENS1_16block_id_wrapperIjLb0EEEEEvT_jT0_jPNS7_10value_typeE,@function
_ZN7rocprim17ROCPRIM_400000_NS6detail31init_lookback_scan_state_kernelINS1_19lookback_scan_stateImLb0ELb1EEENS1_16block_id_wrapperIjLb0EEEEEvT_jT0_jPNS7_10value_typeE: ; @_ZN7rocprim17ROCPRIM_400000_NS6detail31init_lookback_scan_state_kernelINS1_19lookback_scan_stateImLb0ELb1EEENS1_16block_id_wrapperIjLb0EEEEEvT_jT0_jPNS7_10value_typeE
; %bb.0:
	s_clause 0x3
	s_load_b32 s7, s[0:1], 0x2c
	s_load_b64 s[4:5], s[0:1], 0x18
	s_load_b64 s[2:3], s[0:1], 0x0
	s_load_b32 s6, s[0:1], 0x8
	s_waitcnt lgkmcnt(0)
	s_and_b32 s7, s7, 0xffff
	s_cmp_eq_u64 s[4:5], 0
	v_mad_u64_u32 v[1:2], null, s15, s7, v[0:1]
	s_cbranch_scc1 .LBB36_8
; %bb.1:
	s_load_b32 s0, s[0:1], 0x10
	s_waitcnt lgkmcnt(0)
	s_cmp_lt_u32 s0, s6
	s_cselect_b32 s1, s0, 0
	s_delay_alu instid0(VALU_DEP_1) | instid1(SALU_CYCLE_1)
	v_cmp_eq_u32_e32 vcc_lo, s1, v1
	s_mov_b32 s1, 0
	s_and_saveexec_b32 s7, vcc_lo
	s_cbranch_execz .LBB36_7
; %bb.2:
	s_add_i32 s0, s0, 32
	s_mov_b32 s8, exec_lo
	s_lshl_b64 s[0:1], s[0:1], 4
	v_mov_b32_e32 v6, 0
	s_add_u32 s0, s2, s0
	s_addc_u32 s1, s3, s1
	s_delay_alu instid0(SALU_CYCLE_1) | instskip(SKIP_2) | instid1(VALU_DEP_1)
	v_dual_mov_b32 v3, s1 :: v_dual_mov_b32 v2, s0
	;;#ASMSTART
	global_load_dwordx4 v[2:5], v[2:3] off glc	
s_waitcnt vmcnt(0)
	;;#ASMEND
	v_and_b32_e32 v5, 0xff, v4
	v_cmpx_eq_u64_e32 0, v[5:6]
	s_cbranch_execz .LBB36_6
; %bb.3:
	v_dual_mov_b32 v8, s1 :: v_dual_mov_b32 v7, s0
	s_mov_b32 s0, 0
.LBB36_4:                               ; =>This Inner Loop Header: Depth=1
	;;#ASMSTART
	global_load_dwordx4 v[2:5], v[7:8] off glc	
s_waitcnt vmcnt(0)
	;;#ASMEND
	v_and_b32_e32 v5, 0xff, v4
	s_delay_alu instid0(VALU_DEP_1) | instskip(SKIP_1) | instid1(SALU_CYCLE_1)
	v_cmp_ne_u64_e32 vcc_lo, 0, v[5:6]
	s_or_b32 s0, vcc_lo, s0
	s_and_not1_b32 exec_lo, exec_lo, s0
	s_cbranch_execnz .LBB36_4
; %bb.5:
	s_or_b32 exec_lo, exec_lo, s0
.LBB36_6:
	s_delay_alu instid0(SALU_CYCLE_1)
	s_or_b32 exec_lo, exec_lo, s8
	v_mov_b32_e32 v0, 0
	global_store_b64 v0, v[2:3], s[4:5]
.LBB36_7:
	s_or_b32 exec_lo, exec_lo, s7
.LBB36_8:
	s_delay_alu instid0(SALU_CYCLE_1) | instskip(NEXT) | instid1(VALU_DEP_1)
	s_mov_b32 s0, exec_lo
	v_cmpx_gt_u32_e64 s6, v1
	s_cbranch_execz .LBB36_10
; %bb.9:
	v_dual_mov_b32 v3, 0 :: v_dual_add_nc_u32 v2, 32, v1
	s_delay_alu instid0(VALU_DEP_1) | instskip(SKIP_2) | instid1(VALU_DEP_3)
	v_lshlrev_b64 v[5:6], 4, v[2:3]
	v_mov_b32_e32 v2, v3
	v_mov_b32_e32 v4, v3
	v_add_co_u32 v7, vcc_lo, s2, v5
	s_delay_alu instid0(VALU_DEP_4)
	v_add_co_ci_u32_e32 v8, vcc_lo, s3, v6, vcc_lo
	v_mov_b32_e32 v5, v3
	global_store_b128 v[7:8], v[2:5], off
.LBB36_10:
	s_or_b32 exec_lo, exec_lo, s0
	s_delay_alu instid0(SALU_CYCLE_1)
	s_mov_b32 s0, exec_lo
	v_cmpx_gt_u32_e32 32, v1
	s_cbranch_execz .LBB36_12
; %bb.11:
	v_dual_mov_b32 v2, 0 :: v_dual_mov_b32 v3, 0xff
	s_delay_alu instid0(VALU_DEP_1) | instskip(SKIP_1) | instid1(VALU_DEP_2)
	v_lshlrev_b64 v[4:5], 4, v[1:2]
	v_mov_b32_e32 v1, v2
	v_add_co_u32 v6, vcc_lo, s2, v4
	s_delay_alu instid0(VALU_DEP_3)
	v_add_co_ci_u32_e32 v7, vcc_lo, s3, v5, vcc_lo
	v_mov_b32_e32 v4, v2
	global_store_b128 v[6:7], v[1:4], off
.LBB36_12:
	s_nop 0
	s_sendmsg sendmsg(MSG_DEALLOC_VGPRS)
	s_endpgm
	.section	.rodata,"a",@progbits
	.p2align	6, 0x0
	.amdhsa_kernel _ZN7rocprim17ROCPRIM_400000_NS6detail31init_lookback_scan_state_kernelINS1_19lookback_scan_stateImLb0ELb1EEENS1_16block_id_wrapperIjLb0EEEEEvT_jT0_jPNS7_10value_typeE
		.amdhsa_group_segment_fixed_size 0
		.amdhsa_private_segment_fixed_size 0
		.amdhsa_kernarg_size 288
		.amdhsa_user_sgpr_count 15
		.amdhsa_user_sgpr_dispatch_ptr 0
		.amdhsa_user_sgpr_queue_ptr 0
		.amdhsa_user_sgpr_kernarg_segment_ptr 1
		.amdhsa_user_sgpr_dispatch_id 0
		.amdhsa_user_sgpr_private_segment_size 0
		.amdhsa_wavefront_size32 1
		.amdhsa_uses_dynamic_stack 0
		.amdhsa_enable_private_segment 0
		.amdhsa_system_sgpr_workgroup_id_x 1
		.amdhsa_system_sgpr_workgroup_id_y 0
		.amdhsa_system_sgpr_workgroup_id_z 0
		.amdhsa_system_sgpr_workgroup_info 0
		.amdhsa_system_vgpr_workitem_id 0
		.amdhsa_next_free_vgpr 9
		.amdhsa_next_free_sgpr 16
		.amdhsa_reserve_vcc 1
		.amdhsa_float_round_mode_32 0
		.amdhsa_float_round_mode_16_64 0
		.amdhsa_float_denorm_mode_32 3
		.amdhsa_float_denorm_mode_16_64 3
		.amdhsa_dx10_clamp 1
		.amdhsa_ieee_mode 1
		.amdhsa_fp16_overflow 0
		.amdhsa_workgroup_processor_mode 1
		.amdhsa_memory_ordered 1
		.amdhsa_forward_progress 0
		.amdhsa_shared_vgpr_count 0
		.amdhsa_exception_fp_ieee_invalid_op 0
		.amdhsa_exception_fp_denorm_src 0
		.amdhsa_exception_fp_ieee_div_zero 0
		.amdhsa_exception_fp_ieee_overflow 0
		.amdhsa_exception_fp_ieee_underflow 0
		.amdhsa_exception_fp_ieee_inexact 0
		.amdhsa_exception_int_div_zero 0
	.end_amdhsa_kernel
	.section	.text._ZN7rocprim17ROCPRIM_400000_NS6detail31init_lookback_scan_state_kernelINS1_19lookback_scan_stateImLb0ELb1EEENS1_16block_id_wrapperIjLb0EEEEEvT_jT0_jPNS7_10value_typeE,"axG",@progbits,_ZN7rocprim17ROCPRIM_400000_NS6detail31init_lookback_scan_state_kernelINS1_19lookback_scan_stateImLb0ELb1EEENS1_16block_id_wrapperIjLb0EEEEEvT_jT0_jPNS7_10value_typeE,comdat
.Lfunc_end36:
	.size	_ZN7rocprim17ROCPRIM_400000_NS6detail31init_lookback_scan_state_kernelINS1_19lookback_scan_stateImLb0ELb1EEENS1_16block_id_wrapperIjLb0EEEEEvT_jT0_jPNS7_10value_typeE, .Lfunc_end36-_ZN7rocprim17ROCPRIM_400000_NS6detail31init_lookback_scan_state_kernelINS1_19lookback_scan_stateImLb0ELb1EEENS1_16block_id_wrapperIjLb0EEEEEvT_jT0_jPNS7_10value_typeE
                                        ; -- End function
	.section	.AMDGPU.csdata,"",@progbits
; Kernel info:
; codeLenInByte = 468
; NumSgprs: 18
; NumVgprs: 9
; ScratchSize: 0
; MemoryBound: 0
; FloatMode: 240
; IeeeMode: 1
; LDSByteSize: 0 bytes/workgroup (compile time only)
; SGPRBlocks: 2
; VGPRBlocks: 1
; NumSGPRsForWavesPerEU: 18
; NumVGPRsForWavesPerEU: 9
; Occupancy: 16
; WaveLimiterHint : 0
; COMPUTE_PGM_RSRC2:SCRATCH_EN: 0
; COMPUTE_PGM_RSRC2:USER_SGPR: 15
; COMPUTE_PGM_RSRC2:TRAP_HANDLER: 0
; COMPUTE_PGM_RSRC2:TGID_X_EN: 1
; COMPUTE_PGM_RSRC2:TGID_Y_EN: 0
; COMPUTE_PGM_RSRC2:TGID_Z_EN: 0
; COMPUTE_PGM_RSRC2:TIDIG_COMP_CNT: 0
	.section	.text._ZN7rocprim17ROCPRIM_400000_NS6detail17trampoline_kernelINS0_14default_configENS1_25partition_config_selectorILNS1_17partition_subalgoE5ElNS0_10empty_typeEbEEZZNS1_14partition_implILS5_5ELb0ES3_mN6hipcub16HIPCUB_304000_NS21CountingInputIteratorIllEEPS6_NSA_22TransformInputIteratorIb7NonZeroIaEPalEENS0_5tupleIJPlS6_EEENSJ_IJSD_SD_EEES6_SK_JS6_EEE10hipError_tPvRmT3_T4_T5_T6_T7_T9_mT8_P12ihipStream_tbDpT10_ENKUlT_T0_E_clISt17integral_constantIbLb0EES16_EEDaS11_S12_EUlS11_E_NS1_11comp_targetILNS1_3genE0ELNS1_11target_archE4294967295ELNS1_3gpuE0ELNS1_3repE0EEENS1_30default_config_static_selectorELNS0_4arch9wavefront6targetE0EEEvT1_,"axG",@progbits,_ZN7rocprim17ROCPRIM_400000_NS6detail17trampoline_kernelINS0_14default_configENS1_25partition_config_selectorILNS1_17partition_subalgoE5ElNS0_10empty_typeEbEEZZNS1_14partition_implILS5_5ELb0ES3_mN6hipcub16HIPCUB_304000_NS21CountingInputIteratorIllEEPS6_NSA_22TransformInputIteratorIb7NonZeroIaEPalEENS0_5tupleIJPlS6_EEENSJ_IJSD_SD_EEES6_SK_JS6_EEE10hipError_tPvRmT3_T4_T5_T6_T7_T9_mT8_P12ihipStream_tbDpT10_ENKUlT_T0_E_clISt17integral_constantIbLb0EES16_EEDaS11_S12_EUlS11_E_NS1_11comp_targetILNS1_3genE0ELNS1_11target_archE4294967295ELNS1_3gpuE0ELNS1_3repE0EEENS1_30default_config_static_selectorELNS0_4arch9wavefront6targetE0EEEvT1_,comdat
	.protected	_ZN7rocprim17ROCPRIM_400000_NS6detail17trampoline_kernelINS0_14default_configENS1_25partition_config_selectorILNS1_17partition_subalgoE5ElNS0_10empty_typeEbEEZZNS1_14partition_implILS5_5ELb0ES3_mN6hipcub16HIPCUB_304000_NS21CountingInputIteratorIllEEPS6_NSA_22TransformInputIteratorIb7NonZeroIaEPalEENS0_5tupleIJPlS6_EEENSJ_IJSD_SD_EEES6_SK_JS6_EEE10hipError_tPvRmT3_T4_T5_T6_T7_T9_mT8_P12ihipStream_tbDpT10_ENKUlT_T0_E_clISt17integral_constantIbLb0EES16_EEDaS11_S12_EUlS11_E_NS1_11comp_targetILNS1_3genE0ELNS1_11target_archE4294967295ELNS1_3gpuE0ELNS1_3repE0EEENS1_30default_config_static_selectorELNS0_4arch9wavefront6targetE0EEEvT1_ ; -- Begin function _ZN7rocprim17ROCPRIM_400000_NS6detail17trampoline_kernelINS0_14default_configENS1_25partition_config_selectorILNS1_17partition_subalgoE5ElNS0_10empty_typeEbEEZZNS1_14partition_implILS5_5ELb0ES3_mN6hipcub16HIPCUB_304000_NS21CountingInputIteratorIllEEPS6_NSA_22TransformInputIteratorIb7NonZeroIaEPalEENS0_5tupleIJPlS6_EEENSJ_IJSD_SD_EEES6_SK_JS6_EEE10hipError_tPvRmT3_T4_T5_T6_T7_T9_mT8_P12ihipStream_tbDpT10_ENKUlT_T0_E_clISt17integral_constantIbLb0EES16_EEDaS11_S12_EUlS11_E_NS1_11comp_targetILNS1_3genE0ELNS1_11target_archE4294967295ELNS1_3gpuE0ELNS1_3repE0EEENS1_30default_config_static_selectorELNS0_4arch9wavefront6targetE0EEEvT1_
	.globl	_ZN7rocprim17ROCPRIM_400000_NS6detail17trampoline_kernelINS0_14default_configENS1_25partition_config_selectorILNS1_17partition_subalgoE5ElNS0_10empty_typeEbEEZZNS1_14partition_implILS5_5ELb0ES3_mN6hipcub16HIPCUB_304000_NS21CountingInputIteratorIllEEPS6_NSA_22TransformInputIteratorIb7NonZeroIaEPalEENS0_5tupleIJPlS6_EEENSJ_IJSD_SD_EEES6_SK_JS6_EEE10hipError_tPvRmT3_T4_T5_T6_T7_T9_mT8_P12ihipStream_tbDpT10_ENKUlT_T0_E_clISt17integral_constantIbLb0EES16_EEDaS11_S12_EUlS11_E_NS1_11comp_targetILNS1_3genE0ELNS1_11target_archE4294967295ELNS1_3gpuE0ELNS1_3repE0EEENS1_30default_config_static_selectorELNS0_4arch9wavefront6targetE0EEEvT1_
	.p2align	8
	.type	_ZN7rocprim17ROCPRIM_400000_NS6detail17trampoline_kernelINS0_14default_configENS1_25partition_config_selectorILNS1_17partition_subalgoE5ElNS0_10empty_typeEbEEZZNS1_14partition_implILS5_5ELb0ES3_mN6hipcub16HIPCUB_304000_NS21CountingInputIteratorIllEEPS6_NSA_22TransformInputIteratorIb7NonZeroIaEPalEENS0_5tupleIJPlS6_EEENSJ_IJSD_SD_EEES6_SK_JS6_EEE10hipError_tPvRmT3_T4_T5_T6_T7_T9_mT8_P12ihipStream_tbDpT10_ENKUlT_T0_E_clISt17integral_constantIbLb0EES16_EEDaS11_S12_EUlS11_E_NS1_11comp_targetILNS1_3genE0ELNS1_11target_archE4294967295ELNS1_3gpuE0ELNS1_3repE0EEENS1_30default_config_static_selectorELNS0_4arch9wavefront6targetE0EEEvT1_,@function
_ZN7rocprim17ROCPRIM_400000_NS6detail17trampoline_kernelINS0_14default_configENS1_25partition_config_selectorILNS1_17partition_subalgoE5ElNS0_10empty_typeEbEEZZNS1_14partition_implILS5_5ELb0ES3_mN6hipcub16HIPCUB_304000_NS21CountingInputIteratorIllEEPS6_NSA_22TransformInputIteratorIb7NonZeroIaEPalEENS0_5tupleIJPlS6_EEENSJ_IJSD_SD_EEES6_SK_JS6_EEE10hipError_tPvRmT3_T4_T5_T6_T7_T9_mT8_P12ihipStream_tbDpT10_ENKUlT_T0_E_clISt17integral_constantIbLb0EES16_EEDaS11_S12_EUlS11_E_NS1_11comp_targetILNS1_3genE0ELNS1_11target_archE4294967295ELNS1_3gpuE0ELNS1_3repE0EEENS1_30default_config_static_selectorELNS0_4arch9wavefront6targetE0EEEvT1_: ; @_ZN7rocprim17ROCPRIM_400000_NS6detail17trampoline_kernelINS0_14default_configENS1_25partition_config_selectorILNS1_17partition_subalgoE5ElNS0_10empty_typeEbEEZZNS1_14partition_implILS5_5ELb0ES3_mN6hipcub16HIPCUB_304000_NS21CountingInputIteratorIllEEPS6_NSA_22TransformInputIteratorIb7NonZeroIaEPalEENS0_5tupleIJPlS6_EEENSJ_IJSD_SD_EEES6_SK_JS6_EEE10hipError_tPvRmT3_T4_T5_T6_T7_T9_mT8_P12ihipStream_tbDpT10_ENKUlT_T0_E_clISt17integral_constantIbLb0EES16_EEDaS11_S12_EUlS11_E_NS1_11comp_targetILNS1_3genE0ELNS1_11target_archE4294967295ELNS1_3gpuE0ELNS1_3repE0EEENS1_30default_config_static_selectorELNS0_4arch9wavefront6targetE0EEEvT1_
; %bb.0:
	.section	.rodata,"a",@progbits
	.p2align	6, 0x0
	.amdhsa_kernel _ZN7rocprim17ROCPRIM_400000_NS6detail17trampoline_kernelINS0_14default_configENS1_25partition_config_selectorILNS1_17partition_subalgoE5ElNS0_10empty_typeEbEEZZNS1_14partition_implILS5_5ELb0ES3_mN6hipcub16HIPCUB_304000_NS21CountingInputIteratorIllEEPS6_NSA_22TransformInputIteratorIb7NonZeroIaEPalEENS0_5tupleIJPlS6_EEENSJ_IJSD_SD_EEES6_SK_JS6_EEE10hipError_tPvRmT3_T4_T5_T6_T7_T9_mT8_P12ihipStream_tbDpT10_ENKUlT_T0_E_clISt17integral_constantIbLb0EES16_EEDaS11_S12_EUlS11_E_NS1_11comp_targetILNS1_3genE0ELNS1_11target_archE4294967295ELNS1_3gpuE0ELNS1_3repE0EEENS1_30default_config_static_selectorELNS0_4arch9wavefront6targetE0EEEvT1_
		.amdhsa_group_segment_fixed_size 0
		.amdhsa_private_segment_fixed_size 0
		.amdhsa_kernarg_size 120
		.amdhsa_user_sgpr_count 15
		.amdhsa_user_sgpr_dispatch_ptr 0
		.amdhsa_user_sgpr_queue_ptr 0
		.amdhsa_user_sgpr_kernarg_segment_ptr 1
		.amdhsa_user_sgpr_dispatch_id 0
		.amdhsa_user_sgpr_private_segment_size 0
		.amdhsa_wavefront_size32 1
		.amdhsa_uses_dynamic_stack 0
		.amdhsa_enable_private_segment 0
		.amdhsa_system_sgpr_workgroup_id_x 1
		.amdhsa_system_sgpr_workgroup_id_y 0
		.amdhsa_system_sgpr_workgroup_id_z 0
		.amdhsa_system_sgpr_workgroup_info 0
		.amdhsa_system_vgpr_workitem_id 0
		.amdhsa_next_free_vgpr 1
		.amdhsa_next_free_sgpr 1
		.amdhsa_reserve_vcc 0
		.amdhsa_float_round_mode_32 0
		.amdhsa_float_round_mode_16_64 0
		.amdhsa_float_denorm_mode_32 3
		.amdhsa_float_denorm_mode_16_64 3
		.amdhsa_dx10_clamp 1
		.amdhsa_ieee_mode 1
		.amdhsa_fp16_overflow 0
		.amdhsa_workgroup_processor_mode 1
		.amdhsa_memory_ordered 1
		.amdhsa_forward_progress 0
		.amdhsa_shared_vgpr_count 0
		.amdhsa_exception_fp_ieee_invalid_op 0
		.amdhsa_exception_fp_denorm_src 0
		.amdhsa_exception_fp_ieee_div_zero 0
		.amdhsa_exception_fp_ieee_overflow 0
		.amdhsa_exception_fp_ieee_underflow 0
		.amdhsa_exception_fp_ieee_inexact 0
		.amdhsa_exception_int_div_zero 0
	.end_amdhsa_kernel
	.section	.text._ZN7rocprim17ROCPRIM_400000_NS6detail17trampoline_kernelINS0_14default_configENS1_25partition_config_selectorILNS1_17partition_subalgoE5ElNS0_10empty_typeEbEEZZNS1_14partition_implILS5_5ELb0ES3_mN6hipcub16HIPCUB_304000_NS21CountingInputIteratorIllEEPS6_NSA_22TransformInputIteratorIb7NonZeroIaEPalEENS0_5tupleIJPlS6_EEENSJ_IJSD_SD_EEES6_SK_JS6_EEE10hipError_tPvRmT3_T4_T5_T6_T7_T9_mT8_P12ihipStream_tbDpT10_ENKUlT_T0_E_clISt17integral_constantIbLb0EES16_EEDaS11_S12_EUlS11_E_NS1_11comp_targetILNS1_3genE0ELNS1_11target_archE4294967295ELNS1_3gpuE0ELNS1_3repE0EEENS1_30default_config_static_selectorELNS0_4arch9wavefront6targetE0EEEvT1_,"axG",@progbits,_ZN7rocprim17ROCPRIM_400000_NS6detail17trampoline_kernelINS0_14default_configENS1_25partition_config_selectorILNS1_17partition_subalgoE5ElNS0_10empty_typeEbEEZZNS1_14partition_implILS5_5ELb0ES3_mN6hipcub16HIPCUB_304000_NS21CountingInputIteratorIllEEPS6_NSA_22TransformInputIteratorIb7NonZeroIaEPalEENS0_5tupleIJPlS6_EEENSJ_IJSD_SD_EEES6_SK_JS6_EEE10hipError_tPvRmT3_T4_T5_T6_T7_T9_mT8_P12ihipStream_tbDpT10_ENKUlT_T0_E_clISt17integral_constantIbLb0EES16_EEDaS11_S12_EUlS11_E_NS1_11comp_targetILNS1_3genE0ELNS1_11target_archE4294967295ELNS1_3gpuE0ELNS1_3repE0EEENS1_30default_config_static_selectorELNS0_4arch9wavefront6targetE0EEEvT1_,comdat
.Lfunc_end37:
	.size	_ZN7rocprim17ROCPRIM_400000_NS6detail17trampoline_kernelINS0_14default_configENS1_25partition_config_selectorILNS1_17partition_subalgoE5ElNS0_10empty_typeEbEEZZNS1_14partition_implILS5_5ELb0ES3_mN6hipcub16HIPCUB_304000_NS21CountingInputIteratorIllEEPS6_NSA_22TransformInputIteratorIb7NonZeroIaEPalEENS0_5tupleIJPlS6_EEENSJ_IJSD_SD_EEES6_SK_JS6_EEE10hipError_tPvRmT3_T4_T5_T6_T7_T9_mT8_P12ihipStream_tbDpT10_ENKUlT_T0_E_clISt17integral_constantIbLb0EES16_EEDaS11_S12_EUlS11_E_NS1_11comp_targetILNS1_3genE0ELNS1_11target_archE4294967295ELNS1_3gpuE0ELNS1_3repE0EEENS1_30default_config_static_selectorELNS0_4arch9wavefront6targetE0EEEvT1_, .Lfunc_end37-_ZN7rocprim17ROCPRIM_400000_NS6detail17trampoline_kernelINS0_14default_configENS1_25partition_config_selectorILNS1_17partition_subalgoE5ElNS0_10empty_typeEbEEZZNS1_14partition_implILS5_5ELb0ES3_mN6hipcub16HIPCUB_304000_NS21CountingInputIteratorIllEEPS6_NSA_22TransformInputIteratorIb7NonZeroIaEPalEENS0_5tupleIJPlS6_EEENSJ_IJSD_SD_EEES6_SK_JS6_EEE10hipError_tPvRmT3_T4_T5_T6_T7_T9_mT8_P12ihipStream_tbDpT10_ENKUlT_T0_E_clISt17integral_constantIbLb0EES16_EEDaS11_S12_EUlS11_E_NS1_11comp_targetILNS1_3genE0ELNS1_11target_archE4294967295ELNS1_3gpuE0ELNS1_3repE0EEENS1_30default_config_static_selectorELNS0_4arch9wavefront6targetE0EEEvT1_
                                        ; -- End function
	.section	.AMDGPU.csdata,"",@progbits
; Kernel info:
; codeLenInByte = 0
; NumSgprs: 0
; NumVgprs: 0
; ScratchSize: 0
; MemoryBound: 0
; FloatMode: 240
; IeeeMode: 1
; LDSByteSize: 0 bytes/workgroup (compile time only)
; SGPRBlocks: 0
; VGPRBlocks: 0
; NumSGPRsForWavesPerEU: 1
; NumVGPRsForWavesPerEU: 1
; Occupancy: 16
; WaveLimiterHint : 0
; COMPUTE_PGM_RSRC2:SCRATCH_EN: 0
; COMPUTE_PGM_RSRC2:USER_SGPR: 15
; COMPUTE_PGM_RSRC2:TRAP_HANDLER: 0
; COMPUTE_PGM_RSRC2:TGID_X_EN: 1
; COMPUTE_PGM_RSRC2:TGID_Y_EN: 0
; COMPUTE_PGM_RSRC2:TGID_Z_EN: 0
; COMPUTE_PGM_RSRC2:TIDIG_COMP_CNT: 0
	.section	.text._ZN7rocprim17ROCPRIM_400000_NS6detail17trampoline_kernelINS0_14default_configENS1_25partition_config_selectorILNS1_17partition_subalgoE5ElNS0_10empty_typeEbEEZZNS1_14partition_implILS5_5ELb0ES3_mN6hipcub16HIPCUB_304000_NS21CountingInputIteratorIllEEPS6_NSA_22TransformInputIteratorIb7NonZeroIaEPalEENS0_5tupleIJPlS6_EEENSJ_IJSD_SD_EEES6_SK_JS6_EEE10hipError_tPvRmT3_T4_T5_T6_T7_T9_mT8_P12ihipStream_tbDpT10_ENKUlT_T0_E_clISt17integral_constantIbLb0EES16_EEDaS11_S12_EUlS11_E_NS1_11comp_targetILNS1_3genE5ELNS1_11target_archE942ELNS1_3gpuE9ELNS1_3repE0EEENS1_30default_config_static_selectorELNS0_4arch9wavefront6targetE0EEEvT1_,"axG",@progbits,_ZN7rocprim17ROCPRIM_400000_NS6detail17trampoline_kernelINS0_14default_configENS1_25partition_config_selectorILNS1_17partition_subalgoE5ElNS0_10empty_typeEbEEZZNS1_14partition_implILS5_5ELb0ES3_mN6hipcub16HIPCUB_304000_NS21CountingInputIteratorIllEEPS6_NSA_22TransformInputIteratorIb7NonZeroIaEPalEENS0_5tupleIJPlS6_EEENSJ_IJSD_SD_EEES6_SK_JS6_EEE10hipError_tPvRmT3_T4_T5_T6_T7_T9_mT8_P12ihipStream_tbDpT10_ENKUlT_T0_E_clISt17integral_constantIbLb0EES16_EEDaS11_S12_EUlS11_E_NS1_11comp_targetILNS1_3genE5ELNS1_11target_archE942ELNS1_3gpuE9ELNS1_3repE0EEENS1_30default_config_static_selectorELNS0_4arch9wavefront6targetE0EEEvT1_,comdat
	.protected	_ZN7rocprim17ROCPRIM_400000_NS6detail17trampoline_kernelINS0_14default_configENS1_25partition_config_selectorILNS1_17partition_subalgoE5ElNS0_10empty_typeEbEEZZNS1_14partition_implILS5_5ELb0ES3_mN6hipcub16HIPCUB_304000_NS21CountingInputIteratorIllEEPS6_NSA_22TransformInputIteratorIb7NonZeroIaEPalEENS0_5tupleIJPlS6_EEENSJ_IJSD_SD_EEES6_SK_JS6_EEE10hipError_tPvRmT3_T4_T5_T6_T7_T9_mT8_P12ihipStream_tbDpT10_ENKUlT_T0_E_clISt17integral_constantIbLb0EES16_EEDaS11_S12_EUlS11_E_NS1_11comp_targetILNS1_3genE5ELNS1_11target_archE942ELNS1_3gpuE9ELNS1_3repE0EEENS1_30default_config_static_selectorELNS0_4arch9wavefront6targetE0EEEvT1_ ; -- Begin function _ZN7rocprim17ROCPRIM_400000_NS6detail17trampoline_kernelINS0_14default_configENS1_25partition_config_selectorILNS1_17partition_subalgoE5ElNS0_10empty_typeEbEEZZNS1_14partition_implILS5_5ELb0ES3_mN6hipcub16HIPCUB_304000_NS21CountingInputIteratorIllEEPS6_NSA_22TransformInputIteratorIb7NonZeroIaEPalEENS0_5tupleIJPlS6_EEENSJ_IJSD_SD_EEES6_SK_JS6_EEE10hipError_tPvRmT3_T4_T5_T6_T7_T9_mT8_P12ihipStream_tbDpT10_ENKUlT_T0_E_clISt17integral_constantIbLb0EES16_EEDaS11_S12_EUlS11_E_NS1_11comp_targetILNS1_3genE5ELNS1_11target_archE942ELNS1_3gpuE9ELNS1_3repE0EEENS1_30default_config_static_selectorELNS0_4arch9wavefront6targetE0EEEvT1_
	.globl	_ZN7rocprim17ROCPRIM_400000_NS6detail17trampoline_kernelINS0_14default_configENS1_25partition_config_selectorILNS1_17partition_subalgoE5ElNS0_10empty_typeEbEEZZNS1_14partition_implILS5_5ELb0ES3_mN6hipcub16HIPCUB_304000_NS21CountingInputIteratorIllEEPS6_NSA_22TransformInputIteratorIb7NonZeroIaEPalEENS0_5tupleIJPlS6_EEENSJ_IJSD_SD_EEES6_SK_JS6_EEE10hipError_tPvRmT3_T4_T5_T6_T7_T9_mT8_P12ihipStream_tbDpT10_ENKUlT_T0_E_clISt17integral_constantIbLb0EES16_EEDaS11_S12_EUlS11_E_NS1_11comp_targetILNS1_3genE5ELNS1_11target_archE942ELNS1_3gpuE9ELNS1_3repE0EEENS1_30default_config_static_selectorELNS0_4arch9wavefront6targetE0EEEvT1_
	.p2align	8
	.type	_ZN7rocprim17ROCPRIM_400000_NS6detail17trampoline_kernelINS0_14default_configENS1_25partition_config_selectorILNS1_17partition_subalgoE5ElNS0_10empty_typeEbEEZZNS1_14partition_implILS5_5ELb0ES3_mN6hipcub16HIPCUB_304000_NS21CountingInputIteratorIllEEPS6_NSA_22TransformInputIteratorIb7NonZeroIaEPalEENS0_5tupleIJPlS6_EEENSJ_IJSD_SD_EEES6_SK_JS6_EEE10hipError_tPvRmT3_T4_T5_T6_T7_T9_mT8_P12ihipStream_tbDpT10_ENKUlT_T0_E_clISt17integral_constantIbLb0EES16_EEDaS11_S12_EUlS11_E_NS1_11comp_targetILNS1_3genE5ELNS1_11target_archE942ELNS1_3gpuE9ELNS1_3repE0EEENS1_30default_config_static_selectorELNS0_4arch9wavefront6targetE0EEEvT1_,@function
_ZN7rocprim17ROCPRIM_400000_NS6detail17trampoline_kernelINS0_14default_configENS1_25partition_config_selectorILNS1_17partition_subalgoE5ElNS0_10empty_typeEbEEZZNS1_14partition_implILS5_5ELb0ES3_mN6hipcub16HIPCUB_304000_NS21CountingInputIteratorIllEEPS6_NSA_22TransformInputIteratorIb7NonZeroIaEPalEENS0_5tupleIJPlS6_EEENSJ_IJSD_SD_EEES6_SK_JS6_EEE10hipError_tPvRmT3_T4_T5_T6_T7_T9_mT8_P12ihipStream_tbDpT10_ENKUlT_T0_E_clISt17integral_constantIbLb0EES16_EEDaS11_S12_EUlS11_E_NS1_11comp_targetILNS1_3genE5ELNS1_11target_archE942ELNS1_3gpuE9ELNS1_3repE0EEENS1_30default_config_static_selectorELNS0_4arch9wavefront6targetE0EEEvT1_: ; @_ZN7rocprim17ROCPRIM_400000_NS6detail17trampoline_kernelINS0_14default_configENS1_25partition_config_selectorILNS1_17partition_subalgoE5ElNS0_10empty_typeEbEEZZNS1_14partition_implILS5_5ELb0ES3_mN6hipcub16HIPCUB_304000_NS21CountingInputIteratorIllEEPS6_NSA_22TransformInputIteratorIb7NonZeroIaEPalEENS0_5tupleIJPlS6_EEENSJ_IJSD_SD_EEES6_SK_JS6_EEE10hipError_tPvRmT3_T4_T5_T6_T7_T9_mT8_P12ihipStream_tbDpT10_ENKUlT_T0_E_clISt17integral_constantIbLb0EES16_EEDaS11_S12_EUlS11_E_NS1_11comp_targetILNS1_3genE5ELNS1_11target_archE942ELNS1_3gpuE9ELNS1_3repE0EEENS1_30default_config_static_selectorELNS0_4arch9wavefront6targetE0EEEvT1_
; %bb.0:
	.section	.rodata,"a",@progbits
	.p2align	6, 0x0
	.amdhsa_kernel _ZN7rocprim17ROCPRIM_400000_NS6detail17trampoline_kernelINS0_14default_configENS1_25partition_config_selectorILNS1_17partition_subalgoE5ElNS0_10empty_typeEbEEZZNS1_14partition_implILS5_5ELb0ES3_mN6hipcub16HIPCUB_304000_NS21CountingInputIteratorIllEEPS6_NSA_22TransformInputIteratorIb7NonZeroIaEPalEENS0_5tupleIJPlS6_EEENSJ_IJSD_SD_EEES6_SK_JS6_EEE10hipError_tPvRmT3_T4_T5_T6_T7_T9_mT8_P12ihipStream_tbDpT10_ENKUlT_T0_E_clISt17integral_constantIbLb0EES16_EEDaS11_S12_EUlS11_E_NS1_11comp_targetILNS1_3genE5ELNS1_11target_archE942ELNS1_3gpuE9ELNS1_3repE0EEENS1_30default_config_static_selectorELNS0_4arch9wavefront6targetE0EEEvT1_
		.amdhsa_group_segment_fixed_size 0
		.amdhsa_private_segment_fixed_size 0
		.amdhsa_kernarg_size 120
		.amdhsa_user_sgpr_count 15
		.amdhsa_user_sgpr_dispatch_ptr 0
		.amdhsa_user_sgpr_queue_ptr 0
		.amdhsa_user_sgpr_kernarg_segment_ptr 1
		.amdhsa_user_sgpr_dispatch_id 0
		.amdhsa_user_sgpr_private_segment_size 0
		.amdhsa_wavefront_size32 1
		.amdhsa_uses_dynamic_stack 0
		.amdhsa_enable_private_segment 0
		.amdhsa_system_sgpr_workgroup_id_x 1
		.amdhsa_system_sgpr_workgroup_id_y 0
		.amdhsa_system_sgpr_workgroup_id_z 0
		.amdhsa_system_sgpr_workgroup_info 0
		.amdhsa_system_vgpr_workitem_id 0
		.amdhsa_next_free_vgpr 1
		.amdhsa_next_free_sgpr 1
		.amdhsa_reserve_vcc 0
		.amdhsa_float_round_mode_32 0
		.amdhsa_float_round_mode_16_64 0
		.amdhsa_float_denorm_mode_32 3
		.amdhsa_float_denorm_mode_16_64 3
		.amdhsa_dx10_clamp 1
		.amdhsa_ieee_mode 1
		.amdhsa_fp16_overflow 0
		.amdhsa_workgroup_processor_mode 1
		.amdhsa_memory_ordered 1
		.amdhsa_forward_progress 0
		.amdhsa_shared_vgpr_count 0
		.amdhsa_exception_fp_ieee_invalid_op 0
		.amdhsa_exception_fp_denorm_src 0
		.amdhsa_exception_fp_ieee_div_zero 0
		.amdhsa_exception_fp_ieee_overflow 0
		.amdhsa_exception_fp_ieee_underflow 0
		.amdhsa_exception_fp_ieee_inexact 0
		.amdhsa_exception_int_div_zero 0
	.end_amdhsa_kernel
	.section	.text._ZN7rocprim17ROCPRIM_400000_NS6detail17trampoline_kernelINS0_14default_configENS1_25partition_config_selectorILNS1_17partition_subalgoE5ElNS0_10empty_typeEbEEZZNS1_14partition_implILS5_5ELb0ES3_mN6hipcub16HIPCUB_304000_NS21CountingInputIteratorIllEEPS6_NSA_22TransformInputIteratorIb7NonZeroIaEPalEENS0_5tupleIJPlS6_EEENSJ_IJSD_SD_EEES6_SK_JS6_EEE10hipError_tPvRmT3_T4_T5_T6_T7_T9_mT8_P12ihipStream_tbDpT10_ENKUlT_T0_E_clISt17integral_constantIbLb0EES16_EEDaS11_S12_EUlS11_E_NS1_11comp_targetILNS1_3genE5ELNS1_11target_archE942ELNS1_3gpuE9ELNS1_3repE0EEENS1_30default_config_static_selectorELNS0_4arch9wavefront6targetE0EEEvT1_,"axG",@progbits,_ZN7rocprim17ROCPRIM_400000_NS6detail17trampoline_kernelINS0_14default_configENS1_25partition_config_selectorILNS1_17partition_subalgoE5ElNS0_10empty_typeEbEEZZNS1_14partition_implILS5_5ELb0ES3_mN6hipcub16HIPCUB_304000_NS21CountingInputIteratorIllEEPS6_NSA_22TransformInputIteratorIb7NonZeroIaEPalEENS0_5tupleIJPlS6_EEENSJ_IJSD_SD_EEES6_SK_JS6_EEE10hipError_tPvRmT3_T4_T5_T6_T7_T9_mT8_P12ihipStream_tbDpT10_ENKUlT_T0_E_clISt17integral_constantIbLb0EES16_EEDaS11_S12_EUlS11_E_NS1_11comp_targetILNS1_3genE5ELNS1_11target_archE942ELNS1_3gpuE9ELNS1_3repE0EEENS1_30default_config_static_selectorELNS0_4arch9wavefront6targetE0EEEvT1_,comdat
.Lfunc_end38:
	.size	_ZN7rocprim17ROCPRIM_400000_NS6detail17trampoline_kernelINS0_14default_configENS1_25partition_config_selectorILNS1_17partition_subalgoE5ElNS0_10empty_typeEbEEZZNS1_14partition_implILS5_5ELb0ES3_mN6hipcub16HIPCUB_304000_NS21CountingInputIteratorIllEEPS6_NSA_22TransformInputIteratorIb7NonZeroIaEPalEENS0_5tupleIJPlS6_EEENSJ_IJSD_SD_EEES6_SK_JS6_EEE10hipError_tPvRmT3_T4_T5_T6_T7_T9_mT8_P12ihipStream_tbDpT10_ENKUlT_T0_E_clISt17integral_constantIbLb0EES16_EEDaS11_S12_EUlS11_E_NS1_11comp_targetILNS1_3genE5ELNS1_11target_archE942ELNS1_3gpuE9ELNS1_3repE0EEENS1_30default_config_static_selectorELNS0_4arch9wavefront6targetE0EEEvT1_, .Lfunc_end38-_ZN7rocprim17ROCPRIM_400000_NS6detail17trampoline_kernelINS0_14default_configENS1_25partition_config_selectorILNS1_17partition_subalgoE5ElNS0_10empty_typeEbEEZZNS1_14partition_implILS5_5ELb0ES3_mN6hipcub16HIPCUB_304000_NS21CountingInputIteratorIllEEPS6_NSA_22TransformInputIteratorIb7NonZeroIaEPalEENS0_5tupleIJPlS6_EEENSJ_IJSD_SD_EEES6_SK_JS6_EEE10hipError_tPvRmT3_T4_T5_T6_T7_T9_mT8_P12ihipStream_tbDpT10_ENKUlT_T0_E_clISt17integral_constantIbLb0EES16_EEDaS11_S12_EUlS11_E_NS1_11comp_targetILNS1_3genE5ELNS1_11target_archE942ELNS1_3gpuE9ELNS1_3repE0EEENS1_30default_config_static_selectorELNS0_4arch9wavefront6targetE0EEEvT1_
                                        ; -- End function
	.section	.AMDGPU.csdata,"",@progbits
; Kernel info:
; codeLenInByte = 0
; NumSgprs: 0
; NumVgprs: 0
; ScratchSize: 0
; MemoryBound: 0
; FloatMode: 240
; IeeeMode: 1
; LDSByteSize: 0 bytes/workgroup (compile time only)
; SGPRBlocks: 0
; VGPRBlocks: 0
; NumSGPRsForWavesPerEU: 1
; NumVGPRsForWavesPerEU: 1
; Occupancy: 16
; WaveLimiterHint : 0
; COMPUTE_PGM_RSRC2:SCRATCH_EN: 0
; COMPUTE_PGM_RSRC2:USER_SGPR: 15
; COMPUTE_PGM_RSRC2:TRAP_HANDLER: 0
; COMPUTE_PGM_RSRC2:TGID_X_EN: 1
; COMPUTE_PGM_RSRC2:TGID_Y_EN: 0
; COMPUTE_PGM_RSRC2:TGID_Z_EN: 0
; COMPUTE_PGM_RSRC2:TIDIG_COMP_CNT: 0
	.section	.text._ZN7rocprim17ROCPRIM_400000_NS6detail17trampoline_kernelINS0_14default_configENS1_25partition_config_selectorILNS1_17partition_subalgoE5ElNS0_10empty_typeEbEEZZNS1_14partition_implILS5_5ELb0ES3_mN6hipcub16HIPCUB_304000_NS21CountingInputIteratorIllEEPS6_NSA_22TransformInputIteratorIb7NonZeroIaEPalEENS0_5tupleIJPlS6_EEENSJ_IJSD_SD_EEES6_SK_JS6_EEE10hipError_tPvRmT3_T4_T5_T6_T7_T9_mT8_P12ihipStream_tbDpT10_ENKUlT_T0_E_clISt17integral_constantIbLb0EES16_EEDaS11_S12_EUlS11_E_NS1_11comp_targetILNS1_3genE4ELNS1_11target_archE910ELNS1_3gpuE8ELNS1_3repE0EEENS1_30default_config_static_selectorELNS0_4arch9wavefront6targetE0EEEvT1_,"axG",@progbits,_ZN7rocprim17ROCPRIM_400000_NS6detail17trampoline_kernelINS0_14default_configENS1_25partition_config_selectorILNS1_17partition_subalgoE5ElNS0_10empty_typeEbEEZZNS1_14partition_implILS5_5ELb0ES3_mN6hipcub16HIPCUB_304000_NS21CountingInputIteratorIllEEPS6_NSA_22TransformInputIteratorIb7NonZeroIaEPalEENS0_5tupleIJPlS6_EEENSJ_IJSD_SD_EEES6_SK_JS6_EEE10hipError_tPvRmT3_T4_T5_T6_T7_T9_mT8_P12ihipStream_tbDpT10_ENKUlT_T0_E_clISt17integral_constantIbLb0EES16_EEDaS11_S12_EUlS11_E_NS1_11comp_targetILNS1_3genE4ELNS1_11target_archE910ELNS1_3gpuE8ELNS1_3repE0EEENS1_30default_config_static_selectorELNS0_4arch9wavefront6targetE0EEEvT1_,comdat
	.protected	_ZN7rocprim17ROCPRIM_400000_NS6detail17trampoline_kernelINS0_14default_configENS1_25partition_config_selectorILNS1_17partition_subalgoE5ElNS0_10empty_typeEbEEZZNS1_14partition_implILS5_5ELb0ES3_mN6hipcub16HIPCUB_304000_NS21CountingInputIteratorIllEEPS6_NSA_22TransformInputIteratorIb7NonZeroIaEPalEENS0_5tupleIJPlS6_EEENSJ_IJSD_SD_EEES6_SK_JS6_EEE10hipError_tPvRmT3_T4_T5_T6_T7_T9_mT8_P12ihipStream_tbDpT10_ENKUlT_T0_E_clISt17integral_constantIbLb0EES16_EEDaS11_S12_EUlS11_E_NS1_11comp_targetILNS1_3genE4ELNS1_11target_archE910ELNS1_3gpuE8ELNS1_3repE0EEENS1_30default_config_static_selectorELNS0_4arch9wavefront6targetE0EEEvT1_ ; -- Begin function _ZN7rocprim17ROCPRIM_400000_NS6detail17trampoline_kernelINS0_14default_configENS1_25partition_config_selectorILNS1_17partition_subalgoE5ElNS0_10empty_typeEbEEZZNS1_14partition_implILS5_5ELb0ES3_mN6hipcub16HIPCUB_304000_NS21CountingInputIteratorIllEEPS6_NSA_22TransformInputIteratorIb7NonZeroIaEPalEENS0_5tupleIJPlS6_EEENSJ_IJSD_SD_EEES6_SK_JS6_EEE10hipError_tPvRmT3_T4_T5_T6_T7_T9_mT8_P12ihipStream_tbDpT10_ENKUlT_T0_E_clISt17integral_constantIbLb0EES16_EEDaS11_S12_EUlS11_E_NS1_11comp_targetILNS1_3genE4ELNS1_11target_archE910ELNS1_3gpuE8ELNS1_3repE0EEENS1_30default_config_static_selectorELNS0_4arch9wavefront6targetE0EEEvT1_
	.globl	_ZN7rocprim17ROCPRIM_400000_NS6detail17trampoline_kernelINS0_14default_configENS1_25partition_config_selectorILNS1_17partition_subalgoE5ElNS0_10empty_typeEbEEZZNS1_14partition_implILS5_5ELb0ES3_mN6hipcub16HIPCUB_304000_NS21CountingInputIteratorIllEEPS6_NSA_22TransformInputIteratorIb7NonZeroIaEPalEENS0_5tupleIJPlS6_EEENSJ_IJSD_SD_EEES6_SK_JS6_EEE10hipError_tPvRmT3_T4_T5_T6_T7_T9_mT8_P12ihipStream_tbDpT10_ENKUlT_T0_E_clISt17integral_constantIbLb0EES16_EEDaS11_S12_EUlS11_E_NS1_11comp_targetILNS1_3genE4ELNS1_11target_archE910ELNS1_3gpuE8ELNS1_3repE0EEENS1_30default_config_static_selectorELNS0_4arch9wavefront6targetE0EEEvT1_
	.p2align	8
	.type	_ZN7rocprim17ROCPRIM_400000_NS6detail17trampoline_kernelINS0_14default_configENS1_25partition_config_selectorILNS1_17partition_subalgoE5ElNS0_10empty_typeEbEEZZNS1_14partition_implILS5_5ELb0ES3_mN6hipcub16HIPCUB_304000_NS21CountingInputIteratorIllEEPS6_NSA_22TransformInputIteratorIb7NonZeroIaEPalEENS0_5tupleIJPlS6_EEENSJ_IJSD_SD_EEES6_SK_JS6_EEE10hipError_tPvRmT3_T4_T5_T6_T7_T9_mT8_P12ihipStream_tbDpT10_ENKUlT_T0_E_clISt17integral_constantIbLb0EES16_EEDaS11_S12_EUlS11_E_NS1_11comp_targetILNS1_3genE4ELNS1_11target_archE910ELNS1_3gpuE8ELNS1_3repE0EEENS1_30default_config_static_selectorELNS0_4arch9wavefront6targetE0EEEvT1_,@function
_ZN7rocprim17ROCPRIM_400000_NS6detail17trampoline_kernelINS0_14default_configENS1_25partition_config_selectorILNS1_17partition_subalgoE5ElNS0_10empty_typeEbEEZZNS1_14partition_implILS5_5ELb0ES3_mN6hipcub16HIPCUB_304000_NS21CountingInputIteratorIllEEPS6_NSA_22TransformInputIteratorIb7NonZeroIaEPalEENS0_5tupleIJPlS6_EEENSJ_IJSD_SD_EEES6_SK_JS6_EEE10hipError_tPvRmT3_T4_T5_T6_T7_T9_mT8_P12ihipStream_tbDpT10_ENKUlT_T0_E_clISt17integral_constantIbLb0EES16_EEDaS11_S12_EUlS11_E_NS1_11comp_targetILNS1_3genE4ELNS1_11target_archE910ELNS1_3gpuE8ELNS1_3repE0EEENS1_30default_config_static_selectorELNS0_4arch9wavefront6targetE0EEEvT1_: ; @_ZN7rocprim17ROCPRIM_400000_NS6detail17trampoline_kernelINS0_14default_configENS1_25partition_config_selectorILNS1_17partition_subalgoE5ElNS0_10empty_typeEbEEZZNS1_14partition_implILS5_5ELb0ES3_mN6hipcub16HIPCUB_304000_NS21CountingInputIteratorIllEEPS6_NSA_22TransformInputIteratorIb7NonZeroIaEPalEENS0_5tupleIJPlS6_EEENSJ_IJSD_SD_EEES6_SK_JS6_EEE10hipError_tPvRmT3_T4_T5_T6_T7_T9_mT8_P12ihipStream_tbDpT10_ENKUlT_T0_E_clISt17integral_constantIbLb0EES16_EEDaS11_S12_EUlS11_E_NS1_11comp_targetILNS1_3genE4ELNS1_11target_archE910ELNS1_3gpuE8ELNS1_3repE0EEENS1_30default_config_static_selectorELNS0_4arch9wavefront6targetE0EEEvT1_
; %bb.0:
	.section	.rodata,"a",@progbits
	.p2align	6, 0x0
	.amdhsa_kernel _ZN7rocprim17ROCPRIM_400000_NS6detail17trampoline_kernelINS0_14default_configENS1_25partition_config_selectorILNS1_17partition_subalgoE5ElNS0_10empty_typeEbEEZZNS1_14partition_implILS5_5ELb0ES3_mN6hipcub16HIPCUB_304000_NS21CountingInputIteratorIllEEPS6_NSA_22TransformInputIteratorIb7NonZeroIaEPalEENS0_5tupleIJPlS6_EEENSJ_IJSD_SD_EEES6_SK_JS6_EEE10hipError_tPvRmT3_T4_T5_T6_T7_T9_mT8_P12ihipStream_tbDpT10_ENKUlT_T0_E_clISt17integral_constantIbLb0EES16_EEDaS11_S12_EUlS11_E_NS1_11comp_targetILNS1_3genE4ELNS1_11target_archE910ELNS1_3gpuE8ELNS1_3repE0EEENS1_30default_config_static_selectorELNS0_4arch9wavefront6targetE0EEEvT1_
		.amdhsa_group_segment_fixed_size 0
		.amdhsa_private_segment_fixed_size 0
		.amdhsa_kernarg_size 120
		.amdhsa_user_sgpr_count 15
		.amdhsa_user_sgpr_dispatch_ptr 0
		.amdhsa_user_sgpr_queue_ptr 0
		.amdhsa_user_sgpr_kernarg_segment_ptr 1
		.amdhsa_user_sgpr_dispatch_id 0
		.amdhsa_user_sgpr_private_segment_size 0
		.amdhsa_wavefront_size32 1
		.amdhsa_uses_dynamic_stack 0
		.amdhsa_enable_private_segment 0
		.amdhsa_system_sgpr_workgroup_id_x 1
		.amdhsa_system_sgpr_workgroup_id_y 0
		.amdhsa_system_sgpr_workgroup_id_z 0
		.amdhsa_system_sgpr_workgroup_info 0
		.amdhsa_system_vgpr_workitem_id 0
		.amdhsa_next_free_vgpr 1
		.amdhsa_next_free_sgpr 1
		.amdhsa_reserve_vcc 0
		.amdhsa_float_round_mode_32 0
		.amdhsa_float_round_mode_16_64 0
		.amdhsa_float_denorm_mode_32 3
		.amdhsa_float_denorm_mode_16_64 3
		.amdhsa_dx10_clamp 1
		.amdhsa_ieee_mode 1
		.amdhsa_fp16_overflow 0
		.amdhsa_workgroup_processor_mode 1
		.amdhsa_memory_ordered 1
		.amdhsa_forward_progress 0
		.amdhsa_shared_vgpr_count 0
		.amdhsa_exception_fp_ieee_invalid_op 0
		.amdhsa_exception_fp_denorm_src 0
		.amdhsa_exception_fp_ieee_div_zero 0
		.amdhsa_exception_fp_ieee_overflow 0
		.amdhsa_exception_fp_ieee_underflow 0
		.amdhsa_exception_fp_ieee_inexact 0
		.amdhsa_exception_int_div_zero 0
	.end_amdhsa_kernel
	.section	.text._ZN7rocprim17ROCPRIM_400000_NS6detail17trampoline_kernelINS0_14default_configENS1_25partition_config_selectorILNS1_17partition_subalgoE5ElNS0_10empty_typeEbEEZZNS1_14partition_implILS5_5ELb0ES3_mN6hipcub16HIPCUB_304000_NS21CountingInputIteratorIllEEPS6_NSA_22TransformInputIteratorIb7NonZeroIaEPalEENS0_5tupleIJPlS6_EEENSJ_IJSD_SD_EEES6_SK_JS6_EEE10hipError_tPvRmT3_T4_T5_T6_T7_T9_mT8_P12ihipStream_tbDpT10_ENKUlT_T0_E_clISt17integral_constantIbLb0EES16_EEDaS11_S12_EUlS11_E_NS1_11comp_targetILNS1_3genE4ELNS1_11target_archE910ELNS1_3gpuE8ELNS1_3repE0EEENS1_30default_config_static_selectorELNS0_4arch9wavefront6targetE0EEEvT1_,"axG",@progbits,_ZN7rocprim17ROCPRIM_400000_NS6detail17trampoline_kernelINS0_14default_configENS1_25partition_config_selectorILNS1_17partition_subalgoE5ElNS0_10empty_typeEbEEZZNS1_14partition_implILS5_5ELb0ES3_mN6hipcub16HIPCUB_304000_NS21CountingInputIteratorIllEEPS6_NSA_22TransformInputIteratorIb7NonZeroIaEPalEENS0_5tupleIJPlS6_EEENSJ_IJSD_SD_EEES6_SK_JS6_EEE10hipError_tPvRmT3_T4_T5_T6_T7_T9_mT8_P12ihipStream_tbDpT10_ENKUlT_T0_E_clISt17integral_constantIbLb0EES16_EEDaS11_S12_EUlS11_E_NS1_11comp_targetILNS1_3genE4ELNS1_11target_archE910ELNS1_3gpuE8ELNS1_3repE0EEENS1_30default_config_static_selectorELNS0_4arch9wavefront6targetE0EEEvT1_,comdat
.Lfunc_end39:
	.size	_ZN7rocprim17ROCPRIM_400000_NS6detail17trampoline_kernelINS0_14default_configENS1_25partition_config_selectorILNS1_17partition_subalgoE5ElNS0_10empty_typeEbEEZZNS1_14partition_implILS5_5ELb0ES3_mN6hipcub16HIPCUB_304000_NS21CountingInputIteratorIllEEPS6_NSA_22TransformInputIteratorIb7NonZeroIaEPalEENS0_5tupleIJPlS6_EEENSJ_IJSD_SD_EEES6_SK_JS6_EEE10hipError_tPvRmT3_T4_T5_T6_T7_T9_mT8_P12ihipStream_tbDpT10_ENKUlT_T0_E_clISt17integral_constantIbLb0EES16_EEDaS11_S12_EUlS11_E_NS1_11comp_targetILNS1_3genE4ELNS1_11target_archE910ELNS1_3gpuE8ELNS1_3repE0EEENS1_30default_config_static_selectorELNS0_4arch9wavefront6targetE0EEEvT1_, .Lfunc_end39-_ZN7rocprim17ROCPRIM_400000_NS6detail17trampoline_kernelINS0_14default_configENS1_25partition_config_selectorILNS1_17partition_subalgoE5ElNS0_10empty_typeEbEEZZNS1_14partition_implILS5_5ELb0ES3_mN6hipcub16HIPCUB_304000_NS21CountingInputIteratorIllEEPS6_NSA_22TransformInputIteratorIb7NonZeroIaEPalEENS0_5tupleIJPlS6_EEENSJ_IJSD_SD_EEES6_SK_JS6_EEE10hipError_tPvRmT3_T4_T5_T6_T7_T9_mT8_P12ihipStream_tbDpT10_ENKUlT_T0_E_clISt17integral_constantIbLb0EES16_EEDaS11_S12_EUlS11_E_NS1_11comp_targetILNS1_3genE4ELNS1_11target_archE910ELNS1_3gpuE8ELNS1_3repE0EEENS1_30default_config_static_selectorELNS0_4arch9wavefront6targetE0EEEvT1_
                                        ; -- End function
	.section	.AMDGPU.csdata,"",@progbits
; Kernel info:
; codeLenInByte = 0
; NumSgprs: 0
; NumVgprs: 0
; ScratchSize: 0
; MemoryBound: 0
; FloatMode: 240
; IeeeMode: 1
; LDSByteSize: 0 bytes/workgroup (compile time only)
; SGPRBlocks: 0
; VGPRBlocks: 0
; NumSGPRsForWavesPerEU: 1
; NumVGPRsForWavesPerEU: 1
; Occupancy: 15
; WaveLimiterHint : 0
; COMPUTE_PGM_RSRC2:SCRATCH_EN: 0
; COMPUTE_PGM_RSRC2:USER_SGPR: 15
; COMPUTE_PGM_RSRC2:TRAP_HANDLER: 0
; COMPUTE_PGM_RSRC2:TGID_X_EN: 1
; COMPUTE_PGM_RSRC2:TGID_Y_EN: 0
; COMPUTE_PGM_RSRC2:TGID_Z_EN: 0
; COMPUTE_PGM_RSRC2:TIDIG_COMP_CNT: 0
	.section	.text._ZN7rocprim17ROCPRIM_400000_NS6detail17trampoline_kernelINS0_14default_configENS1_25partition_config_selectorILNS1_17partition_subalgoE5ElNS0_10empty_typeEbEEZZNS1_14partition_implILS5_5ELb0ES3_mN6hipcub16HIPCUB_304000_NS21CountingInputIteratorIllEEPS6_NSA_22TransformInputIteratorIb7NonZeroIaEPalEENS0_5tupleIJPlS6_EEENSJ_IJSD_SD_EEES6_SK_JS6_EEE10hipError_tPvRmT3_T4_T5_T6_T7_T9_mT8_P12ihipStream_tbDpT10_ENKUlT_T0_E_clISt17integral_constantIbLb0EES16_EEDaS11_S12_EUlS11_E_NS1_11comp_targetILNS1_3genE3ELNS1_11target_archE908ELNS1_3gpuE7ELNS1_3repE0EEENS1_30default_config_static_selectorELNS0_4arch9wavefront6targetE0EEEvT1_,"axG",@progbits,_ZN7rocprim17ROCPRIM_400000_NS6detail17trampoline_kernelINS0_14default_configENS1_25partition_config_selectorILNS1_17partition_subalgoE5ElNS0_10empty_typeEbEEZZNS1_14partition_implILS5_5ELb0ES3_mN6hipcub16HIPCUB_304000_NS21CountingInputIteratorIllEEPS6_NSA_22TransformInputIteratorIb7NonZeroIaEPalEENS0_5tupleIJPlS6_EEENSJ_IJSD_SD_EEES6_SK_JS6_EEE10hipError_tPvRmT3_T4_T5_T6_T7_T9_mT8_P12ihipStream_tbDpT10_ENKUlT_T0_E_clISt17integral_constantIbLb0EES16_EEDaS11_S12_EUlS11_E_NS1_11comp_targetILNS1_3genE3ELNS1_11target_archE908ELNS1_3gpuE7ELNS1_3repE0EEENS1_30default_config_static_selectorELNS0_4arch9wavefront6targetE0EEEvT1_,comdat
	.protected	_ZN7rocprim17ROCPRIM_400000_NS6detail17trampoline_kernelINS0_14default_configENS1_25partition_config_selectorILNS1_17partition_subalgoE5ElNS0_10empty_typeEbEEZZNS1_14partition_implILS5_5ELb0ES3_mN6hipcub16HIPCUB_304000_NS21CountingInputIteratorIllEEPS6_NSA_22TransformInputIteratorIb7NonZeroIaEPalEENS0_5tupleIJPlS6_EEENSJ_IJSD_SD_EEES6_SK_JS6_EEE10hipError_tPvRmT3_T4_T5_T6_T7_T9_mT8_P12ihipStream_tbDpT10_ENKUlT_T0_E_clISt17integral_constantIbLb0EES16_EEDaS11_S12_EUlS11_E_NS1_11comp_targetILNS1_3genE3ELNS1_11target_archE908ELNS1_3gpuE7ELNS1_3repE0EEENS1_30default_config_static_selectorELNS0_4arch9wavefront6targetE0EEEvT1_ ; -- Begin function _ZN7rocprim17ROCPRIM_400000_NS6detail17trampoline_kernelINS0_14default_configENS1_25partition_config_selectorILNS1_17partition_subalgoE5ElNS0_10empty_typeEbEEZZNS1_14partition_implILS5_5ELb0ES3_mN6hipcub16HIPCUB_304000_NS21CountingInputIteratorIllEEPS6_NSA_22TransformInputIteratorIb7NonZeroIaEPalEENS0_5tupleIJPlS6_EEENSJ_IJSD_SD_EEES6_SK_JS6_EEE10hipError_tPvRmT3_T4_T5_T6_T7_T9_mT8_P12ihipStream_tbDpT10_ENKUlT_T0_E_clISt17integral_constantIbLb0EES16_EEDaS11_S12_EUlS11_E_NS1_11comp_targetILNS1_3genE3ELNS1_11target_archE908ELNS1_3gpuE7ELNS1_3repE0EEENS1_30default_config_static_selectorELNS0_4arch9wavefront6targetE0EEEvT1_
	.globl	_ZN7rocprim17ROCPRIM_400000_NS6detail17trampoline_kernelINS0_14default_configENS1_25partition_config_selectorILNS1_17partition_subalgoE5ElNS0_10empty_typeEbEEZZNS1_14partition_implILS5_5ELb0ES3_mN6hipcub16HIPCUB_304000_NS21CountingInputIteratorIllEEPS6_NSA_22TransformInputIteratorIb7NonZeroIaEPalEENS0_5tupleIJPlS6_EEENSJ_IJSD_SD_EEES6_SK_JS6_EEE10hipError_tPvRmT3_T4_T5_T6_T7_T9_mT8_P12ihipStream_tbDpT10_ENKUlT_T0_E_clISt17integral_constantIbLb0EES16_EEDaS11_S12_EUlS11_E_NS1_11comp_targetILNS1_3genE3ELNS1_11target_archE908ELNS1_3gpuE7ELNS1_3repE0EEENS1_30default_config_static_selectorELNS0_4arch9wavefront6targetE0EEEvT1_
	.p2align	8
	.type	_ZN7rocprim17ROCPRIM_400000_NS6detail17trampoline_kernelINS0_14default_configENS1_25partition_config_selectorILNS1_17partition_subalgoE5ElNS0_10empty_typeEbEEZZNS1_14partition_implILS5_5ELb0ES3_mN6hipcub16HIPCUB_304000_NS21CountingInputIteratorIllEEPS6_NSA_22TransformInputIteratorIb7NonZeroIaEPalEENS0_5tupleIJPlS6_EEENSJ_IJSD_SD_EEES6_SK_JS6_EEE10hipError_tPvRmT3_T4_T5_T6_T7_T9_mT8_P12ihipStream_tbDpT10_ENKUlT_T0_E_clISt17integral_constantIbLb0EES16_EEDaS11_S12_EUlS11_E_NS1_11comp_targetILNS1_3genE3ELNS1_11target_archE908ELNS1_3gpuE7ELNS1_3repE0EEENS1_30default_config_static_selectorELNS0_4arch9wavefront6targetE0EEEvT1_,@function
_ZN7rocprim17ROCPRIM_400000_NS6detail17trampoline_kernelINS0_14default_configENS1_25partition_config_selectorILNS1_17partition_subalgoE5ElNS0_10empty_typeEbEEZZNS1_14partition_implILS5_5ELb0ES3_mN6hipcub16HIPCUB_304000_NS21CountingInputIteratorIllEEPS6_NSA_22TransformInputIteratorIb7NonZeroIaEPalEENS0_5tupleIJPlS6_EEENSJ_IJSD_SD_EEES6_SK_JS6_EEE10hipError_tPvRmT3_T4_T5_T6_T7_T9_mT8_P12ihipStream_tbDpT10_ENKUlT_T0_E_clISt17integral_constantIbLb0EES16_EEDaS11_S12_EUlS11_E_NS1_11comp_targetILNS1_3genE3ELNS1_11target_archE908ELNS1_3gpuE7ELNS1_3repE0EEENS1_30default_config_static_selectorELNS0_4arch9wavefront6targetE0EEEvT1_: ; @_ZN7rocprim17ROCPRIM_400000_NS6detail17trampoline_kernelINS0_14default_configENS1_25partition_config_selectorILNS1_17partition_subalgoE5ElNS0_10empty_typeEbEEZZNS1_14partition_implILS5_5ELb0ES3_mN6hipcub16HIPCUB_304000_NS21CountingInputIteratorIllEEPS6_NSA_22TransformInputIteratorIb7NonZeroIaEPalEENS0_5tupleIJPlS6_EEENSJ_IJSD_SD_EEES6_SK_JS6_EEE10hipError_tPvRmT3_T4_T5_T6_T7_T9_mT8_P12ihipStream_tbDpT10_ENKUlT_T0_E_clISt17integral_constantIbLb0EES16_EEDaS11_S12_EUlS11_E_NS1_11comp_targetILNS1_3genE3ELNS1_11target_archE908ELNS1_3gpuE7ELNS1_3repE0EEENS1_30default_config_static_selectorELNS0_4arch9wavefront6targetE0EEEvT1_
; %bb.0:
	.section	.rodata,"a",@progbits
	.p2align	6, 0x0
	.amdhsa_kernel _ZN7rocprim17ROCPRIM_400000_NS6detail17trampoline_kernelINS0_14default_configENS1_25partition_config_selectorILNS1_17partition_subalgoE5ElNS0_10empty_typeEbEEZZNS1_14partition_implILS5_5ELb0ES3_mN6hipcub16HIPCUB_304000_NS21CountingInputIteratorIllEEPS6_NSA_22TransformInputIteratorIb7NonZeroIaEPalEENS0_5tupleIJPlS6_EEENSJ_IJSD_SD_EEES6_SK_JS6_EEE10hipError_tPvRmT3_T4_T5_T6_T7_T9_mT8_P12ihipStream_tbDpT10_ENKUlT_T0_E_clISt17integral_constantIbLb0EES16_EEDaS11_S12_EUlS11_E_NS1_11comp_targetILNS1_3genE3ELNS1_11target_archE908ELNS1_3gpuE7ELNS1_3repE0EEENS1_30default_config_static_selectorELNS0_4arch9wavefront6targetE0EEEvT1_
		.amdhsa_group_segment_fixed_size 0
		.amdhsa_private_segment_fixed_size 0
		.amdhsa_kernarg_size 120
		.amdhsa_user_sgpr_count 15
		.amdhsa_user_sgpr_dispatch_ptr 0
		.amdhsa_user_sgpr_queue_ptr 0
		.amdhsa_user_sgpr_kernarg_segment_ptr 1
		.amdhsa_user_sgpr_dispatch_id 0
		.amdhsa_user_sgpr_private_segment_size 0
		.amdhsa_wavefront_size32 1
		.amdhsa_uses_dynamic_stack 0
		.amdhsa_enable_private_segment 0
		.amdhsa_system_sgpr_workgroup_id_x 1
		.amdhsa_system_sgpr_workgroup_id_y 0
		.amdhsa_system_sgpr_workgroup_id_z 0
		.amdhsa_system_sgpr_workgroup_info 0
		.amdhsa_system_vgpr_workitem_id 0
		.amdhsa_next_free_vgpr 1
		.amdhsa_next_free_sgpr 1
		.amdhsa_reserve_vcc 0
		.amdhsa_float_round_mode_32 0
		.amdhsa_float_round_mode_16_64 0
		.amdhsa_float_denorm_mode_32 3
		.amdhsa_float_denorm_mode_16_64 3
		.amdhsa_dx10_clamp 1
		.amdhsa_ieee_mode 1
		.amdhsa_fp16_overflow 0
		.amdhsa_workgroup_processor_mode 1
		.amdhsa_memory_ordered 1
		.amdhsa_forward_progress 0
		.amdhsa_shared_vgpr_count 0
		.amdhsa_exception_fp_ieee_invalid_op 0
		.amdhsa_exception_fp_denorm_src 0
		.amdhsa_exception_fp_ieee_div_zero 0
		.amdhsa_exception_fp_ieee_overflow 0
		.amdhsa_exception_fp_ieee_underflow 0
		.amdhsa_exception_fp_ieee_inexact 0
		.amdhsa_exception_int_div_zero 0
	.end_amdhsa_kernel
	.section	.text._ZN7rocprim17ROCPRIM_400000_NS6detail17trampoline_kernelINS0_14default_configENS1_25partition_config_selectorILNS1_17partition_subalgoE5ElNS0_10empty_typeEbEEZZNS1_14partition_implILS5_5ELb0ES3_mN6hipcub16HIPCUB_304000_NS21CountingInputIteratorIllEEPS6_NSA_22TransformInputIteratorIb7NonZeroIaEPalEENS0_5tupleIJPlS6_EEENSJ_IJSD_SD_EEES6_SK_JS6_EEE10hipError_tPvRmT3_T4_T5_T6_T7_T9_mT8_P12ihipStream_tbDpT10_ENKUlT_T0_E_clISt17integral_constantIbLb0EES16_EEDaS11_S12_EUlS11_E_NS1_11comp_targetILNS1_3genE3ELNS1_11target_archE908ELNS1_3gpuE7ELNS1_3repE0EEENS1_30default_config_static_selectorELNS0_4arch9wavefront6targetE0EEEvT1_,"axG",@progbits,_ZN7rocprim17ROCPRIM_400000_NS6detail17trampoline_kernelINS0_14default_configENS1_25partition_config_selectorILNS1_17partition_subalgoE5ElNS0_10empty_typeEbEEZZNS1_14partition_implILS5_5ELb0ES3_mN6hipcub16HIPCUB_304000_NS21CountingInputIteratorIllEEPS6_NSA_22TransformInputIteratorIb7NonZeroIaEPalEENS0_5tupleIJPlS6_EEENSJ_IJSD_SD_EEES6_SK_JS6_EEE10hipError_tPvRmT3_T4_T5_T6_T7_T9_mT8_P12ihipStream_tbDpT10_ENKUlT_T0_E_clISt17integral_constantIbLb0EES16_EEDaS11_S12_EUlS11_E_NS1_11comp_targetILNS1_3genE3ELNS1_11target_archE908ELNS1_3gpuE7ELNS1_3repE0EEENS1_30default_config_static_selectorELNS0_4arch9wavefront6targetE0EEEvT1_,comdat
.Lfunc_end40:
	.size	_ZN7rocprim17ROCPRIM_400000_NS6detail17trampoline_kernelINS0_14default_configENS1_25partition_config_selectorILNS1_17partition_subalgoE5ElNS0_10empty_typeEbEEZZNS1_14partition_implILS5_5ELb0ES3_mN6hipcub16HIPCUB_304000_NS21CountingInputIteratorIllEEPS6_NSA_22TransformInputIteratorIb7NonZeroIaEPalEENS0_5tupleIJPlS6_EEENSJ_IJSD_SD_EEES6_SK_JS6_EEE10hipError_tPvRmT3_T4_T5_T6_T7_T9_mT8_P12ihipStream_tbDpT10_ENKUlT_T0_E_clISt17integral_constantIbLb0EES16_EEDaS11_S12_EUlS11_E_NS1_11comp_targetILNS1_3genE3ELNS1_11target_archE908ELNS1_3gpuE7ELNS1_3repE0EEENS1_30default_config_static_selectorELNS0_4arch9wavefront6targetE0EEEvT1_, .Lfunc_end40-_ZN7rocprim17ROCPRIM_400000_NS6detail17trampoline_kernelINS0_14default_configENS1_25partition_config_selectorILNS1_17partition_subalgoE5ElNS0_10empty_typeEbEEZZNS1_14partition_implILS5_5ELb0ES3_mN6hipcub16HIPCUB_304000_NS21CountingInputIteratorIllEEPS6_NSA_22TransformInputIteratorIb7NonZeroIaEPalEENS0_5tupleIJPlS6_EEENSJ_IJSD_SD_EEES6_SK_JS6_EEE10hipError_tPvRmT3_T4_T5_T6_T7_T9_mT8_P12ihipStream_tbDpT10_ENKUlT_T0_E_clISt17integral_constantIbLb0EES16_EEDaS11_S12_EUlS11_E_NS1_11comp_targetILNS1_3genE3ELNS1_11target_archE908ELNS1_3gpuE7ELNS1_3repE0EEENS1_30default_config_static_selectorELNS0_4arch9wavefront6targetE0EEEvT1_
                                        ; -- End function
	.section	.AMDGPU.csdata,"",@progbits
; Kernel info:
; codeLenInByte = 0
; NumSgprs: 0
; NumVgprs: 0
; ScratchSize: 0
; MemoryBound: 0
; FloatMode: 240
; IeeeMode: 1
; LDSByteSize: 0 bytes/workgroup (compile time only)
; SGPRBlocks: 0
; VGPRBlocks: 0
; NumSGPRsForWavesPerEU: 1
; NumVGPRsForWavesPerEU: 1
; Occupancy: 16
; WaveLimiterHint : 0
; COMPUTE_PGM_RSRC2:SCRATCH_EN: 0
; COMPUTE_PGM_RSRC2:USER_SGPR: 15
; COMPUTE_PGM_RSRC2:TRAP_HANDLER: 0
; COMPUTE_PGM_RSRC2:TGID_X_EN: 1
; COMPUTE_PGM_RSRC2:TGID_Y_EN: 0
; COMPUTE_PGM_RSRC2:TGID_Z_EN: 0
; COMPUTE_PGM_RSRC2:TIDIG_COMP_CNT: 0
	.section	.text._ZN7rocprim17ROCPRIM_400000_NS6detail17trampoline_kernelINS0_14default_configENS1_25partition_config_selectorILNS1_17partition_subalgoE5ElNS0_10empty_typeEbEEZZNS1_14partition_implILS5_5ELb0ES3_mN6hipcub16HIPCUB_304000_NS21CountingInputIteratorIllEEPS6_NSA_22TransformInputIteratorIb7NonZeroIaEPalEENS0_5tupleIJPlS6_EEENSJ_IJSD_SD_EEES6_SK_JS6_EEE10hipError_tPvRmT3_T4_T5_T6_T7_T9_mT8_P12ihipStream_tbDpT10_ENKUlT_T0_E_clISt17integral_constantIbLb0EES16_EEDaS11_S12_EUlS11_E_NS1_11comp_targetILNS1_3genE2ELNS1_11target_archE906ELNS1_3gpuE6ELNS1_3repE0EEENS1_30default_config_static_selectorELNS0_4arch9wavefront6targetE0EEEvT1_,"axG",@progbits,_ZN7rocprim17ROCPRIM_400000_NS6detail17trampoline_kernelINS0_14default_configENS1_25partition_config_selectorILNS1_17partition_subalgoE5ElNS0_10empty_typeEbEEZZNS1_14partition_implILS5_5ELb0ES3_mN6hipcub16HIPCUB_304000_NS21CountingInputIteratorIllEEPS6_NSA_22TransformInputIteratorIb7NonZeroIaEPalEENS0_5tupleIJPlS6_EEENSJ_IJSD_SD_EEES6_SK_JS6_EEE10hipError_tPvRmT3_T4_T5_T6_T7_T9_mT8_P12ihipStream_tbDpT10_ENKUlT_T0_E_clISt17integral_constantIbLb0EES16_EEDaS11_S12_EUlS11_E_NS1_11comp_targetILNS1_3genE2ELNS1_11target_archE906ELNS1_3gpuE6ELNS1_3repE0EEENS1_30default_config_static_selectorELNS0_4arch9wavefront6targetE0EEEvT1_,comdat
	.protected	_ZN7rocprim17ROCPRIM_400000_NS6detail17trampoline_kernelINS0_14default_configENS1_25partition_config_selectorILNS1_17partition_subalgoE5ElNS0_10empty_typeEbEEZZNS1_14partition_implILS5_5ELb0ES3_mN6hipcub16HIPCUB_304000_NS21CountingInputIteratorIllEEPS6_NSA_22TransformInputIteratorIb7NonZeroIaEPalEENS0_5tupleIJPlS6_EEENSJ_IJSD_SD_EEES6_SK_JS6_EEE10hipError_tPvRmT3_T4_T5_T6_T7_T9_mT8_P12ihipStream_tbDpT10_ENKUlT_T0_E_clISt17integral_constantIbLb0EES16_EEDaS11_S12_EUlS11_E_NS1_11comp_targetILNS1_3genE2ELNS1_11target_archE906ELNS1_3gpuE6ELNS1_3repE0EEENS1_30default_config_static_selectorELNS0_4arch9wavefront6targetE0EEEvT1_ ; -- Begin function _ZN7rocprim17ROCPRIM_400000_NS6detail17trampoline_kernelINS0_14default_configENS1_25partition_config_selectorILNS1_17partition_subalgoE5ElNS0_10empty_typeEbEEZZNS1_14partition_implILS5_5ELb0ES3_mN6hipcub16HIPCUB_304000_NS21CountingInputIteratorIllEEPS6_NSA_22TransformInputIteratorIb7NonZeroIaEPalEENS0_5tupleIJPlS6_EEENSJ_IJSD_SD_EEES6_SK_JS6_EEE10hipError_tPvRmT3_T4_T5_T6_T7_T9_mT8_P12ihipStream_tbDpT10_ENKUlT_T0_E_clISt17integral_constantIbLb0EES16_EEDaS11_S12_EUlS11_E_NS1_11comp_targetILNS1_3genE2ELNS1_11target_archE906ELNS1_3gpuE6ELNS1_3repE0EEENS1_30default_config_static_selectorELNS0_4arch9wavefront6targetE0EEEvT1_
	.globl	_ZN7rocprim17ROCPRIM_400000_NS6detail17trampoline_kernelINS0_14default_configENS1_25partition_config_selectorILNS1_17partition_subalgoE5ElNS0_10empty_typeEbEEZZNS1_14partition_implILS5_5ELb0ES3_mN6hipcub16HIPCUB_304000_NS21CountingInputIteratorIllEEPS6_NSA_22TransformInputIteratorIb7NonZeroIaEPalEENS0_5tupleIJPlS6_EEENSJ_IJSD_SD_EEES6_SK_JS6_EEE10hipError_tPvRmT3_T4_T5_T6_T7_T9_mT8_P12ihipStream_tbDpT10_ENKUlT_T0_E_clISt17integral_constantIbLb0EES16_EEDaS11_S12_EUlS11_E_NS1_11comp_targetILNS1_3genE2ELNS1_11target_archE906ELNS1_3gpuE6ELNS1_3repE0EEENS1_30default_config_static_selectorELNS0_4arch9wavefront6targetE0EEEvT1_
	.p2align	8
	.type	_ZN7rocprim17ROCPRIM_400000_NS6detail17trampoline_kernelINS0_14default_configENS1_25partition_config_selectorILNS1_17partition_subalgoE5ElNS0_10empty_typeEbEEZZNS1_14partition_implILS5_5ELb0ES3_mN6hipcub16HIPCUB_304000_NS21CountingInputIteratorIllEEPS6_NSA_22TransformInputIteratorIb7NonZeroIaEPalEENS0_5tupleIJPlS6_EEENSJ_IJSD_SD_EEES6_SK_JS6_EEE10hipError_tPvRmT3_T4_T5_T6_T7_T9_mT8_P12ihipStream_tbDpT10_ENKUlT_T0_E_clISt17integral_constantIbLb0EES16_EEDaS11_S12_EUlS11_E_NS1_11comp_targetILNS1_3genE2ELNS1_11target_archE906ELNS1_3gpuE6ELNS1_3repE0EEENS1_30default_config_static_selectorELNS0_4arch9wavefront6targetE0EEEvT1_,@function
_ZN7rocprim17ROCPRIM_400000_NS6detail17trampoline_kernelINS0_14default_configENS1_25partition_config_selectorILNS1_17partition_subalgoE5ElNS0_10empty_typeEbEEZZNS1_14partition_implILS5_5ELb0ES3_mN6hipcub16HIPCUB_304000_NS21CountingInputIteratorIllEEPS6_NSA_22TransformInputIteratorIb7NonZeroIaEPalEENS0_5tupleIJPlS6_EEENSJ_IJSD_SD_EEES6_SK_JS6_EEE10hipError_tPvRmT3_T4_T5_T6_T7_T9_mT8_P12ihipStream_tbDpT10_ENKUlT_T0_E_clISt17integral_constantIbLb0EES16_EEDaS11_S12_EUlS11_E_NS1_11comp_targetILNS1_3genE2ELNS1_11target_archE906ELNS1_3gpuE6ELNS1_3repE0EEENS1_30default_config_static_selectorELNS0_4arch9wavefront6targetE0EEEvT1_: ; @_ZN7rocprim17ROCPRIM_400000_NS6detail17trampoline_kernelINS0_14default_configENS1_25partition_config_selectorILNS1_17partition_subalgoE5ElNS0_10empty_typeEbEEZZNS1_14partition_implILS5_5ELb0ES3_mN6hipcub16HIPCUB_304000_NS21CountingInputIteratorIllEEPS6_NSA_22TransformInputIteratorIb7NonZeroIaEPalEENS0_5tupleIJPlS6_EEENSJ_IJSD_SD_EEES6_SK_JS6_EEE10hipError_tPvRmT3_T4_T5_T6_T7_T9_mT8_P12ihipStream_tbDpT10_ENKUlT_T0_E_clISt17integral_constantIbLb0EES16_EEDaS11_S12_EUlS11_E_NS1_11comp_targetILNS1_3genE2ELNS1_11target_archE906ELNS1_3gpuE6ELNS1_3repE0EEENS1_30default_config_static_selectorELNS0_4arch9wavefront6targetE0EEEvT1_
; %bb.0:
	.section	.rodata,"a",@progbits
	.p2align	6, 0x0
	.amdhsa_kernel _ZN7rocprim17ROCPRIM_400000_NS6detail17trampoline_kernelINS0_14default_configENS1_25partition_config_selectorILNS1_17partition_subalgoE5ElNS0_10empty_typeEbEEZZNS1_14partition_implILS5_5ELb0ES3_mN6hipcub16HIPCUB_304000_NS21CountingInputIteratorIllEEPS6_NSA_22TransformInputIteratorIb7NonZeroIaEPalEENS0_5tupleIJPlS6_EEENSJ_IJSD_SD_EEES6_SK_JS6_EEE10hipError_tPvRmT3_T4_T5_T6_T7_T9_mT8_P12ihipStream_tbDpT10_ENKUlT_T0_E_clISt17integral_constantIbLb0EES16_EEDaS11_S12_EUlS11_E_NS1_11comp_targetILNS1_3genE2ELNS1_11target_archE906ELNS1_3gpuE6ELNS1_3repE0EEENS1_30default_config_static_selectorELNS0_4arch9wavefront6targetE0EEEvT1_
		.amdhsa_group_segment_fixed_size 0
		.amdhsa_private_segment_fixed_size 0
		.amdhsa_kernarg_size 120
		.amdhsa_user_sgpr_count 15
		.amdhsa_user_sgpr_dispatch_ptr 0
		.amdhsa_user_sgpr_queue_ptr 0
		.amdhsa_user_sgpr_kernarg_segment_ptr 1
		.amdhsa_user_sgpr_dispatch_id 0
		.amdhsa_user_sgpr_private_segment_size 0
		.amdhsa_wavefront_size32 1
		.amdhsa_uses_dynamic_stack 0
		.amdhsa_enable_private_segment 0
		.amdhsa_system_sgpr_workgroup_id_x 1
		.amdhsa_system_sgpr_workgroup_id_y 0
		.amdhsa_system_sgpr_workgroup_id_z 0
		.amdhsa_system_sgpr_workgroup_info 0
		.amdhsa_system_vgpr_workitem_id 0
		.amdhsa_next_free_vgpr 1
		.amdhsa_next_free_sgpr 1
		.amdhsa_reserve_vcc 0
		.amdhsa_float_round_mode_32 0
		.amdhsa_float_round_mode_16_64 0
		.amdhsa_float_denorm_mode_32 3
		.amdhsa_float_denorm_mode_16_64 3
		.amdhsa_dx10_clamp 1
		.amdhsa_ieee_mode 1
		.amdhsa_fp16_overflow 0
		.amdhsa_workgroup_processor_mode 1
		.amdhsa_memory_ordered 1
		.amdhsa_forward_progress 0
		.amdhsa_shared_vgpr_count 0
		.amdhsa_exception_fp_ieee_invalid_op 0
		.amdhsa_exception_fp_denorm_src 0
		.amdhsa_exception_fp_ieee_div_zero 0
		.amdhsa_exception_fp_ieee_overflow 0
		.amdhsa_exception_fp_ieee_underflow 0
		.amdhsa_exception_fp_ieee_inexact 0
		.amdhsa_exception_int_div_zero 0
	.end_amdhsa_kernel
	.section	.text._ZN7rocprim17ROCPRIM_400000_NS6detail17trampoline_kernelINS0_14default_configENS1_25partition_config_selectorILNS1_17partition_subalgoE5ElNS0_10empty_typeEbEEZZNS1_14partition_implILS5_5ELb0ES3_mN6hipcub16HIPCUB_304000_NS21CountingInputIteratorIllEEPS6_NSA_22TransformInputIteratorIb7NonZeroIaEPalEENS0_5tupleIJPlS6_EEENSJ_IJSD_SD_EEES6_SK_JS6_EEE10hipError_tPvRmT3_T4_T5_T6_T7_T9_mT8_P12ihipStream_tbDpT10_ENKUlT_T0_E_clISt17integral_constantIbLb0EES16_EEDaS11_S12_EUlS11_E_NS1_11comp_targetILNS1_3genE2ELNS1_11target_archE906ELNS1_3gpuE6ELNS1_3repE0EEENS1_30default_config_static_selectorELNS0_4arch9wavefront6targetE0EEEvT1_,"axG",@progbits,_ZN7rocprim17ROCPRIM_400000_NS6detail17trampoline_kernelINS0_14default_configENS1_25partition_config_selectorILNS1_17partition_subalgoE5ElNS0_10empty_typeEbEEZZNS1_14partition_implILS5_5ELb0ES3_mN6hipcub16HIPCUB_304000_NS21CountingInputIteratorIllEEPS6_NSA_22TransformInputIteratorIb7NonZeroIaEPalEENS0_5tupleIJPlS6_EEENSJ_IJSD_SD_EEES6_SK_JS6_EEE10hipError_tPvRmT3_T4_T5_T6_T7_T9_mT8_P12ihipStream_tbDpT10_ENKUlT_T0_E_clISt17integral_constantIbLb0EES16_EEDaS11_S12_EUlS11_E_NS1_11comp_targetILNS1_3genE2ELNS1_11target_archE906ELNS1_3gpuE6ELNS1_3repE0EEENS1_30default_config_static_selectorELNS0_4arch9wavefront6targetE0EEEvT1_,comdat
.Lfunc_end41:
	.size	_ZN7rocprim17ROCPRIM_400000_NS6detail17trampoline_kernelINS0_14default_configENS1_25partition_config_selectorILNS1_17partition_subalgoE5ElNS0_10empty_typeEbEEZZNS1_14partition_implILS5_5ELb0ES3_mN6hipcub16HIPCUB_304000_NS21CountingInputIteratorIllEEPS6_NSA_22TransformInputIteratorIb7NonZeroIaEPalEENS0_5tupleIJPlS6_EEENSJ_IJSD_SD_EEES6_SK_JS6_EEE10hipError_tPvRmT3_T4_T5_T6_T7_T9_mT8_P12ihipStream_tbDpT10_ENKUlT_T0_E_clISt17integral_constantIbLb0EES16_EEDaS11_S12_EUlS11_E_NS1_11comp_targetILNS1_3genE2ELNS1_11target_archE906ELNS1_3gpuE6ELNS1_3repE0EEENS1_30default_config_static_selectorELNS0_4arch9wavefront6targetE0EEEvT1_, .Lfunc_end41-_ZN7rocprim17ROCPRIM_400000_NS6detail17trampoline_kernelINS0_14default_configENS1_25partition_config_selectorILNS1_17partition_subalgoE5ElNS0_10empty_typeEbEEZZNS1_14partition_implILS5_5ELb0ES3_mN6hipcub16HIPCUB_304000_NS21CountingInputIteratorIllEEPS6_NSA_22TransformInputIteratorIb7NonZeroIaEPalEENS0_5tupleIJPlS6_EEENSJ_IJSD_SD_EEES6_SK_JS6_EEE10hipError_tPvRmT3_T4_T5_T6_T7_T9_mT8_P12ihipStream_tbDpT10_ENKUlT_T0_E_clISt17integral_constantIbLb0EES16_EEDaS11_S12_EUlS11_E_NS1_11comp_targetILNS1_3genE2ELNS1_11target_archE906ELNS1_3gpuE6ELNS1_3repE0EEENS1_30default_config_static_selectorELNS0_4arch9wavefront6targetE0EEEvT1_
                                        ; -- End function
	.section	.AMDGPU.csdata,"",@progbits
; Kernel info:
; codeLenInByte = 0
; NumSgprs: 0
; NumVgprs: 0
; ScratchSize: 0
; MemoryBound: 0
; FloatMode: 240
; IeeeMode: 1
; LDSByteSize: 0 bytes/workgroup (compile time only)
; SGPRBlocks: 0
; VGPRBlocks: 0
; NumSGPRsForWavesPerEU: 1
; NumVGPRsForWavesPerEU: 1
; Occupancy: 16
; WaveLimiterHint : 0
; COMPUTE_PGM_RSRC2:SCRATCH_EN: 0
; COMPUTE_PGM_RSRC2:USER_SGPR: 15
; COMPUTE_PGM_RSRC2:TRAP_HANDLER: 0
; COMPUTE_PGM_RSRC2:TGID_X_EN: 1
; COMPUTE_PGM_RSRC2:TGID_Y_EN: 0
; COMPUTE_PGM_RSRC2:TGID_Z_EN: 0
; COMPUTE_PGM_RSRC2:TIDIG_COMP_CNT: 0
	.section	.text._ZN7rocprim17ROCPRIM_400000_NS6detail17trampoline_kernelINS0_14default_configENS1_25partition_config_selectorILNS1_17partition_subalgoE5ElNS0_10empty_typeEbEEZZNS1_14partition_implILS5_5ELb0ES3_mN6hipcub16HIPCUB_304000_NS21CountingInputIteratorIllEEPS6_NSA_22TransformInputIteratorIb7NonZeroIaEPalEENS0_5tupleIJPlS6_EEENSJ_IJSD_SD_EEES6_SK_JS6_EEE10hipError_tPvRmT3_T4_T5_T6_T7_T9_mT8_P12ihipStream_tbDpT10_ENKUlT_T0_E_clISt17integral_constantIbLb0EES16_EEDaS11_S12_EUlS11_E_NS1_11comp_targetILNS1_3genE10ELNS1_11target_archE1200ELNS1_3gpuE4ELNS1_3repE0EEENS1_30default_config_static_selectorELNS0_4arch9wavefront6targetE0EEEvT1_,"axG",@progbits,_ZN7rocprim17ROCPRIM_400000_NS6detail17trampoline_kernelINS0_14default_configENS1_25partition_config_selectorILNS1_17partition_subalgoE5ElNS0_10empty_typeEbEEZZNS1_14partition_implILS5_5ELb0ES3_mN6hipcub16HIPCUB_304000_NS21CountingInputIteratorIllEEPS6_NSA_22TransformInputIteratorIb7NonZeroIaEPalEENS0_5tupleIJPlS6_EEENSJ_IJSD_SD_EEES6_SK_JS6_EEE10hipError_tPvRmT3_T4_T5_T6_T7_T9_mT8_P12ihipStream_tbDpT10_ENKUlT_T0_E_clISt17integral_constantIbLb0EES16_EEDaS11_S12_EUlS11_E_NS1_11comp_targetILNS1_3genE10ELNS1_11target_archE1200ELNS1_3gpuE4ELNS1_3repE0EEENS1_30default_config_static_selectorELNS0_4arch9wavefront6targetE0EEEvT1_,comdat
	.protected	_ZN7rocprim17ROCPRIM_400000_NS6detail17trampoline_kernelINS0_14default_configENS1_25partition_config_selectorILNS1_17partition_subalgoE5ElNS0_10empty_typeEbEEZZNS1_14partition_implILS5_5ELb0ES3_mN6hipcub16HIPCUB_304000_NS21CountingInputIteratorIllEEPS6_NSA_22TransformInputIteratorIb7NonZeroIaEPalEENS0_5tupleIJPlS6_EEENSJ_IJSD_SD_EEES6_SK_JS6_EEE10hipError_tPvRmT3_T4_T5_T6_T7_T9_mT8_P12ihipStream_tbDpT10_ENKUlT_T0_E_clISt17integral_constantIbLb0EES16_EEDaS11_S12_EUlS11_E_NS1_11comp_targetILNS1_3genE10ELNS1_11target_archE1200ELNS1_3gpuE4ELNS1_3repE0EEENS1_30default_config_static_selectorELNS0_4arch9wavefront6targetE0EEEvT1_ ; -- Begin function _ZN7rocprim17ROCPRIM_400000_NS6detail17trampoline_kernelINS0_14default_configENS1_25partition_config_selectorILNS1_17partition_subalgoE5ElNS0_10empty_typeEbEEZZNS1_14partition_implILS5_5ELb0ES3_mN6hipcub16HIPCUB_304000_NS21CountingInputIteratorIllEEPS6_NSA_22TransformInputIteratorIb7NonZeroIaEPalEENS0_5tupleIJPlS6_EEENSJ_IJSD_SD_EEES6_SK_JS6_EEE10hipError_tPvRmT3_T4_T5_T6_T7_T9_mT8_P12ihipStream_tbDpT10_ENKUlT_T0_E_clISt17integral_constantIbLb0EES16_EEDaS11_S12_EUlS11_E_NS1_11comp_targetILNS1_3genE10ELNS1_11target_archE1200ELNS1_3gpuE4ELNS1_3repE0EEENS1_30default_config_static_selectorELNS0_4arch9wavefront6targetE0EEEvT1_
	.globl	_ZN7rocprim17ROCPRIM_400000_NS6detail17trampoline_kernelINS0_14default_configENS1_25partition_config_selectorILNS1_17partition_subalgoE5ElNS0_10empty_typeEbEEZZNS1_14partition_implILS5_5ELb0ES3_mN6hipcub16HIPCUB_304000_NS21CountingInputIteratorIllEEPS6_NSA_22TransformInputIteratorIb7NonZeroIaEPalEENS0_5tupleIJPlS6_EEENSJ_IJSD_SD_EEES6_SK_JS6_EEE10hipError_tPvRmT3_T4_T5_T6_T7_T9_mT8_P12ihipStream_tbDpT10_ENKUlT_T0_E_clISt17integral_constantIbLb0EES16_EEDaS11_S12_EUlS11_E_NS1_11comp_targetILNS1_3genE10ELNS1_11target_archE1200ELNS1_3gpuE4ELNS1_3repE0EEENS1_30default_config_static_selectorELNS0_4arch9wavefront6targetE0EEEvT1_
	.p2align	8
	.type	_ZN7rocprim17ROCPRIM_400000_NS6detail17trampoline_kernelINS0_14default_configENS1_25partition_config_selectorILNS1_17partition_subalgoE5ElNS0_10empty_typeEbEEZZNS1_14partition_implILS5_5ELb0ES3_mN6hipcub16HIPCUB_304000_NS21CountingInputIteratorIllEEPS6_NSA_22TransformInputIteratorIb7NonZeroIaEPalEENS0_5tupleIJPlS6_EEENSJ_IJSD_SD_EEES6_SK_JS6_EEE10hipError_tPvRmT3_T4_T5_T6_T7_T9_mT8_P12ihipStream_tbDpT10_ENKUlT_T0_E_clISt17integral_constantIbLb0EES16_EEDaS11_S12_EUlS11_E_NS1_11comp_targetILNS1_3genE10ELNS1_11target_archE1200ELNS1_3gpuE4ELNS1_3repE0EEENS1_30default_config_static_selectorELNS0_4arch9wavefront6targetE0EEEvT1_,@function
_ZN7rocprim17ROCPRIM_400000_NS6detail17trampoline_kernelINS0_14default_configENS1_25partition_config_selectorILNS1_17partition_subalgoE5ElNS0_10empty_typeEbEEZZNS1_14partition_implILS5_5ELb0ES3_mN6hipcub16HIPCUB_304000_NS21CountingInputIteratorIllEEPS6_NSA_22TransformInputIteratorIb7NonZeroIaEPalEENS0_5tupleIJPlS6_EEENSJ_IJSD_SD_EEES6_SK_JS6_EEE10hipError_tPvRmT3_T4_T5_T6_T7_T9_mT8_P12ihipStream_tbDpT10_ENKUlT_T0_E_clISt17integral_constantIbLb0EES16_EEDaS11_S12_EUlS11_E_NS1_11comp_targetILNS1_3genE10ELNS1_11target_archE1200ELNS1_3gpuE4ELNS1_3repE0EEENS1_30default_config_static_selectorELNS0_4arch9wavefront6targetE0EEEvT1_: ; @_ZN7rocprim17ROCPRIM_400000_NS6detail17trampoline_kernelINS0_14default_configENS1_25partition_config_selectorILNS1_17partition_subalgoE5ElNS0_10empty_typeEbEEZZNS1_14partition_implILS5_5ELb0ES3_mN6hipcub16HIPCUB_304000_NS21CountingInputIteratorIllEEPS6_NSA_22TransformInputIteratorIb7NonZeroIaEPalEENS0_5tupleIJPlS6_EEENSJ_IJSD_SD_EEES6_SK_JS6_EEE10hipError_tPvRmT3_T4_T5_T6_T7_T9_mT8_P12ihipStream_tbDpT10_ENKUlT_T0_E_clISt17integral_constantIbLb0EES16_EEDaS11_S12_EUlS11_E_NS1_11comp_targetILNS1_3genE10ELNS1_11target_archE1200ELNS1_3gpuE4ELNS1_3repE0EEENS1_30default_config_static_selectorELNS0_4arch9wavefront6targetE0EEEvT1_
; %bb.0:
	.section	.rodata,"a",@progbits
	.p2align	6, 0x0
	.amdhsa_kernel _ZN7rocprim17ROCPRIM_400000_NS6detail17trampoline_kernelINS0_14default_configENS1_25partition_config_selectorILNS1_17partition_subalgoE5ElNS0_10empty_typeEbEEZZNS1_14partition_implILS5_5ELb0ES3_mN6hipcub16HIPCUB_304000_NS21CountingInputIteratorIllEEPS6_NSA_22TransformInputIteratorIb7NonZeroIaEPalEENS0_5tupleIJPlS6_EEENSJ_IJSD_SD_EEES6_SK_JS6_EEE10hipError_tPvRmT3_T4_T5_T6_T7_T9_mT8_P12ihipStream_tbDpT10_ENKUlT_T0_E_clISt17integral_constantIbLb0EES16_EEDaS11_S12_EUlS11_E_NS1_11comp_targetILNS1_3genE10ELNS1_11target_archE1200ELNS1_3gpuE4ELNS1_3repE0EEENS1_30default_config_static_selectorELNS0_4arch9wavefront6targetE0EEEvT1_
		.amdhsa_group_segment_fixed_size 0
		.amdhsa_private_segment_fixed_size 0
		.amdhsa_kernarg_size 120
		.amdhsa_user_sgpr_count 15
		.amdhsa_user_sgpr_dispatch_ptr 0
		.amdhsa_user_sgpr_queue_ptr 0
		.amdhsa_user_sgpr_kernarg_segment_ptr 1
		.amdhsa_user_sgpr_dispatch_id 0
		.amdhsa_user_sgpr_private_segment_size 0
		.amdhsa_wavefront_size32 1
		.amdhsa_uses_dynamic_stack 0
		.amdhsa_enable_private_segment 0
		.amdhsa_system_sgpr_workgroup_id_x 1
		.amdhsa_system_sgpr_workgroup_id_y 0
		.amdhsa_system_sgpr_workgroup_id_z 0
		.amdhsa_system_sgpr_workgroup_info 0
		.amdhsa_system_vgpr_workitem_id 0
		.amdhsa_next_free_vgpr 1
		.amdhsa_next_free_sgpr 1
		.amdhsa_reserve_vcc 0
		.amdhsa_float_round_mode_32 0
		.amdhsa_float_round_mode_16_64 0
		.amdhsa_float_denorm_mode_32 3
		.amdhsa_float_denorm_mode_16_64 3
		.amdhsa_dx10_clamp 1
		.amdhsa_ieee_mode 1
		.amdhsa_fp16_overflow 0
		.amdhsa_workgroup_processor_mode 1
		.amdhsa_memory_ordered 1
		.amdhsa_forward_progress 0
		.amdhsa_shared_vgpr_count 0
		.amdhsa_exception_fp_ieee_invalid_op 0
		.amdhsa_exception_fp_denorm_src 0
		.amdhsa_exception_fp_ieee_div_zero 0
		.amdhsa_exception_fp_ieee_overflow 0
		.amdhsa_exception_fp_ieee_underflow 0
		.amdhsa_exception_fp_ieee_inexact 0
		.amdhsa_exception_int_div_zero 0
	.end_amdhsa_kernel
	.section	.text._ZN7rocprim17ROCPRIM_400000_NS6detail17trampoline_kernelINS0_14default_configENS1_25partition_config_selectorILNS1_17partition_subalgoE5ElNS0_10empty_typeEbEEZZNS1_14partition_implILS5_5ELb0ES3_mN6hipcub16HIPCUB_304000_NS21CountingInputIteratorIllEEPS6_NSA_22TransformInputIteratorIb7NonZeroIaEPalEENS0_5tupleIJPlS6_EEENSJ_IJSD_SD_EEES6_SK_JS6_EEE10hipError_tPvRmT3_T4_T5_T6_T7_T9_mT8_P12ihipStream_tbDpT10_ENKUlT_T0_E_clISt17integral_constantIbLb0EES16_EEDaS11_S12_EUlS11_E_NS1_11comp_targetILNS1_3genE10ELNS1_11target_archE1200ELNS1_3gpuE4ELNS1_3repE0EEENS1_30default_config_static_selectorELNS0_4arch9wavefront6targetE0EEEvT1_,"axG",@progbits,_ZN7rocprim17ROCPRIM_400000_NS6detail17trampoline_kernelINS0_14default_configENS1_25partition_config_selectorILNS1_17partition_subalgoE5ElNS0_10empty_typeEbEEZZNS1_14partition_implILS5_5ELb0ES3_mN6hipcub16HIPCUB_304000_NS21CountingInputIteratorIllEEPS6_NSA_22TransformInputIteratorIb7NonZeroIaEPalEENS0_5tupleIJPlS6_EEENSJ_IJSD_SD_EEES6_SK_JS6_EEE10hipError_tPvRmT3_T4_T5_T6_T7_T9_mT8_P12ihipStream_tbDpT10_ENKUlT_T0_E_clISt17integral_constantIbLb0EES16_EEDaS11_S12_EUlS11_E_NS1_11comp_targetILNS1_3genE10ELNS1_11target_archE1200ELNS1_3gpuE4ELNS1_3repE0EEENS1_30default_config_static_selectorELNS0_4arch9wavefront6targetE0EEEvT1_,comdat
.Lfunc_end42:
	.size	_ZN7rocprim17ROCPRIM_400000_NS6detail17trampoline_kernelINS0_14default_configENS1_25partition_config_selectorILNS1_17partition_subalgoE5ElNS0_10empty_typeEbEEZZNS1_14partition_implILS5_5ELb0ES3_mN6hipcub16HIPCUB_304000_NS21CountingInputIteratorIllEEPS6_NSA_22TransformInputIteratorIb7NonZeroIaEPalEENS0_5tupleIJPlS6_EEENSJ_IJSD_SD_EEES6_SK_JS6_EEE10hipError_tPvRmT3_T4_T5_T6_T7_T9_mT8_P12ihipStream_tbDpT10_ENKUlT_T0_E_clISt17integral_constantIbLb0EES16_EEDaS11_S12_EUlS11_E_NS1_11comp_targetILNS1_3genE10ELNS1_11target_archE1200ELNS1_3gpuE4ELNS1_3repE0EEENS1_30default_config_static_selectorELNS0_4arch9wavefront6targetE0EEEvT1_, .Lfunc_end42-_ZN7rocprim17ROCPRIM_400000_NS6detail17trampoline_kernelINS0_14default_configENS1_25partition_config_selectorILNS1_17partition_subalgoE5ElNS0_10empty_typeEbEEZZNS1_14partition_implILS5_5ELb0ES3_mN6hipcub16HIPCUB_304000_NS21CountingInputIteratorIllEEPS6_NSA_22TransformInputIteratorIb7NonZeroIaEPalEENS0_5tupleIJPlS6_EEENSJ_IJSD_SD_EEES6_SK_JS6_EEE10hipError_tPvRmT3_T4_T5_T6_T7_T9_mT8_P12ihipStream_tbDpT10_ENKUlT_T0_E_clISt17integral_constantIbLb0EES16_EEDaS11_S12_EUlS11_E_NS1_11comp_targetILNS1_3genE10ELNS1_11target_archE1200ELNS1_3gpuE4ELNS1_3repE0EEENS1_30default_config_static_selectorELNS0_4arch9wavefront6targetE0EEEvT1_
                                        ; -- End function
	.section	.AMDGPU.csdata,"",@progbits
; Kernel info:
; codeLenInByte = 0
; NumSgprs: 0
; NumVgprs: 0
; ScratchSize: 0
; MemoryBound: 0
; FloatMode: 240
; IeeeMode: 1
; LDSByteSize: 0 bytes/workgroup (compile time only)
; SGPRBlocks: 0
; VGPRBlocks: 0
; NumSGPRsForWavesPerEU: 1
; NumVGPRsForWavesPerEU: 1
; Occupancy: 16
; WaveLimiterHint : 0
; COMPUTE_PGM_RSRC2:SCRATCH_EN: 0
; COMPUTE_PGM_RSRC2:USER_SGPR: 15
; COMPUTE_PGM_RSRC2:TRAP_HANDLER: 0
; COMPUTE_PGM_RSRC2:TGID_X_EN: 1
; COMPUTE_PGM_RSRC2:TGID_Y_EN: 0
; COMPUTE_PGM_RSRC2:TGID_Z_EN: 0
; COMPUTE_PGM_RSRC2:TIDIG_COMP_CNT: 0
	.section	.text._ZN7rocprim17ROCPRIM_400000_NS6detail17trampoline_kernelINS0_14default_configENS1_25partition_config_selectorILNS1_17partition_subalgoE5ElNS0_10empty_typeEbEEZZNS1_14partition_implILS5_5ELb0ES3_mN6hipcub16HIPCUB_304000_NS21CountingInputIteratorIllEEPS6_NSA_22TransformInputIteratorIb7NonZeroIaEPalEENS0_5tupleIJPlS6_EEENSJ_IJSD_SD_EEES6_SK_JS6_EEE10hipError_tPvRmT3_T4_T5_T6_T7_T9_mT8_P12ihipStream_tbDpT10_ENKUlT_T0_E_clISt17integral_constantIbLb0EES16_EEDaS11_S12_EUlS11_E_NS1_11comp_targetILNS1_3genE9ELNS1_11target_archE1100ELNS1_3gpuE3ELNS1_3repE0EEENS1_30default_config_static_selectorELNS0_4arch9wavefront6targetE0EEEvT1_,"axG",@progbits,_ZN7rocprim17ROCPRIM_400000_NS6detail17trampoline_kernelINS0_14default_configENS1_25partition_config_selectorILNS1_17partition_subalgoE5ElNS0_10empty_typeEbEEZZNS1_14partition_implILS5_5ELb0ES3_mN6hipcub16HIPCUB_304000_NS21CountingInputIteratorIllEEPS6_NSA_22TransformInputIteratorIb7NonZeroIaEPalEENS0_5tupleIJPlS6_EEENSJ_IJSD_SD_EEES6_SK_JS6_EEE10hipError_tPvRmT3_T4_T5_T6_T7_T9_mT8_P12ihipStream_tbDpT10_ENKUlT_T0_E_clISt17integral_constantIbLb0EES16_EEDaS11_S12_EUlS11_E_NS1_11comp_targetILNS1_3genE9ELNS1_11target_archE1100ELNS1_3gpuE3ELNS1_3repE0EEENS1_30default_config_static_selectorELNS0_4arch9wavefront6targetE0EEEvT1_,comdat
	.protected	_ZN7rocprim17ROCPRIM_400000_NS6detail17trampoline_kernelINS0_14default_configENS1_25partition_config_selectorILNS1_17partition_subalgoE5ElNS0_10empty_typeEbEEZZNS1_14partition_implILS5_5ELb0ES3_mN6hipcub16HIPCUB_304000_NS21CountingInputIteratorIllEEPS6_NSA_22TransformInputIteratorIb7NonZeroIaEPalEENS0_5tupleIJPlS6_EEENSJ_IJSD_SD_EEES6_SK_JS6_EEE10hipError_tPvRmT3_T4_T5_T6_T7_T9_mT8_P12ihipStream_tbDpT10_ENKUlT_T0_E_clISt17integral_constantIbLb0EES16_EEDaS11_S12_EUlS11_E_NS1_11comp_targetILNS1_3genE9ELNS1_11target_archE1100ELNS1_3gpuE3ELNS1_3repE0EEENS1_30default_config_static_selectorELNS0_4arch9wavefront6targetE0EEEvT1_ ; -- Begin function _ZN7rocprim17ROCPRIM_400000_NS6detail17trampoline_kernelINS0_14default_configENS1_25partition_config_selectorILNS1_17partition_subalgoE5ElNS0_10empty_typeEbEEZZNS1_14partition_implILS5_5ELb0ES3_mN6hipcub16HIPCUB_304000_NS21CountingInputIteratorIllEEPS6_NSA_22TransformInputIteratorIb7NonZeroIaEPalEENS0_5tupleIJPlS6_EEENSJ_IJSD_SD_EEES6_SK_JS6_EEE10hipError_tPvRmT3_T4_T5_T6_T7_T9_mT8_P12ihipStream_tbDpT10_ENKUlT_T0_E_clISt17integral_constantIbLb0EES16_EEDaS11_S12_EUlS11_E_NS1_11comp_targetILNS1_3genE9ELNS1_11target_archE1100ELNS1_3gpuE3ELNS1_3repE0EEENS1_30default_config_static_selectorELNS0_4arch9wavefront6targetE0EEEvT1_
	.globl	_ZN7rocprim17ROCPRIM_400000_NS6detail17trampoline_kernelINS0_14default_configENS1_25partition_config_selectorILNS1_17partition_subalgoE5ElNS0_10empty_typeEbEEZZNS1_14partition_implILS5_5ELb0ES3_mN6hipcub16HIPCUB_304000_NS21CountingInputIteratorIllEEPS6_NSA_22TransformInputIteratorIb7NonZeroIaEPalEENS0_5tupleIJPlS6_EEENSJ_IJSD_SD_EEES6_SK_JS6_EEE10hipError_tPvRmT3_T4_T5_T6_T7_T9_mT8_P12ihipStream_tbDpT10_ENKUlT_T0_E_clISt17integral_constantIbLb0EES16_EEDaS11_S12_EUlS11_E_NS1_11comp_targetILNS1_3genE9ELNS1_11target_archE1100ELNS1_3gpuE3ELNS1_3repE0EEENS1_30default_config_static_selectorELNS0_4arch9wavefront6targetE0EEEvT1_
	.p2align	8
	.type	_ZN7rocprim17ROCPRIM_400000_NS6detail17trampoline_kernelINS0_14default_configENS1_25partition_config_selectorILNS1_17partition_subalgoE5ElNS0_10empty_typeEbEEZZNS1_14partition_implILS5_5ELb0ES3_mN6hipcub16HIPCUB_304000_NS21CountingInputIteratorIllEEPS6_NSA_22TransformInputIteratorIb7NonZeroIaEPalEENS0_5tupleIJPlS6_EEENSJ_IJSD_SD_EEES6_SK_JS6_EEE10hipError_tPvRmT3_T4_T5_T6_T7_T9_mT8_P12ihipStream_tbDpT10_ENKUlT_T0_E_clISt17integral_constantIbLb0EES16_EEDaS11_S12_EUlS11_E_NS1_11comp_targetILNS1_3genE9ELNS1_11target_archE1100ELNS1_3gpuE3ELNS1_3repE0EEENS1_30default_config_static_selectorELNS0_4arch9wavefront6targetE0EEEvT1_,@function
_ZN7rocprim17ROCPRIM_400000_NS6detail17trampoline_kernelINS0_14default_configENS1_25partition_config_selectorILNS1_17partition_subalgoE5ElNS0_10empty_typeEbEEZZNS1_14partition_implILS5_5ELb0ES3_mN6hipcub16HIPCUB_304000_NS21CountingInputIteratorIllEEPS6_NSA_22TransformInputIteratorIb7NonZeroIaEPalEENS0_5tupleIJPlS6_EEENSJ_IJSD_SD_EEES6_SK_JS6_EEE10hipError_tPvRmT3_T4_T5_T6_T7_T9_mT8_P12ihipStream_tbDpT10_ENKUlT_T0_E_clISt17integral_constantIbLb0EES16_EEDaS11_S12_EUlS11_E_NS1_11comp_targetILNS1_3genE9ELNS1_11target_archE1100ELNS1_3gpuE3ELNS1_3repE0EEENS1_30default_config_static_selectorELNS0_4arch9wavefront6targetE0EEEvT1_: ; @_ZN7rocprim17ROCPRIM_400000_NS6detail17trampoline_kernelINS0_14default_configENS1_25partition_config_selectorILNS1_17partition_subalgoE5ElNS0_10empty_typeEbEEZZNS1_14partition_implILS5_5ELb0ES3_mN6hipcub16HIPCUB_304000_NS21CountingInputIteratorIllEEPS6_NSA_22TransformInputIteratorIb7NonZeroIaEPalEENS0_5tupleIJPlS6_EEENSJ_IJSD_SD_EEES6_SK_JS6_EEE10hipError_tPvRmT3_T4_T5_T6_T7_T9_mT8_P12ihipStream_tbDpT10_ENKUlT_T0_E_clISt17integral_constantIbLb0EES16_EEDaS11_S12_EUlS11_E_NS1_11comp_targetILNS1_3genE9ELNS1_11target_archE1100ELNS1_3gpuE3ELNS1_3repE0EEENS1_30default_config_static_selectorELNS0_4arch9wavefront6targetE0EEEvT1_
; %bb.0:
	s_clause 0x4
	s_load_b128 s[8:11], s[0:1], 0x8
	s_load_b128 s[4:7], s[0:1], 0x48
	s_load_b32 s14, s[0:1], 0x70
	s_load_b64 s[2:3], s[0:1], 0x58
	s_load_b64 s[12:13], s[0:1], 0x20
	s_waitcnt lgkmcnt(0)
	s_add_u32 s8, s10, s8
	s_load_b64 s[6:7], s[6:7], 0x0
	s_mul_i32 s17, s14, 0x300
	s_addc_u32 s9, s11, s9
	s_add_i32 s14, s14, -1
	s_add_u32 s18, s10, s17
	s_addc_u32 s19, s11, 0
	s_cmp_eq_u32 s15, s14
	v_cmp_ge_u64_e64 s3, s[18:19], s[2:3]
	s_cselect_b32 s14, -1, 0
	s_mov_b32 s18, -1
	s_delay_alu instid0(VALU_DEP_1) | instskip(NEXT) | instid1(SALU_CYCLE_1)
	s_and_b32 s3, s14, s3
	s_xor_b32 s16, s3, -1
	s_mul_i32 s3, s15, 0x300
	s_and_b32 vcc_lo, exec_lo, s16
	s_cbranch_vccz .LBB43_2
; %bb.1:
	s_add_u32 s18, s8, s3
	s_addc_u32 s19, s9, 0
	v_add_co_u32 v1, s18, s18, v0
	s_delay_alu instid0(VALU_DEP_1) | instskip(SKIP_1) | instid1(VALU_DEP_3)
	v_add_co_ci_u32_e64 v2, null, s19, 0, s18
	v_lshlrev_b32_e32 v13, 3, v0
	v_add_co_u32 v3, vcc_lo, 0x80, v1
	s_delay_alu instid0(VALU_DEP_3)
	v_add_co_ci_u32_e32 v4, vcc_lo, 0, v2, vcc_lo
	v_add_co_u32 v5, vcc_lo, 0x100, v1
	v_add_co_ci_u32_e32 v6, vcc_lo, 0, v2, vcc_lo
	v_add_co_u32 v7, vcc_lo, 0x180, v1
	v_add_co_ci_u32_e32 v8, vcc_lo, 0, v2, vcc_lo
	v_add_co_u32 v9, vcc_lo, 0x200, v1
	v_add_co_ci_u32_e32 v10, vcc_lo, 0, v2, vcc_lo
	v_add_co_u32 v11, vcc_lo, 0x280, v1
	v_add_co_ci_u32_e32 v12, vcc_lo, 0, v2, vcc_lo
	ds_store_2addr_stride64_b64 v13, v[1:2], v[3:4] offset1:2
	ds_store_2addr_stride64_b64 v13, v[5:6], v[7:8] offset0:4 offset1:6
	ds_store_2addr_stride64_b64 v13, v[9:10], v[11:12] offset0:8 offset1:10
	s_waitcnt lgkmcnt(0)
	s_mov_b32 s18, 0
	s_barrier
.LBB43_2:
	v_or_b32_e32 v17, 0x100, v0
	v_or_b32_e32 v16, 0x180, v0
	;; [unrolled: 1-line block ×4, first 2 shown]
	s_and_not1_b32 vcc_lo, exec_lo, s18
	s_cbranch_vccnz .LBB43_4
; %bb.3:
	v_or_b32_e32 v3, 0x80, v0
	s_add_u32 s8, s8, s3
	s_addc_u32 s9, s9, 0
	v_add_co_u32 v1, s18, s8, v0
	s_delay_alu instid0(VALU_DEP_1) | instskip(SKIP_1) | instid1(VALU_DEP_1)
	v_add_co_ci_u32_e64 v2, null, s9, 0, s18
	v_add_co_u32 v3, s18, s8, v3
	v_add_co_ci_u32_e64 v4, null, s9, 0, s18
	v_add_co_u32 v5, s18, s8, v17
	s_delay_alu instid0(VALU_DEP_1) | instskip(SKIP_1) | instid1(VALU_DEP_1)
	v_add_co_ci_u32_e64 v6, null, s9, 0, s18
	v_add_co_u32 v7, s18, s8, v16
	v_add_co_ci_u32_e64 v8, null, s9, 0, s18
	v_add_co_u32 v9, s18, s8, v14
	v_lshlrev_b32_e32 v15, 3, v0
	v_add_co_u32 v11, s8, s8, v13
	v_add_co_ci_u32_e64 v10, null, s9, 0, s18
	v_add_co_ci_u32_e64 v12, null, s9, 0, s8
	ds_store_2addr_stride64_b64 v15, v[1:2], v[3:4] offset1:2
	ds_store_2addr_stride64_b64 v15, v[5:6], v[7:8] offset0:4 offset1:6
	ds_store_2addr_stride64_b64 v15, v[9:10], v[11:12] offset0:8 offset1:10
	s_waitcnt lgkmcnt(0)
	s_barrier
.LBB43_4:
	v_mul_u32_u24_e32 v1, 6, v0
	s_waitcnt lgkmcnt(0)
	buffer_gl0_inv
	s_add_u32 s8, s12, s10
	s_addc_u32 s9, s13, s11
	s_add_u32 s12, s8, s3
	v_lshlrev_b32_e32 v15, 3, v1
	s_addc_u32 s13, s9, 0
	s_and_b32 vcc_lo, exec_lo, s16
	s_mov_b32 s3, -1
	ds_load_b128 v[9:12], v15
	ds_load_b128 v[5:8], v15 offset:16
	ds_load_b128 v[1:4], v15 offset:32
	s_waitcnt lgkmcnt(0)
	s_barrier
	buffer_gl0_inv
	s_cbranch_vccz .LBB43_6
; %bb.5:
	s_clause 0x5
	global_load_u8 v18, v0, s[12:13]
	global_load_u8 v19, v0, s[12:13] offset:128
	global_load_u8 v20, v0, s[12:13] offset:256
	;; [unrolled: 1-line block ×5, first 2 shown]
	s_mov_b32 s3, 0
	s_waitcnt vmcnt(5)
	v_cmp_ne_u16_e32 vcc_lo, 0, v18
	v_cndmask_b32_e64 v18, 0, 1, vcc_lo
	s_waitcnt vmcnt(4)
	v_cmp_ne_u16_e32 vcc_lo, 0, v19
	v_cndmask_b32_e64 v19, 0, 1, vcc_lo
	;; [unrolled: 3-line block ×6, first 2 shown]
	ds_store_b8 v0, v18
	ds_store_b8 v0, v19 offset:128
	ds_store_b8 v0, v20 offset:256
	;; [unrolled: 1-line block ×5, first 2 shown]
	s_waitcnt lgkmcnt(0)
	s_barrier
.LBB43_6:
	s_load_b64 s[8:9], s[0:1], 0x68
	s_and_not1_b32 vcc_lo, exec_lo, s3
	s_cbranch_vccnz .LBB43_20
; %bb.7:
	s_add_i32 s17, s17, s10
	v_dual_mov_b32 v18, 0 :: v_dual_mov_b32 v19, 0
	s_sub_i32 s2, s2, s17
	s_mov_b32 s3, exec_lo
	s_addk_i32 s2, 0x300
	s_delay_alu instid0(SALU_CYCLE_1)
	v_cmpx_gt_u32_e64 s2, v0
	s_cbranch_execz .LBB43_9
; %bb.8:
	global_load_u8 v19, v0, s[12:13]
	s_waitcnt vmcnt(0)
	v_cmp_ne_u16_e32 vcc_lo, 0, v19
	v_cndmask_b32_e64 v19, 0, 1, vcc_lo
.LBB43_9:
	s_or_b32 exec_lo, exec_lo, s3
	v_or_b32_e32 v20, 0x80, v0
	s_mov_b32 s3, exec_lo
	s_delay_alu instid0(VALU_DEP_1)
	v_cmpx_gt_u32_e64 s2, v20
	s_cbranch_execz .LBB43_11
; %bb.10:
	global_load_u8 v18, v0, s[12:13] offset:128
	s_waitcnt vmcnt(0)
	v_cmp_ne_u16_e32 vcc_lo, 0, v18
	v_cndmask_b32_e64 v18, 0, 1, vcc_lo
.LBB43_11:
	s_or_b32 exec_lo, exec_lo, s3
	v_cmp_gt_u32_e32 vcc_lo, s2, v17
	v_dual_mov_b32 v17, 0 :: v_dual_mov_b32 v20, 0
	s_and_saveexec_b32 s3, vcc_lo
	s_cbranch_execz .LBB43_13
; %bb.12:
	global_load_u8 v20, v0, s[12:13] offset:256
	s_waitcnt vmcnt(0)
	v_cmp_ne_u16_e32 vcc_lo, 0, v20
	v_cndmask_b32_e64 v20, 0, 1, vcc_lo
.LBB43_13:
	s_or_b32 exec_lo, exec_lo, s3
	s_delay_alu instid0(SALU_CYCLE_1)
	s_mov_b32 s3, exec_lo
	v_cmpx_gt_u32_e64 s2, v16
	s_cbranch_execz .LBB43_15
; %bb.14:
	global_load_u8 v16, v0, s[12:13] offset:384
	s_waitcnt vmcnt(0)
	v_cmp_ne_u16_e32 vcc_lo, 0, v16
	v_cndmask_b32_e64 v17, 0, 1, vcc_lo
.LBB43_15:
	s_or_b32 exec_lo, exec_lo, s3
	v_cmp_gt_u32_e32 vcc_lo, s2, v14
	v_mov_b32_e32 v14, 0
	v_mov_b32_e32 v16, 0
	s_and_saveexec_b32 s3, vcc_lo
	s_cbranch_execz .LBB43_17
; %bb.16:
	global_load_u8 v16, v0, s[12:13] offset:512
	s_waitcnt vmcnt(0)
	v_cmp_ne_u16_e32 vcc_lo, 0, v16
	v_cndmask_b32_e64 v16, 0, 1, vcc_lo
.LBB43_17:
	s_or_b32 exec_lo, exec_lo, s3
	v_cmp_gt_u32_e32 vcc_lo, s2, v13
	s_and_saveexec_b32 s2, vcc_lo
	s_cbranch_execz .LBB43_19
; %bb.18:
	global_load_u8 v13, v0, s[12:13] offset:640
	s_waitcnt vmcnt(0)
	v_cmp_ne_u16_e32 vcc_lo, 0, v13
	v_cndmask_b32_e64 v14, 0, 1, vcc_lo
.LBB43_19:
	s_or_b32 exec_lo, exec_lo, s2
	ds_store_b8 v0, v19
	ds_store_b8 v0, v18 offset:128
	ds_store_b8 v0, v20 offset:256
	ds_store_b8 v0, v17 offset:384
	ds_store_b8 v0, v16 offset:512
	ds_store_b8 v0, v14 offset:640
	s_waitcnt lgkmcnt(0)
	s_barrier
.LBB43_20:
	v_mad_i32_i24 v43, 0xffffffd6, v0, v15
	s_waitcnt lgkmcnt(0)
	buffer_gl0_inv
	v_mbcnt_lo_u32_b32 v42, -1, 0
	s_cmp_lg_u32 s15, 0
	s_mov_b32 s3, -1
	ds_load_u16 v36, v43
	ds_load_u16 v33, v43 offset:2
	ds_load_u16 v31, v43 offset:4
	v_mov_b32_e32 v14, 0
	v_and_b32_e32 v44, 15, v42
	s_waitcnt lgkmcnt(0)
	s_barrier
	buffer_gl0_inv
	v_and_b32_e32 v41, 0xff, v36
	v_lshrrev_b16 v34, 8, v36
	v_lshrrev_b16 v35, 8, v33
	v_and_b32_e32 v39, 0xff, v33
	v_lshrrev_b16 v32, 8, v31
	v_and_b32_e32 v37, 0xff, v31
	v_and_b32_e32 v40, 0xffff, v34
	;; [unrolled: 1-line block ×3, first 2 shown]
	s_delay_alu instid0(VALU_DEP_4) | instskip(NEXT) | instid1(VALU_DEP_3)
	v_and_b32_e32 v16, 0xffff, v32
	v_add_co_u32 v13, s2, v40, v41
	s_delay_alu instid0(VALU_DEP_1) | instskip(SKIP_1) | instid1(VALU_DEP_3)
	v_add_co_ci_u32_e64 v15, null, 0, 0, s2
	v_cmp_ne_u32_e64 s2, 0, v44
	v_add_co_u32 v13, vcc_lo, v13, v39
	s_delay_alu instid0(VALU_DEP_3) | instskip(NEXT) | instid1(VALU_DEP_2)
	v_add_co_ci_u32_e32 v15, vcc_lo, 0, v15, vcc_lo
	v_add_co_u32 v13, vcc_lo, v13, v38
	s_delay_alu instid0(VALU_DEP_2) | instskip(NEXT) | instid1(VALU_DEP_2)
	v_add_co_ci_u32_e32 v15, vcc_lo, 0, v15, vcc_lo
	v_add_co_u32 v13, vcc_lo, v13, v37
	s_delay_alu instid0(VALU_DEP_2) | instskip(NEXT) | instid1(VALU_DEP_2)
	v_add_co_ci_u32_e32 v15, vcc_lo, 0, v15, vcc_lo
	v_add_co_u32 v21, vcc_lo, v13, v16
	s_delay_alu instid0(VALU_DEP_2)
	v_add_co_ci_u32_e32 v22, vcc_lo, 0, v15, vcc_lo
	s_cbranch_scc0 .LBB43_84
; %bb.21:
	s_delay_alu instid0(VALU_DEP_2)
	v_mov_b32_e32 v15, v21
	v_mov_b32_dpp v13, v21 row_shr:1 row_mask:0xf bank_mask:0xf
	v_mov_b32_dpp v18, v14 row_shr:1 row_mask:0xf bank_mask:0xf
	v_dual_mov_b32 v17, v21 :: v_dual_mov_b32 v16, v22
	s_and_saveexec_b32 s3, s2
; %bb.22:
	s_delay_alu instid0(VALU_DEP_3) | instskip(SKIP_1) | instid1(VALU_DEP_2)
	v_add_co_u32 v17, vcc_lo, v21, v13
	v_add_co_ci_u32_e32 v14, vcc_lo, 0, v22, vcc_lo
	v_add_co_u32 v13, vcc_lo, 0, v17
	s_delay_alu instid0(VALU_DEP_2) | instskip(NEXT) | instid1(VALU_DEP_1)
	v_add_co_ci_u32_e32 v14, vcc_lo, v18, v14, vcc_lo
	v_dual_mov_b32 v16, v14 :: v_dual_mov_b32 v15, v13
; %bb.23:
	s_or_b32 exec_lo, exec_lo, s3
	v_mov_b32_dpp v13, v17 row_shr:2 row_mask:0xf bank_mask:0xf
	v_mov_b32_dpp v18, v14 row_shr:2 row_mask:0xf bank_mask:0xf
	s_mov_b32 s3, exec_lo
	v_cmpx_lt_u32_e32 1, v44
; %bb.24:
	s_delay_alu instid0(VALU_DEP_3) | instskip(SKIP_1) | instid1(VALU_DEP_2)
	v_add_co_u32 v17, vcc_lo, v15, v13
	v_add_co_ci_u32_e32 v14, vcc_lo, 0, v16, vcc_lo
	v_add_co_u32 v13, vcc_lo, 0, v17
	s_delay_alu instid0(VALU_DEP_2) | instskip(NEXT) | instid1(VALU_DEP_1)
	v_add_co_ci_u32_e32 v14, vcc_lo, v18, v14, vcc_lo
	v_dual_mov_b32 v16, v14 :: v_dual_mov_b32 v15, v13
; %bb.25:
	s_or_b32 exec_lo, exec_lo, s3
	v_mov_b32_dpp v13, v17 row_shr:4 row_mask:0xf bank_mask:0xf
	v_mov_b32_dpp v18, v14 row_shr:4 row_mask:0xf bank_mask:0xf
	s_mov_b32 s3, exec_lo
	v_cmpx_lt_u32_e32 3, v44
; %bb.26:
	s_delay_alu instid0(VALU_DEP_3) | instskip(SKIP_1) | instid1(VALU_DEP_2)
	v_add_co_u32 v17, vcc_lo, v15, v13
	v_add_co_ci_u32_e32 v14, vcc_lo, 0, v16, vcc_lo
	v_add_co_u32 v13, vcc_lo, 0, v17
	s_delay_alu instid0(VALU_DEP_2) | instskip(NEXT) | instid1(VALU_DEP_1)
	v_add_co_ci_u32_e32 v14, vcc_lo, v18, v14, vcc_lo
	v_dual_mov_b32 v16, v14 :: v_dual_mov_b32 v15, v13
; %bb.27:
	s_or_b32 exec_lo, exec_lo, s3
	v_mov_b32_dpp v18, v17 row_shr:8 row_mask:0xf bank_mask:0xf
	v_mov_b32_dpp v13, v14 row_shr:8 row_mask:0xf bank_mask:0xf
	s_mov_b32 s3, exec_lo
	v_cmpx_lt_u32_e32 7, v44
; %bb.28:
	s_delay_alu instid0(VALU_DEP_3) | instskip(SKIP_1) | instid1(VALU_DEP_2)
	v_add_co_u32 v17, vcc_lo, v15, v18
	v_add_co_ci_u32_e32 v14, vcc_lo, 0, v16, vcc_lo
	v_add_co_u32 v15, vcc_lo, 0, v17
	s_delay_alu instid0(VALU_DEP_2) | instskip(NEXT) | instid1(VALU_DEP_1)
	v_add_co_ci_u32_e32 v16, vcc_lo, v13, v14, vcc_lo
	v_mov_b32_e32 v14, v16
; %bb.29:
	s_or_b32 exec_lo, exec_lo, s3
	ds_swizzle_b32 v13, v17 offset:swizzle(BROADCAST,32,15)
	ds_swizzle_b32 v18, v14 offset:swizzle(BROADCAST,32,15)
	v_and_b32_e32 v19, 16, v42
	s_mov_b32 s3, exec_lo
	s_delay_alu instid0(VALU_DEP_1)
	v_cmpx_ne_u32_e32 0, v19
	s_cbranch_execz .LBB43_31
; %bb.30:
	s_waitcnt lgkmcnt(1)
	v_add_co_u32 v17, vcc_lo, v15, v13
	v_add_co_ci_u32_e32 v14, vcc_lo, 0, v16, vcc_lo
	s_delay_alu instid0(VALU_DEP_2) | instskip(SKIP_1) | instid1(VALU_DEP_2)
	v_add_co_u32 v13, vcc_lo, 0, v17
	s_waitcnt lgkmcnt(0)
	v_add_co_ci_u32_e32 v14, vcc_lo, v18, v14, vcc_lo
	s_delay_alu instid0(VALU_DEP_1)
	v_dual_mov_b32 v16, v14 :: v_dual_mov_b32 v15, v13
.LBB43_31:
	s_or_b32 exec_lo, exec_lo, s3
	s_waitcnt lgkmcnt(0)
	v_or_b32_e32 v18, 31, v0
	v_lshrrev_b32_e32 v13, 5, v0
	s_mov_b32 s3, exec_lo
	s_delay_alu instid0(VALU_DEP_2)
	v_cmpx_eq_u32_e64 v18, v0
	s_cbranch_execz .LBB43_33
; %bb.32:
	s_delay_alu instid0(VALU_DEP_2)
	v_lshlrev_b32_e32 v18, 3, v13
	ds_store_b64 v18, v[15:16]
.LBB43_33:
	s_or_b32 exec_lo, exec_lo, s3
	s_delay_alu instid0(SALU_CYCLE_1)
	s_mov_b32 s3, exec_lo
	s_waitcnt lgkmcnt(0)
	s_barrier
	buffer_gl0_inv
	v_cmpx_gt_u32_e32 4, v0
	s_cbranch_execz .LBB43_39
; %bb.34:
	v_lshlrev_b32_e32 v18, 3, v0
	s_mov_b32 s10, exec_lo
	ds_load_b64 v[15:16], v18
	s_waitcnt lgkmcnt(0)
	v_dual_mov_b32 v20, v15 :: v_dual_and_b32 v19, 3, v42
	v_mov_b32_dpp v24, v15 row_shr:1 row_mask:0xf bank_mask:0xf
	v_mov_b32_dpp v23, v16 row_shr:1 row_mask:0xf bank_mask:0xf
	s_delay_alu instid0(VALU_DEP_3)
	v_cmpx_ne_u32_e32 0, v19
; %bb.35:
	s_delay_alu instid0(VALU_DEP_3) | instskip(SKIP_1) | instid1(VALU_DEP_2)
	v_add_co_u32 v20, vcc_lo, v15, v24
	v_add_co_ci_u32_e32 v16, vcc_lo, 0, v16, vcc_lo
	v_add_co_u32 v15, vcc_lo, 0, v20
	s_delay_alu instid0(VALU_DEP_2)
	v_add_co_ci_u32_e32 v16, vcc_lo, v23, v16, vcc_lo
; %bb.36:
	s_or_b32 exec_lo, exec_lo, s10
	v_mov_b32_dpp v23, v20 row_shr:2 row_mask:0xf bank_mask:0xf
	s_delay_alu instid0(VALU_DEP_2)
	v_mov_b32_dpp v20, v16 row_shr:2 row_mask:0xf bank_mask:0xf
	s_mov_b32 s10, exec_lo
	v_cmpx_lt_u32_e32 1, v19
; %bb.37:
	s_delay_alu instid0(VALU_DEP_3) | instskip(SKIP_1) | instid1(VALU_DEP_2)
	v_add_co_u32 v15, vcc_lo, v15, v23
	v_add_co_ci_u32_e32 v16, vcc_lo, 0, v16, vcc_lo
	v_add_co_u32 v15, vcc_lo, v15, 0
	s_delay_alu instid0(VALU_DEP_2)
	v_add_co_ci_u32_e32 v16, vcc_lo, v16, v20, vcc_lo
; %bb.38:
	s_or_b32 exec_lo, exec_lo, s10
	ds_store_b64 v18, v[15:16]
.LBB43_39:
	s_or_b32 exec_lo, exec_lo, s3
	v_cmp_gt_u32_e32 vcc_lo, 32, v0
	s_mov_b32 s10, exec_lo
	s_waitcnt lgkmcnt(0)
	s_barrier
	buffer_gl0_inv
                                        ; implicit-def: $vgpr23_vgpr24
	v_cmpx_lt_u32_e32 31, v0
	s_cbranch_execz .LBB43_41
; %bb.40:
	v_lshl_add_u32 v13, v13, 3, -8
	ds_load_b64 v[23:24], v13
	s_waitcnt lgkmcnt(0)
	v_add_co_u32 v17, s3, v17, v23
	s_delay_alu instid0(VALU_DEP_1)
	v_add_co_ci_u32_e64 v14, s3, v14, v24, s3
.LBB43_41:
	s_or_b32 exec_lo, exec_lo, s10
	v_add_nc_u32_e32 v13, -1, v42
	s_delay_alu instid0(VALU_DEP_1) | instskip(NEXT) | instid1(VALU_DEP_1)
	v_cmp_gt_i32_e64 s3, 0, v13
	v_cndmask_b32_e64 v13, v13, v42, s3
	v_cmp_eq_u32_e64 s3, 0, v42
	s_delay_alu instid0(VALU_DEP_2)
	v_lshlrev_b32_e32 v13, 2, v13
	ds_bpermute_b32 v29, v13, v17
	ds_bpermute_b32 v30, v13, v14
	s_and_saveexec_b32 s10, vcc_lo
	s_cbranch_execz .LBB43_79
; %bb.42:
	v_mov_b32_e32 v16, 0
	ds_load_b64 v[13:14], v16 offset:24
	s_and_saveexec_b32 s11, s3
	s_cbranch_execz .LBB43_44
; %bb.43:
	s_add_i32 s12, s15, 32
	s_mov_b32 s13, 0
	s_delay_alu instid0(SALU_CYCLE_1) | instskip(NEXT) | instid1(SALU_CYCLE_1)
	s_lshl_b64 s[12:13], s[12:13], 4
	s_add_u32 s12, s8, s12
	s_addc_u32 s13, s9, s13
	s_delay_alu instid0(SALU_CYCLE_1)
	v_dual_mov_b32 v15, 1 :: v_dual_mov_b32 v18, s13
	v_mov_b32_e32 v17, s12
	s_waitcnt lgkmcnt(0)
	;;#ASMSTART
	global_store_dwordx4 v[17:18], v[13:16] off	
s_waitcnt vmcnt(0)
	;;#ASMEND
.LBB43_44:
	s_or_b32 exec_lo, exec_lo, s11
	v_xad_u32 v25, v42, -1, s15
	s_mov_b32 s12, 0
	s_mov_b32 s11, exec_lo
	s_delay_alu instid0(VALU_DEP_1) | instskip(NEXT) | instid1(VALU_DEP_1)
	v_add_nc_u32_e32 v15, 32, v25
	v_lshlrev_b64 v[15:16], 4, v[15:16]
	s_delay_alu instid0(VALU_DEP_1) | instskip(NEXT) | instid1(VALU_DEP_2)
	v_add_co_u32 v15, vcc_lo, s8, v15
	v_add_co_ci_u32_e32 v16, vcc_lo, s9, v16, vcc_lo
	;;#ASMSTART
	global_load_dwordx4 v[17:20], v[15:16] off glc	
s_waitcnt vmcnt(0)
	;;#ASMEND
	v_and_b32_e32 v20, 0xff, v18
	v_and_b32_e32 v26, 0xff00, v18
	;; [unrolled: 1-line block ×3, first 2 shown]
	v_or3_b32 v17, v17, 0, 0
	v_and_b32_e32 v18, 0xff000000, v18
	s_delay_alu instid0(VALU_DEP_4) | instskip(SKIP_1) | instid1(VALU_DEP_4)
	v_or3_b32 v20, 0, v20, v26
	v_and_b32_e32 v26, 0xff, v19
	v_or3_b32 v17, v17, 0, 0
	s_delay_alu instid0(VALU_DEP_3) | instskip(NEXT) | instid1(VALU_DEP_3)
	v_or3_b32 v18, v20, v27, v18
	v_cmpx_eq_u16_e32 0, v26
	s_cbranch_execz .LBB43_47
.LBB43_45:                              ; =>This Inner Loop Header: Depth=1
	;;#ASMSTART
	global_load_dwordx4 v[17:20], v[15:16] off glc	
s_waitcnt vmcnt(0)
	;;#ASMEND
	v_and_b32_e32 v20, 0xff, v19
	s_delay_alu instid0(VALU_DEP_1) | instskip(SKIP_1) | instid1(SALU_CYCLE_1)
	v_cmp_ne_u16_e32 vcc_lo, 0, v20
	s_or_b32 s12, vcc_lo, s12
	s_and_not1_b32 exec_lo, exec_lo, s12
	s_cbranch_execnz .LBB43_45
; %bb.46:
	s_or_b32 exec_lo, exec_lo, s12
.LBB43_47:
	s_delay_alu instid0(SALU_CYCLE_1)
	s_or_b32 exec_lo, exec_lo, s11
	v_cmp_ne_u32_e32 vcc_lo, 31, v42
	v_and_b32_e32 v16, 0xff, v19
	v_lshlrev_b32_e64 v46, v42, -1
	s_mov_b32 s11, exec_lo
	v_add_co_ci_u32_e32 v15, vcc_lo, 0, v42, vcc_lo
	s_delay_alu instid0(VALU_DEP_3) | instskip(NEXT) | instid1(VALU_DEP_2)
	v_cmp_eq_u16_e32 vcc_lo, 2, v16
	v_dual_mov_b32 v16, v17 :: v_dual_lshlrev_b32 v45, 2, v15
	v_and_or_b32 v15, vcc_lo, v46, 0x80000000
	ds_bpermute_b32 v26, v45, v17
	ds_bpermute_b32 v20, v45, v18
	v_ctz_i32_b32_e32 v15, v15
	s_delay_alu instid0(VALU_DEP_1)
	v_cmpx_lt_u32_e64 v42, v15
	s_cbranch_execz .LBB43_49
; %bb.48:
	s_waitcnt lgkmcnt(1)
	v_add_co_u32 v16, vcc_lo, v17, v26
	v_add_co_ci_u32_e32 v18, vcc_lo, 0, v18, vcc_lo
	s_delay_alu instid0(VALU_DEP_2) | instskip(SKIP_1) | instid1(VALU_DEP_2)
	v_add_co_u32 v17, vcc_lo, 0, v16
	s_waitcnt lgkmcnt(0)
	v_add_co_ci_u32_e32 v18, vcc_lo, v20, v18, vcc_lo
.LBB43_49:
	s_or_b32 exec_lo, exec_lo, s11
	v_cmp_gt_u32_e32 vcc_lo, 30, v42
	v_add_nc_u32_e32 v48, 2, v42
	s_mov_b32 s11, exec_lo
	s_waitcnt lgkmcnt(0)
	v_cndmask_b32_e64 v20, 0, 1, vcc_lo
	s_delay_alu instid0(VALU_DEP_1) | instskip(NEXT) | instid1(VALU_DEP_1)
	v_lshlrev_b32_e32 v20, 1, v20
	v_add_lshl_u32 v47, v20, v42, 2
	ds_bpermute_b32 v26, v47, v16
	ds_bpermute_b32 v20, v47, v18
	v_cmpx_le_u32_e64 v48, v15
	s_cbranch_execz .LBB43_51
; %bb.50:
	s_waitcnt lgkmcnt(1)
	v_add_co_u32 v16, vcc_lo, v17, v26
	v_add_co_ci_u32_e32 v18, vcc_lo, 0, v18, vcc_lo
	s_delay_alu instid0(VALU_DEP_2) | instskip(SKIP_1) | instid1(VALU_DEP_2)
	v_add_co_u32 v17, vcc_lo, 0, v16
	s_waitcnt lgkmcnt(0)
	v_add_co_ci_u32_e32 v18, vcc_lo, v20, v18, vcc_lo
.LBB43_51:
	s_or_b32 exec_lo, exec_lo, s11
	v_cmp_gt_u32_e32 vcc_lo, 28, v42
	v_add_nc_u32_e32 v50, 4, v42
	s_mov_b32 s11, exec_lo
	s_waitcnt lgkmcnt(0)
	v_cndmask_b32_e64 v20, 0, 1, vcc_lo
	s_delay_alu instid0(VALU_DEP_1) | instskip(NEXT) | instid1(VALU_DEP_1)
	v_lshlrev_b32_e32 v20, 2, v20
	v_add_lshl_u32 v49, v20, v42, 2
	ds_bpermute_b32 v26, v49, v16
	ds_bpermute_b32 v20, v49, v18
	v_cmpx_le_u32_e64 v50, v15
	;; [unrolled: 22-line block ×4, first 2 shown]
	s_cbranch_execz .LBB43_57
; %bb.56:
	s_waitcnt lgkmcnt(1)
	v_add_co_u32 v15, vcc_lo, v17, v20
	v_add_co_ci_u32_e32 v18, vcc_lo, 0, v18, vcc_lo
	s_delay_alu instid0(VALU_DEP_2) | instskip(SKIP_1) | instid1(VALU_DEP_2)
	v_add_co_u32 v17, vcc_lo, v15, 0
	s_waitcnt lgkmcnt(0)
	v_add_co_ci_u32_e32 v18, vcc_lo, v18, v16, vcc_lo
.LBB43_57:
	s_or_b32 exec_lo, exec_lo, s11
	v_mov_b32_e32 v26, 0
	s_branch .LBB43_59
.LBB43_58:                              ;   in Loop: Header=BB43_59 Depth=1
	s_or_b32 exec_lo, exec_lo, s11
	v_add_co_u32 v17, vcc_lo, v17, v15
	v_subrev_nc_u32_e32 v25, 32, v25
	v_add_co_ci_u32_e32 v18, vcc_lo, v18, v16, vcc_lo
.LBB43_59:                              ; =>This Loop Header: Depth=1
                                        ;     Child Loop BB43_62 Depth 2
	v_and_b32_e32 v15, 0xff, v19
	s_delay_alu instid0(VALU_DEP_1) | instskip(SKIP_2) | instid1(VALU_DEP_1)
	v_cmp_ne_u16_e32 vcc_lo, 2, v15
	v_cndmask_b32_e64 v15, 0, 1, vcc_lo
	;;#ASMSTART
	;;#ASMEND
	v_cmp_ne_u32_e32 vcc_lo, 0, v15
	s_waitcnt lgkmcnt(0)
	v_dual_mov_b32 v15, v17 :: v_dual_mov_b32 v16, v18
	s_cmp_lg_u32 vcc_lo, exec_lo
	s_cbranch_scc1 .LBB43_74
; %bb.60:                               ;   in Loop: Header=BB43_59 Depth=1
	v_lshlrev_b64 v[17:18], 4, v[25:26]
	s_mov_b32 s11, exec_lo
	s_delay_alu instid0(VALU_DEP_1) | instskip(NEXT) | instid1(VALU_DEP_2)
	v_add_co_u32 v27, vcc_lo, s8, v17
	v_add_co_ci_u32_e32 v28, vcc_lo, s9, v18, vcc_lo
	;;#ASMSTART
	global_load_dwordx4 v[17:20], v[27:28] off glc	
s_waitcnt vmcnt(0)
	;;#ASMEND
	v_and_b32_e32 v20, 0xff, v18
	v_and_b32_e32 v55, 0xff00, v18
	;; [unrolled: 1-line block ×3, first 2 shown]
	v_or3_b32 v17, v17, 0, 0
	v_and_b32_e32 v18, 0xff000000, v18
	s_delay_alu instid0(VALU_DEP_4) | instskip(SKIP_1) | instid1(VALU_DEP_4)
	v_or3_b32 v20, 0, v20, v55
	v_and_b32_e32 v55, 0xff, v19
	v_or3_b32 v17, v17, 0, 0
	s_delay_alu instid0(VALU_DEP_3) | instskip(NEXT) | instid1(VALU_DEP_3)
	v_or3_b32 v18, v20, v56, v18
	v_cmpx_eq_u16_e32 0, v55
	s_cbranch_execz .LBB43_64
; %bb.61:                               ;   in Loop: Header=BB43_59 Depth=1
	s_mov_b32 s12, 0
.LBB43_62:                              ;   Parent Loop BB43_59 Depth=1
                                        ; =>  This Inner Loop Header: Depth=2
	;;#ASMSTART
	global_load_dwordx4 v[17:20], v[27:28] off glc	
s_waitcnt vmcnt(0)
	;;#ASMEND
	v_and_b32_e32 v20, 0xff, v19
	s_delay_alu instid0(VALU_DEP_1) | instskip(SKIP_1) | instid1(SALU_CYCLE_1)
	v_cmp_ne_u16_e32 vcc_lo, 0, v20
	s_or_b32 s12, vcc_lo, s12
	s_and_not1_b32 exec_lo, exec_lo, s12
	s_cbranch_execnz .LBB43_62
; %bb.63:                               ;   in Loop: Header=BB43_59 Depth=1
	s_or_b32 exec_lo, exec_lo, s12
.LBB43_64:                              ;   in Loop: Header=BB43_59 Depth=1
	s_delay_alu instid0(SALU_CYCLE_1)
	s_or_b32 exec_lo, exec_lo, s11
	v_dual_mov_b32 v27, v17 :: v_dual_and_b32 v20, 0xff, v19
	ds_bpermute_b32 v55, v45, v17
	ds_bpermute_b32 v28, v45, v18
	s_mov_b32 s11, exec_lo
	v_cmp_eq_u16_e32 vcc_lo, 2, v20
	v_and_or_b32 v20, vcc_lo, v46, 0x80000000
	s_delay_alu instid0(VALU_DEP_1) | instskip(NEXT) | instid1(VALU_DEP_1)
	v_ctz_i32_b32_e32 v20, v20
	v_cmpx_lt_u32_e64 v42, v20
	s_cbranch_execz .LBB43_66
; %bb.65:                               ;   in Loop: Header=BB43_59 Depth=1
	s_waitcnt lgkmcnt(1)
	v_add_co_u32 v27, vcc_lo, v17, v55
	v_add_co_ci_u32_e32 v18, vcc_lo, 0, v18, vcc_lo
	s_delay_alu instid0(VALU_DEP_2) | instskip(SKIP_1) | instid1(VALU_DEP_2)
	v_add_co_u32 v17, vcc_lo, 0, v27
	s_waitcnt lgkmcnt(0)
	v_add_co_ci_u32_e32 v18, vcc_lo, v28, v18, vcc_lo
.LBB43_66:                              ;   in Loop: Header=BB43_59 Depth=1
	s_or_b32 exec_lo, exec_lo, s11
	s_waitcnt lgkmcnt(1)
	ds_bpermute_b32 v55, v47, v27
	s_waitcnt lgkmcnt(1)
	ds_bpermute_b32 v28, v47, v18
	s_mov_b32 s11, exec_lo
	v_cmpx_le_u32_e64 v48, v20
	s_cbranch_execz .LBB43_68
; %bb.67:                               ;   in Loop: Header=BB43_59 Depth=1
	s_waitcnt lgkmcnt(1)
	v_add_co_u32 v27, vcc_lo, v17, v55
	v_add_co_ci_u32_e32 v18, vcc_lo, 0, v18, vcc_lo
	s_delay_alu instid0(VALU_DEP_2) | instskip(SKIP_1) | instid1(VALU_DEP_2)
	v_add_co_u32 v17, vcc_lo, 0, v27
	s_waitcnt lgkmcnt(0)
	v_add_co_ci_u32_e32 v18, vcc_lo, v28, v18, vcc_lo
.LBB43_68:                              ;   in Loop: Header=BB43_59 Depth=1
	s_or_b32 exec_lo, exec_lo, s11
	s_waitcnt lgkmcnt(1)
	ds_bpermute_b32 v55, v49, v27
	s_waitcnt lgkmcnt(1)
	ds_bpermute_b32 v28, v49, v18
	s_mov_b32 s11, exec_lo
	v_cmpx_le_u32_e64 v50, v20
	;; [unrolled: 17-line block ×3, first 2 shown]
	s_cbranch_execz .LBB43_72
; %bb.71:                               ;   in Loop: Header=BB43_59 Depth=1
	s_waitcnt lgkmcnt(1)
	v_add_co_u32 v27, vcc_lo, v17, v55
	v_add_co_ci_u32_e32 v18, vcc_lo, 0, v18, vcc_lo
	s_delay_alu instid0(VALU_DEP_2) | instskip(SKIP_1) | instid1(VALU_DEP_2)
	v_add_co_u32 v17, vcc_lo, 0, v27
	s_waitcnt lgkmcnt(0)
	v_add_co_ci_u32_e32 v18, vcc_lo, v28, v18, vcc_lo
.LBB43_72:                              ;   in Loop: Header=BB43_59 Depth=1
	s_or_b32 exec_lo, exec_lo, s11
	s_waitcnt lgkmcnt(0)
	ds_bpermute_b32 v28, v53, v27
	ds_bpermute_b32 v27, v53, v18
	s_mov_b32 s11, exec_lo
	v_cmpx_le_u32_e64 v54, v20
	s_cbranch_execz .LBB43_58
; %bb.73:                               ;   in Loop: Header=BB43_59 Depth=1
	s_waitcnt lgkmcnt(1)
	v_add_co_u32 v17, vcc_lo, v17, v28
	v_add_co_ci_u32_e32 v18, vcc_lo, 0, v18, vcc_lo
	s_delay_alu instid0(VALU_DEP_2) | instskip(SKIP_1) | instid1(VALU_DEP_2)
	v_add_co_u32 v17, vcc_lo, v17, 0
	s_waitcnt lgkmcnt(0)
	v_add_co_ci_u32_e32 v18, vcc_lo, v18, v27, vcc_lo
	s_branch .LBB43_58
.LBB43_74:                              ;   in Loop: Header=BB43_59 Depth=1
                                        ; implicit-def: $vgpr17_vgpr18
	s_cbranch_execz .LBB43_59
; %bb.75:
	s_and_saveexec_b32 s11, s3
	s_cbranch_execz .LBB43_77
; %bb.76:
	s_add_i32 s12, s15, 32
	s_mov_b32 s13, 0
	v_add_co_u32 v17, vcc_lo, v15, v13
	s_lshl_b64 s[12:13], s[12:13], 4
	v_dual_mov_b32 v19, 2 :: v_dual_mov_b32 v20, 0
	s_add_u32 s12, s8, s12
	s_addc_u32 s13, s9, s13
	v_add_co_ci_u32_e32 v18, vcc_lo, v16, v14, vcc_lo
	v_dual_mov_b32 v26, s13 :: v_dual_mov_b32 v25, s12
	;;#ASMSTART
	global_store_dwordx4 v[25:26], v[17:20] off	
s_waitcnt vmcnt(0)
	;;#ASMEND
	ds_store_b128 v20, v[13:16] offset:6144
.LBB43_77:
	s_or_b32 exec_lo, exec_lo, s11
	v_cmp_eq_u32_e32 vcc_lo, 0, v0
	s_and_b32 exec_lo, exec_lo, vcc_lo
	s_cbranch_execz .LBB43_79
; %bb.78:
	v_mov_b32_e32 v13, 0
	ds_store_b64 v13, v[15:16] offset:24
.LBB43_79:
	s_or_b32 exec_lo, exec_lo, s10
	s_waitcnt lgkmcnt(1)
	v_cndmask_b32_e64 v16, v29, v23, s3
	v_cmp_ne_u32_e32 vcc_lo, 0, v0
	v_mov_b32_e32 v15, 0
	s_waitcnt lgkmcnt(0)
	s_barrier
	buffer_gl0_inv
	v_cndmask_b32_e32 v16, 0, v16, vcc_lo
	ds_load_b64 v[13:14], v15 offset:24
	v_cndmask_b32_e64 v17, v30, v24, s3
	s_waitcnt lgkmcnt(0)
	s_barrier
	buffer_gl0_inv
	v_cndmask_b32_e32 v17, 0, v17, vcc_lo
	v_add_co_u32 v29, vcc_lo, v13, v16
	s_delay_alu instid0(VALU_DEP_2) | instskip(SKIP_3) | instid1(VALU_DEP_2)
	v_add_co_ci_u32_e32 v30, vcc_lo, v14, v17, vcc_lo
	ds_load_b128 v[13:16], v15 offset:6144
	v_add_co_u32 v27, vcc_lo, v29, v41
	v_add_co_ci_u32_e32 v28, vcc_lo, 0, v30, vcc_lo
	v_add_co_u32 v25, vcc_lo, v27, v40
	s_delay_alu instid0(VALU_DEP_2) | instskip(NEXT) | instid1(VALU_DEP_2)
	v_add_co_ci_u32_e32 v26, vcc_lo, 0, v28, vcc_lo
	v_add_co_u32 v23, vcc_lo, v25, v39
	s_delay_alu instid0(VALU_DEP_2) | instskip(NEXT) | instid1(VALU_DEP_2)
	;; [unrolled: 3-line block ×3, first 2 shown]
	v_add_co_ci_u32_e32 v20, vcc_lo, 0, v24, vcc_lo
	v_add_co_u32 v17, vcc_lo, v19, v37
	s_delay_alu instid0(VALU_DEP_2)
	v_add_co_ci_u32_e32 v18, vcc_lo, 0, v20, vcc_lo
	s_load_b64 s[10:11], s[0:1], 0x30
.LBB43_80:
	s_waitcnt lgkmcnt(0)
	v_cmp_gt_u64_e32 vcc_lo, 0x81, v[13:14]
	s_mov_b32 s0, -1
	s_cbranch_vccnz .LBB43_108
.LBB43_81:
	s_and_b32 vcc_lo, exec_lo, s0
	s_cbranch_vccnz .LBB43_127
.LBB43_82:
	v_cmp_eq_u32_e32 vcc_lo, 0, v0
	s_and_b32 s0, vcc_lo, s14
	s_delay_alu instid0(SALU_CYCLE_1)
	s_and_saveexec_b32 s1, s0
	s_cbranch_execnz .LBB43_143
.LBB43_83:
	s_nop 0
	s_sendmsg sendmsg(MSG_DEALLOC_VGPRS)
	s_endpgm
.LBB43_84:
                                        ; kill: def $vgpr13_vgpr14 killed $sgpr0_sgpr1 killed $exec
                                        ; implicit-def: $vgpr17_vgpr18
                                        ; implicit-def: $vgpr19_vgpr20
                                        ; implicit-def: $vgpr23_vgpr24
                                        ; implicit-def: $vgpr25_vgpr26
                                        ; implicit-def: $vgpr27_vgpr28
                                        ; implicit-def: $vgpr29_vgpr30
                                        ; implicit-def: $vgpr15_vgpr16
	s_load_b64 s[10:11], s[0:1], 0x30
	s_and_b32 vcc_lo, exec_lo, s3
	s_cbranch_vccz .LBB43_80
; %bb.85:
	s_waitcnt lgkmcnt(0)
	v_dual_mov_b32 v14, 0 :: v_dual_mov_b32 v15, v21
	v_mov_b32_dpp v16, v21 row_shr:1 row_mask:0xf bank_mask:0xf
	s_delay_alu instid0(VALU_DEP_2)
	v_mov_b32_dpp v13, v14 row_shr:1 row_mask:0xf bank_mask:0xf
	s_and_saveexec_b32 s0, s2
; %bb.86:
	s_delay_alu instid0(VALU_DEP_2) | instskip(SKIP_1) | instid1(VALU_DEP_2)
	v_add_co_u32 v15, vcc_lo, v21, v16
	v_add_co_ci_u32_e32 v14, vcc_lo, 0, v22, vcc_lo
	v_add_co_u32 v21, vcc_lo, 0, v15
	s_delay_alu instid0(VALU_DEP_2) | instskip(NEXT) | instid1(VALU_DEP_1)
	v_add_co_ci_u32_e32 v22, vcc_lo, v13, v14, vcc_lo
	v_mov_b32_e32 v14, v22
; %bb.87:
	s_or_b32 exec_lo, exec_lo, s0
	v_mov_b32_dpp v13, v15 row_shr:2 row_mask:0xf bank_mask:0xf
	s_delay_alu instid0(VALU_DEP_2)
	v_mov_b32_dpp v16, v14 row_shr:2 row_mask:0xf bank_mask:0xf
	s_mov_b32 s0, exec_lo
	v_cmpx_lt_u32_e32 1, v44
; %bb.88:
	s_delay_alu instid0(VALU_DEP_3) | instskip(SKIP_1) | instid1(VALU_DEP_2)
	v_add_co_u32 v15, vcc_lo, v21, v13
	v_add_co_ci_u32_e32 v14, vcc_lo, 0, v22, vcc_lo
	v_add_co_u32 v13, vcc_lo, 0, v15
	s_delay_alu instid0(VALU_DEP_2) | instskip(NEXT) | instid1(VALU_DEP_1)
	v_add_co_ci_u32_e32 v14, vcc_lo, v16, v14, vcc_lo
	v_dual_mov_b32 v22, v14 :: v_dual_mov_b32 v21, v13
; %bb.89:
	s_or_b32 exec_lo, exec_lo, s0
	v_mov_b32_dpp v13, v15 row_shr:4 row_mask:0xf bank_mask:0xf
	v_mov_b32_dpp v16, v14 row_shr:4 row_mask:0xf bank_mask:0xf
	s_mov_b32 s0, exec_lo
	v_cmpx_lt_u32_e32 3, v44
; %bb.90:
	s_delay_alu instid0(VALU_DEP_3) | instskip(SKIP_1) | instid1(VALU_DEP_2)
	v_add_co_u32 v15, vcc_lo, v21, v13
	v_add_co_ci_u32_e32 v14, vcc_lo, 0, v22, vcc_lo
	v_add_co_u32 v13, vcc_lo, 0, v15
	s_delay_alu instid0(VALU_DEP_2) | instskip(NEXT) | instid1(VALU_DEP_1)
	v_add_co_ci_u32_e32 v14, vcc_lo, v16, v14, vcc_lo
	v_dual_mov_b32 v22, v14 :: v_dual_mov_b32 v21, v13
; %bb.91:
	s_or_b32 exec_lo, exec_lo, s0
	v_mov_b32_dpp v16, v15 row_shr:8 row_mask:0xf bank_mask:0xf
	v_mov_b32_dpp v13, v14 row_shr:8 row_mask:0xf bank_mask:0xf
	s_mov_b32 s0, exec_lo
	v_cmpx_lt_u32_e32 7, v44
; %bb.92:
	s_delay_alu instid0(VALU_DEP_3) | instskip(SKIP_1) | instid1(VALU_DEP_2)
	v_add_co_u32 v15, vcc_lo, v21, v16
	v_add_co_ci_u32_e32 v14, vcc_lo, 0, v22, vcc_lo
	v_add_co_u32 v21, vcc_lo, 0, v15
	s_delay_alu instid0(VALU_DEP_2) | instskip(NEXT) | instid1(VALU_DEP_1)
	v_add_co_ci_u32_e32 v22, vcc_lo, v13, v14, vcc_lo
	v_mov_b32_e32 v14, v22
; %bb.93:
	s_or_b32 exec_lo, exec_lo, s0
	ds_swizzle_b32 v15, v15 offset:swizzle(BROADCAST,32,15)
	ds_swizzle_b32 v13, v14 offset:swizzle(BROADCAST,32,15)
	v_and_b32_e32 v14, 16, v42
	s_mov_b32 s0, exec_lo
	s_delay_alu instid0(VALU_DEP_1)
	v_cmpx_ne_u32_e32 0, v14
	s_cbranch_execz .LBB43_95
; %bb.94:
	s_waitcnt lgkmcnt(1)
	v_add_co_u32 v14, vcc_lo, v21, v15
	v_add_co_ci_u32_e32 v15, vcc_lo, 0, v22, vcc_lo
	s_delay_alu instid0(VALU_DEP_2) | instskip(SKIP_1) | instid1(VALU_DEP_2)
	v_add_co_u32 v21, vcc_lo, v14, 0
	s_waitcnt lgkmcnt(0)
	v_add_co_ci_u32_e32 v22, vcc_lo, v15, v13, vcc_lo
.LBB43_95:
	s_or_b32 exec_lo, exec_lo, s0
	s_waitcnt lgkmcnt(0)
	v_or_b32_e32 v13, 31, v0
	v_lshrrev_b32_e32 v15, 5, v0
	s_mov_b32 s0, exec_lo
	s_delay_alu instid0(VALU_DEP_2)
	v_cmpx_eq_u32_e64 v13, v0
	s_cbranch_execz .LBB43_97
; %bb.96:
	s_delay_alu instid0(VALU_DEP_2)
	v_lshlrev_b32_e32 v13, 3, v15
	ds_store_b64 v13, v[21:22]
.LBB43_97:
	s_or_b32 exec_lo, exec_lo, s0
	s_delay_alu instid0(SALU_CYCLE_1)
	s_mov_b32 s0, exec_lo
	s_waitcnt lgkmcnt(0)
	s_barrier
	buffer_gl0_inv
	v_cmpx_gt_u32_e32 4, v0
	s_cbranch_execz .LBB43_103
; %bb.98:
	v_lshlrev_b32_e32 v13, 1, v0
	s_mov_b32 s1, exec_lo
	s_delay_alu instid0(VALU_DEP_1)
	v_add_nc_u32_e32 v16, v43, v13
	ds_load_b64 v[13:14], v16
	s_waitcnt lgkmcnt(0)
	v_dual_mov_b32 v18, v13 :: v_dual_and_b32 v17, 3, v42
	v_mov_b32_dpp v20, v13 row_shr:1 row_mask:0xf bank_mask:0xf
	v_mov_b32_dpp v19, v14 row_shr:1 row_mask:0xf bank_mask:0xf
	s_delay_alu instid0(VALU_DEP_3)
	v_cmpx_ne_u32_e32 0, v17
; %bb.99:
	s_delay_alu instid0(VALU_DEP_3) | instskip(SKIP_1) | instid1(VALU_DEP_2)
	v_add_co_u32 v18, vcc_lo, v13, v20
	v_add_co_ci_u32_e32 v14, vcc_lo, 0, v14, vcc_lo
	v_add_co_u32 v13, vcc_lo, 0, v18
	s_delay_alu instid0(VALU_DEP_2)
	v_add_co_ci_u32_e32 v14, vcc_lo, v19, v14, vcc_lo
; %bb.100:
	s_or_b32 exec_lo, exec_lo, s1
	v_mov_b32_dpp v19, v18 row_shr:2 row_mask:0xf bank_mask:0xf
	s_delay_alu instid0(VALU_DEP_2)
	v_mov_b32_dpp v18, v14 row_shr:2 row_mask:0xf bank_mask:0xf
	s_mov_b32 s1, exec_lo
	v_cmpx_lt_u32_e32 1, v17
; %bb.101:
	s_delay_alu instid0(VALU_DEP_3) | instskip(SKIP_1) | instid1(VALU_DEP_2)
	v_add_co_u32 v13, vcc_lo, v13, v19
	v_add_co_ci_u32_e32 v14, vcc_lo, 0, v14, vcc_lo
	v_add_co_u32 v13, vcc_lo, v13, 0
	s_delay_alu instid0(VALU_DEP_2)
	v_add_co_ci_u32_e32 v14, vcc_lo, v14, v18, vcc_lo
; %bb.102:
	s_or_b32 exec_lo, exec_lo, s1
	ds_store_b64 v16, v[13:14]
.LBB43_103:
	s_or_b32 exec_lo, exec_lo, s0
	v_mov_b32_e32 v17, 0
	v_mov_b32_e32 v18, 0
	s_mov_b32 s0, exec_lo
	s_waitcnt lgkmcnt(0)
	s_barrier
	buffer_gl0_inv
	v_cmpx_lt_u32_e32 31, v0
	s_cbranch_execz .LBB43_105
; %bb.104:
	v_lshl_add_u32 v13, v15, 3, -8
	ds_load_b64 v[17:18], v13
.LBB43_105:
	s_or_b32 exec_lo, exec_lo, s0
	v_dual_mov_b32 v16, 0 :: v_dual_add_nc_u32 v13, -1, v42
	s_delay_alu instid0(VALU_DEP_1) | instskip(SKIP_4) | instid1(VALU_DEP_3)
	v_cmp_gt_i32_e32 vcc_lo, 0, v13
	v_cndmask_b32_e32 v13, v13, v42, vcc_lo
	s_waitcnt lgkmcnt(0)
	v_add_co_u32 v14, vcc_lo, v17, v21
	v_add_co_ci_u32_e32 v15, vcc_lo, v18, v22, vcc_lo
	v_lshlrev_b32_e32 v13, 2, v13
	v_cmp_eq_u32_e32 vcc_lo, 0, v0
	ds_bpermute_b32 v19, v13, v14
	ds_bpermute_b32 v20, v13, v15
	ds_load_b64 v[13:14], v16 offset:24
	s_and_saveexec_b32 s0, vcc_lo
	s_cbranch_execz .LBB43_107
; %bb.106:
	s_add_u32 s2, s8, 0x200
	s_addc_u32 s3, s9, 0
	s_delay_alu instid0(SALU_CYCLE_1)
	v_dual_mov_b32 v15, 2 :: v_dual_mov_b32 v22, s3
	v_mov_b32_e32 v21, s2
	s_waitcnt lgkmcnt(0)
	;;#ASMSTART
	global_store_dwordx4 v[21:22], v[13:16] off	
s_waitcnt vmcnt(0)
	;;#ASMEND
.LBB43_107:
	s_or_b32 exec_lo, exec_lo, s0
	v_cmp_eq_u32_e64 s0, 0, v42
	s_waitcnt lgkmcnt(0)
	s_barrier
	buffer_gl0_inv
	v_cndmask_b32_e64 v15, v19, v17, s0
	v_cndmask_b32_e64 v16, v20, v18, s0
	s_delay_alu instid0(VALU_DEP_2) | instskip(NEXT) | instid1(VALU_DEP_2)
	v_cndmask_b32_e64 v29, v15, 0, vcc_lo
	v_cndmask_b32_e64 v30, v16, 0, vcc_lo
	v_mov_b32_e32 v15, 0
	v_mov_b32_e32 v16, 0
	s_delay_alu instid0(VALU_DEP_4) | instskip(NEXT) | instid1(VALU_DEP_4)
	v_add_co_u32 v27, vcc_lo, v29, v41
	v_add_co_ci_u32_e32 v28, vcc_lo, 0, v30, vcc_lo
	s_delay_alu instid0(VALU_DEP_2) | instskip(NEXT) | instid1(VALU_DEP_2)
	v_add_co_u32 v25, vcc_lo, v27, v40
	v_add_co_ci_u32_e32 v26, vcc_lo, 0, v28, vcc_lo
	s_delay_alu instid0(VALU_DEP_2) | instskip(NEXT) | instid1(VALU_DEP_2)
	;; [unrolled: 3-line block ×4, first 2 shown]
	v_add_co_u32 v17, vcc_lo, v19, v37
	v_add_co_ci_u32_e32 v18, vcc_lo, 0, v20, vcc_lo
	v_cmp_gt_u64_e32 vcc_lo, 0x81, v[13:14]
	s_mov_b32 s0, -1
	s_cbranch_vccz .LBB43_81
.LBB43_108:
	v_add_co_u32 v21, vcc_lo, v15, v13
	v_add_co_ci_u32_e32 v22, vcc_lo, v16, v14, vcc_lo
	s_delay_alu instid0(VALU_DEP_1) | instskip(SKIP_1) | instid1(SALU_CYCLE_1)
	v_cmp_lt_u64_e32 vcc_lo, v[29:30], v[21:22]
	s_or_b32 s1, s16, vcc_lo
	s_and_saveexec_b32 s0, s1
	s_cbranch_execz .LBB43_111
; %bb.109:
	v_and_b32_e32 v37, 1, v36
	s_delay_alu instid0(VALU_DEP_1)
	v_cmp_eq_u32_e32 vcc_lo, 1, v37
	s_and_b32 exec_lo, exec_lo, vcc_lo
	s_cbranch_execz .LBB43_111
; %bb.110:
	v_lshlrev_b64 v[37:38], 3, v[29:30]
	s_lshl_b64 s[2:3], s[6:7], 3
	s_delay_alu instid0(SALU_CYCLE_1) | instskip(SKIP_1) | instid1(VALU_DEP_1)
	s_add_u32 s1, s10, s2
	s_addc_u32 s2, s11, s3
	v_add_co_u32 v37, vcc_lo, s1, v37
	s_delay_alu instid0(VALU_DEP_2)
	v_add_co_ci_u32_e32 v38, vcc_lo, s2, v38, vcc_lo
	global_store_b64 v[37:38], v[9:10], off
.LBB43_111:
	s_or_b32 exec_lo, exec_lo, s0
	v_cmp_lt_u64_e32 vcc_lo, v[27:28], v[21:22]
	s_or_b32 s1, s16, vcc_lo
	s_delay_alu instid0(SALU_CYCLE_1)
	s_and_saveexec_b32 s0, s1
	s_cbranch_execz .LBB43_114
; %bb.112:
	v_and_b32_e32 v30, 1, v34
	s_delay_alu instid0(VALU_DEP_1)
	v_cmp_eq_u32_e32 vcc_lo, 1, v30
	s_and_b32 exec_lo, exec_lo, vcc_lo
	s_cbranch_execz .LBB43_114
; %bb.113:
	v_lshlrev_b64 v[37:38], 3, v[27:28]
	s_lshl_b64 s[2:3], s[6:7], 3
	s_delay_alu instid0(SALU_CYCLE_1) | instskip(SKIP_1) | instid1(VALU_DEP_1)
	s_add_u32 s1, s10, s2
	s_addc_u32 s2, s11, s3
	v_add_co_u32 v37, vcc_lo, s1, v37
	s_delay_alu instid0(VALU_DEP_2)
	v_add_co_ci_u32_e32 v38, vcc_lo, s2, v38, vcc_lo
	global_store_b64 v[37:38], v[11:12], off
.LBB43_114:
	s_or_b32 exec_lo, exec_lo, s0
	v_cmp_lt_u64_e32 vcc_lo, v[25:26], v[21:22]
	s_or_b32 s1, s16, vcc_lo
	s_delay_alu instid0(SALU_CYCLE_1)
	;; [unrolled: 23-line block ×5, first 2 shown]
	s_and_saveexec_b32 s0, s1
	s_cbranch_execz .LBB43_126
; %bb.124:
	v_and_b32_e32 v20, 1, v32
	s_delay_alu instid0(VALU_DEP_1)
	v_cmp_eq_u32_e32 vcc_lo, 1, v20
	s_and_b32 exec_lo, exec_lo, vcc_lo
	s_cbranch_execz .LBB43_126
; %bb.125:
	v_lshlrev_b64 v[20:21], 3, v[17:18]
	s_lshl_b64 s[2:3], s[6:7], 3
	s_delay_alu instid0(SALU_CYCLE_1) | instskip(SKIP_1) | instid1(VALU_DEP_1)
	s_add_u32 s1, s10, s2
	s_addc_u32 s2, s11, s3
	v_add_co_u32 v20, vcc_lo, s1, v20
	s_delay_alu instid0(VALU_DEP_2)
	v_add_co_ci_u32_e32 v21, vcc_lo, s2, v21, vcc_lo
	global_store_b64 v[20:21], v[3:4], off
.LBB43_126:
	s_or_b32 exec_lo, exec_lo, s0
	s_branch .LBB43_82
.LBB43_127:
	v_and_b32_e32 v18, 1, v36
	s_mov_b32 s0, exec_lo
	s_delay_alu instid0(VALU_DEP_1)
	v_cmpx_eq_u32_e32 1, v18
	s_cbranch_execz .LBB43_129
; %bb.128:
	v_sub_nc_u32_e32 v18, v29, v15
	s_delay_alu instid0(VALU_DEP_1)
	v_lshlrev_b32_e32 v18, 3, v18
	ds_store_b64 v18, v[9:10]
.LBB43_129:
	s_or_b32 exec_lo, exec_lo, s0
	v_and_b32_e32 v9, 1, v34
	s_mov_b32 s0, exec_lo
	s_delay_alu instid0(VALU_DEP_1)
	v_cmpx_eq_u32_e32 1, v9
	s_cbranch_execz .LBB43_131
; %bb.130:
	v_sub_nc_u32_e32 v9, v27, v15
	s_delay_alu instid0(VALU_DEP_1)
	v_lshlrev_b32_e32 v9, 3, v9
	ds_store_b64 v9, v[11:12]
.LBB43_131:
	s_or_b32 exec_lo, exec_lo, s0
	;; [unrolled: 12-line block ×6, first 2 shown]
	v_mov_b32_e32 v3, 0
	s_mov_b32 s1, exec_lo
	s_waitcnt lgkmcnt(0)
	s_waitcnt_vscnt null, 0x0
	s_barrier
	buffer_gl0_inv
	v_mov_b32_e32 v1, v3
	s_delay_alu instid0(VALU_DEP_1)
	v_cmpx_gt_u64_e64 v[13:14], v[0:1]
	s_cbranch_execz .LBB43_142
; %bb.140:
	v_lshlrev_b64 v[4:5], 3, v[15:16]
	s_lshl_b64 s[2:3], s[6:7], 3
	v_or_b32_e32 v2, 0x80, v0
	s_delay_alu instid0(VALU_DEP_2) | instskip(NEXT) | instid1(VALU_DEP_3)
	v_add_co_u32 v4, vcc_lo, s10, v4
	v_add_co_ci_u32_e32 v5, vcc_lo, s11, v5, vcc_lo
	s_delay_alu instid0(VALU_DEP_2) | instskip(NEXT) | instid1(VALU_DEP_2)
	v_add_co_u32 v6, vcc_lo, v4, s2
	v_add_co_ci_u32_e32 v7, vcc_lo, s3, v5, vcc_lo
	v_dual_mov_b32 v5, v1 :: v_dual_mov_b32 v4, v0
	s_mov_b32 s2, 0
	.p2align	6
.LBB43_141:                             ; =>This Inner Loop Header: Depth=1
	s_delay_alu instid0(VALU_DEP_1) | instskip(NEXT) | instid1(VALU_DEP_2)
	v_lshlrev_b32_e32 v1, 3, v4
	v_lshlrev_b64 v[10:11], 3, v[4:5]
	v_dual_mov_b32 v5, v3 :: v_dual_mov_b32 v4, v2
	v_cmp_le_u64_e32 vcc_lo, v[13:14], v[2:3]
	v_add_nc_u32_e32 v2, 0x80, v2
	ds_load_b64 v[8:9], v1
	v_add_co_u32 v10, s0, v6, v10
	s_delay_alu instid0(VALU_DEP_1)
	v_add_co_ci_u32_e64 v11, s0, v7, v11, s0
	s_or_b32 s2, vcc_lo, s2
	s_waitcnt lgkmcnt(0)
	global_store_b64 v[10:11], v[8:9], off
	s_and_not1_b32 exec_lo, exec_lo, s2
	s_cbranch_execnz .LBB43_141
.LBB43_142:
	s_or_b32 exec_lo, exec_lo, s1
	v_cmp_eq_u32_e32 vcc_lo, 0, v0
	s_and_b32 s0, vcc_lo, s14
	s_delay_alu instid0(SALU_CYCLE_1)
	s_and_saveexec_b32 s1, s0
	s_cbranch_execz .LBB43_83
.LBB43_143:
	v_add_co_u32 v0, vcc_lo, v15, v13
	v_add_co_ci_u32_e32 v1, vcc_lo, v16, v14, vcc_lo
	v_mov_b32_e32 v2, 0
	s_delay_alu instid0(VALU_DEP_3) | instskip(NEXT) | instid1(VALU_DEP_3)
	v_add_co_u32 v0, vcc_lo, v0, s6
	v_add_co_ci_u32_e32 v1, vcc_lo, s7, v1, vcc_lo
	global_store_b64 v2, v[0:1], s[4:5]
	s_nop 0
	s_sendmsg sendmsg(MSG_DEALLOC_VGPRS)
	s_endpgm
	.section	.rodata,"a",@progbits
	.p2align	6, 0x0
	.amdhsa_kernel _ZN7rocprim17ROCPRIM_400000_NS6detail17trampoline_kernelINS0_14default_configENS1_25partition_config_selectorILNS1_17partition_subalgoE5ElNS0_10empty_typeEbEEZZNS1_14partition_implILS5_5ELb0ES3_mN6hipcub16HIPCUB_304000_NS21CountingInputIteratorIllEEPS6_NSA_22TransformInputIteratorIb7NonZeroIaEPalEENS0_5tupleIJPlS6_EEENSJ_IJSD_SD_EEES6_SK_JS6_EEE10hipError_tPvRmT3_T4_T5_T6_T7_T9_mT8_P12ihipStream_tbDpT10_ENKUlT_T0_E_clISt17integral_constantIbLb0EES16_EEDaS11_S12_EUlS11_E_NS1_11comp_targetILNS1_3genE9ELNS1_11target_archE1100ELNS1_3gpuE3ELNS1_3repE0EEENS1_30default_config_static_selectorELNS0_4arch9wavefront6targetE0EEEvT1_
		.amdhsa_group_segment_fixed_size 6160
		.amdhsa_private_segment_fixed_size 0
		.amdhsa_kernarg_size 120
		.amdhsa_user_sgpr_count 15
		.amdhsa_user_sgpr_dispatch_ptr 0
		.amdhsa_user_sgpr_queue_ptr 0
		.amdhsa_user_sgpr_kernarg_segment_ptr 1
		.amdhsa_user_sgpr_dispatch_id 0
		.amdhsa_user_sgpr_private_segment_size 0
		.amdhsa_wavefront_size32 1
		.amdhsa_uses_dynamic_stack 0
		.amdhsa_enable_private_segment 0
		.amdhsa_system_sgpr_workgroup_id_x 1
		.amdhsa_system_sgpr_workgroup_id_y 0
		.amdhsa_system_sgpr_workgroup_id_z 0
		.amdhsa_system_sgpr_workgroup_info 0
		.amdhsa_system_vgpr_workitem_id 0
		.amdhsa_next_free_vgpr 57
		.amdhsa_next_free_sgpr 20
		.amdhsa_reserve_vcc 1
		.amdhsa_float_round_mode_32 0
		.amdhsa_float_round_mode_16_64 0
		.amdhsa_float_denorm_mode_32 3
		.amdhsa_float_denorm_mode_16_64 3
		.amdhsa_dx10_clamp 1
		.amdhsa_ieee_mode 1
		.amdhsa_fp16_overflow 0
		.amdhsa_workgroup_processor_mode 1
		.amdhsa_memory_ordered 1
		.amdhsa_forward_progress 0
		.amdhsa_shared_vgpr_count 0
		.amdhsa_exception_fp_ieee_invalid_op 0
		.amdhsa_exception_fp_denorm_src 0
		.amdhsa_exception_fp_ieee_div_zero 0
		.amdhsa_exception_fp_ieee_overflow 0
		.amdhsa_exception_fp_ieee_underflow 0
		.amdhsa_exception_fp_ieee_inexact 0
		.amdhsa_exception_int_div_zero 0
	.end_amdhsa_kernel
	.section	.text._ZN7rocprim17ROCPRIM_400000_NS6detail17trampoline_kernelINS0_14default_configENS1_25partition_config_selectorILNS1_17partition_subalgoE5ElNS0_10empty_typeEbEEZZNS1_14partition_implILS5_5ELb0ES3_mN6hipcub16HIPCUB_304000_NS21CountingInputIteratorIllEEPS6_NSA_22TransformInputIteratorIb7NonZeroIaEPalEENS0_5tupleIJPlS6_EEENSJ_IJSD_SD_EEES6_SK_JS6_EEE10hipError_tPvRmT3_T4_T5_T6_T7_T9_mT8_P12ihipStream_tbDpT10_ENKUlT_T0_E_clISt17integral_constantIbLb0EES16_EEDaS11_S12_EUlS11_E_NS1_11comp_targetILNS1_3genE9ELNS1_11target_archE1100ELNS1_3gpuE3ELNS1_3repE0EEENS1_30default_config_static_selectorELNS0_4arch9wavefront6targetE0EEEvT1_,"axG",@progbits,_ZN7rocprim17ROCPRIM_400000_NS6detail17trampoline_kernelINS0_14default_configENS1_25partition_config_selectorILNS1_17partition_subalgoE5ElNS0_10empty_typeEbEEZZNS1_14partition_implILS5_5ELb0ES3_mN6hipcub16HIPCUB_304000_NS21CountingInputIteratorIllEEPS6_NSA_22TransformInputIteratorIb7NonZeroIaEPalEENS0_5tupleIJPlS6_EEENSJ_IJSD_SD_EEES6_SK_JS6_EEE10hipError_tPvRmT3_T4_T5_T6_T7_T9_mT8_P12ihipStream_tbDpT10_ENKUlT_T0_E_clISt17integral_constantIbLb0EES16_EEDaS11_S12_EUlS11_E_NS1_11comp_targetILNS1_3genE9ELNS1_11target_archE1100ELNS1_3gpuE3ELNS1_3repE0EEENS1_30default_config_static_selectorELNS0_4arch9wavefront6targetE0EEEvT1_,comdat
.Lfunc_end43:
	.size	_ZN7rocprim17ROCPRIM_400000_NS6detail17trampoline_kernelINS0_14default_configENS1_25partition_config_selectorILNS1_17partition_subalgoE5ElNS0_10empty_typeEbEEZZNS1_14partition_implILS5_5ELb0ES3_mN6hipcub16HIPCUB_304000_NS21CountingInputIteratorIllEEPS6_NSA_22TransformInputIteratorIb7NonZeroIaEPalEENS0_5tupleIJPlS6_EEENSJ_IJSD_SD_EEES6_SK_JS6_EEE10hipError_tPvRmT3_T4_T5_T6_T7_T9_mT8_P12ihipStream_tbDpT10_ENKUlT_T0_E_clISt17integral_constantIbLb0EES16_EEDaS11_S12_EUlS11_E_NS1_11comp_targetILNS1_3genE9ELNS1_11target_archE1100ELNS1_3gpuE3ELNS1_3repE0EEENS1_30default_config_static_selectorELNS0_4arch9wavefront6targetE0EEEvT1_, .Lfunc_end43-_ZN7rocprim17ROCPRIM_400000_NS6detail17trampoline_kernelINS0_14default_configENS1_25partition_config_selectorILNS1_17partition_subalgoE5ElNS0_10empty_typeEbEEZZNS1_14partition_implILS5_5ELb0ES3_mN6hipcub16HIPCUB_304000_NS21CountingInputIteratorIllEEPS6_NSA_22TransformInputIteratorIb7NonZeroIaEPalEENS0_5tupleIJPlS6_EEENSJ_IJSD_SD_EEES6_SK_JS6_EEE10hipError_tPvRmT3_T4_T5_T6_T7_T9_mT8_P12ihipStream_tbDpT10_ENKUlT_T0_E_clISt17integral_constantIbLb0EES16_EEDaS11_S12_EUlS11_E_NS1_11comp_targetILNS1_3genE9ELNS1_11target_archE1100ELNS1_3gpuE3ELNS1_3repE0EEENS1_30default_config_static_selectorELNS0_4arch9wavefront6targetE0EEEvT1_
                                        ; -- End function
	.section	.AMDGPU.csdata,"",@progbits
; Kernel info:
; codeLenInByte = 6332
; NumSgprs: 22
; NumVgprs: 57
; ScratchSize: 0
; MemoryBound: 0
; FloatMode: 240
; IeeeMode: 1
; LDSByteSize: 6160 bytes/workgroup (compile time only)
; SGPRBlocks: 2
; VGPRBlocks: 7
; NumSGPRsForWavesPerEU: 22
; NumVGPRsForWavesPerEU: 57
; Occupancy: 16
; WaveLimiterHint : 1
; COMPUTE_PGM_RSRC2:SCRATCH_EN: 0
; COMPUTE_PGM_RSRC2:USER_SGPR: 15
; COMPUTE_PGM_RSRC2:TRAP_HANDLER: 0
; COMPUTE_PGM_RSRC2:TGID_X_EN: 1
; COMPUTE_PGM_RSRC2:TGID_Y_EN: 0
; COMPUTE_PGM_RSRC2:TGID_Z_EN: 0
; COMPUTE_PGM_RSRC2:TIDIG_COMP_CNT: 0
	.section	.text._ZN7rocprim17ROCPRIM_400000_NS6detail17trampoline_kernelINS0_14default_configENS1_25partition_config_selectorILNS1_17partition_subalgoE5ElNS0_10empty_typeEbEEZZNS1_14partition_implILS5_5ELb0ES3_mN6hipcub16HIPCUB_304000_NS21CountingInputIteratorIllEEPS6_NSA_22TransformInputIteratorIb7NonZeroIaEPalEENS0_5tupleIJPlS6_EEENSJ_IJSD_SD_EEES6_SK_JS6_EEE10hipError_tPvRmT3_T4_T5_T6_T7_T9_mT8_P12ihipStream_tbDpT10_ENKUlT_T0_E_clISt17integral_constantIbLb0EES16_EEDaS11_S12_EUlS11_E_NS1_11comp_targetILNS1_3genE8ELNS1_11target_archE1030ELNS1_3gpuE2ELNS1_3repE0EEENS1_30default_config_static_selectorELNS0_4arch9wavefront6targetE0EEEvT1_,"axG",@progbits,_ZN7rocprim17ROCPRIM_400000_NS6detail17trampoline_kernelINS0_14default_configENS1_25partition_config_selectorILNS1_17partition_subalgoE5ElNS0_10empty_typeEbEEZZNS1_14partition_implILS5_5ELb0ES3_mN6hipcub16HIPCUB_304000_NS21CountingInputIteratorIllEEPS6_NSA_22TransformInputIteratorIb7NonZeroIaEPalEENS0_5tupleIJPlS6_EEENSJ_IJSD_SD_EEES6_SK_JS6_EEE10hipError_tPvRmT3_T4_T5_T6_T7_T9_mT8_P12ihipStream_tbDpT10_ENKUlT_T0_E_clISt17integral_constantIbLb0EES16_EEDaS11_S12_EUlS11_E_NS1_11comp_targetILNS1_3genE8ELNS1_11target_archE1030ELNS1_3gpuE2ELNS1_3repE0EEENS1_30default_config_static_selectorELNS0_4arch9wavefront6targetE0EEEvT1_,comdat
	.protected	_ZN7rocprim17ROCPRIM_400000_NS6detail17trampoline_kernelINS0_14default_configENS1_25partition_config_selectorILNS1_17partition_subalgoE5ElNS0_10empty_typeEbEEZZNS1_14partition_implILS5_5ELb0ES3_mN6hipcub16HIPCUB_304000_NS21CountingInputIteratorIllEEPS6_NSA_22TransformInputIteratorIb7NonZeroIaEPalEENS0_5tupleIJPlS6_EEENSJ_IJSD_SD_EEES6_SK_JS6_EEE10hipError_tPvRmT3_T4_T5_T6_T7_T9_mT8_P12ihipStream_tbDpT10_ENKUlT_T0_E_clISt17integral_constantIbLb0EES16_EEDaS11_S12_EUlS11_E_NS1_11comp_targetILNS1_3genE8ELNS1_11target_archE1030ELNS1_3gpuE2ELNS1_3repE0EEENS1_30default_config_static_selectorELNS0_4arch9wavefront6targetE0EEEvT1_ ; -- Begin function _ZN7rocprim17ROCPRIM_400000_NS6detail17trampoline_kernelINS0_14default_configENS1_25partition_config_selectorILNS1_17partition_subalgoE5ElNS0_10empty_typeEbEEZZNS1_14partition_implILS5_5ELb0ES3_mN6hipcub16HIPCUB_304000_NS21CountingInputIteratorIllEEPS6_NSA_22TransformInputIteratorIb7NonZeroIaEPalEENS0_5tupleIJPlS6_EEENSJ_IJSD_SD_EEES6_SK_JS6_EEE10hipError_tPvRmT3_T4_T5_T6_T7_T9_mT8_P12ihipStream_tbDpT10_ENKUlT_T0_E_clISt17integral_constantIbLb0EES16_EEDaS11_S12_EUlS11_E_NS1_11comp_targetILNS1_3genE8ELNS1_11target_archE1030ELNS1_3gpuE2ELNS1_3repE0EEENS1_30default_config_static_selectorELNS0_4arch9wavefront6targetE0EEEvT1_
	.globl	_ZN7rocprim17ROCPRIM_400000_NS6detail17trampoline_kernelINS0_14default_configENS1_25partition_config_selectorILNS1_17partition_subalgoE5ElNS0_10empty_typeEbEEZZNS1_14partition_implILS5_5ELb0ES3_mN6hipcub16HIPCUB_304000_NS21CountingInputIteratorIllEEPS6_NSA_22TransformInputIteratorIb7NonZeroIaEPalEENS0_5tupleIJPlS6_EEENSJ_IJSD_SD_EEES6_SK_JS6_EEE10hipError_tPvRmT3_T4_T5_T6_T7_T9_mT8_P12ihipStream_tbDpT10_ENKUlT_T0_E_clISt17integral_constantIbLb0EES16_EEDaS11_S12_EUlS11_E_NS1_11comp_targetILNS1_3genE8ELNS1_11target_archE1030ELNS1_3gpuE2ELNS1_3repE0EEENS1_30default_config_static_selectorELNS0_4arch9wavefront6targetE0EEEvT1_
	.p2align	8
	.type	_ZN7rocprim17ROCPRIM_400000_NS6detail17trampoline_kernelINS0_14default_configENS1_25partition_config_selectorILNS1_17partition_subalgoE5ElNS0_10empty_typeEbEEZZNS1_14partition_implILS5_5ELb0ES3_mN6hipcub16HIPCUB_304000_NS21CountingInputIteratorIllEEPS6_NSA_22TransformInputIteratorIb7NonZeroIaEPalEENS0_5tupleIJPlS6_EEENSJ_IJSD_SD_EEES6_SK_JS6_EEE10hipError_tPvRmT3_T4_T5_T6_T7_T9_mT8_P12ihipStream_tbDpT10_ENKUlT_T0_E_clISt17integral_constantIbLb0EES16_EEDaS11_S12_EUlS11_E_NS1_11comp_targetILNS1_3genE8ELNS1_11target_archE1030ELNS1_3gpuE2ELNS1_3repE0EEENS1_30default_config_static_selectorELNS0_4arch9wavefront6targetE0EEEvT1_,@function
_ZN7rocprim17ROCPRIM_400000_NS6detail17trampoline_kernelINS0_14default_configENS1_25partition_config_selectorILNS1_17partition_subalgoE5ElNS0_10empty_typeEbEEZZNS1_14partition_implILS5_5ELb0ES3_mN6hipcub16HIPCUB_304000_NS21CountingInputIteratorIllEEPS6_NSA_22TransformInputIteratorIb7NonZeroIaEPalEENS0_5tupleIJPlS6_EEENSJ_IJSD_SD_EEES6_SK_JS6_EEE10hipError_tPvRmT3_T4_T5_T6_T7_T9_mT8_P12ihipStream_tbDpT10_ENKUlT_T0_E_clISt17integral_constantIbLb0EES16_EEDaS11_S12_EUlS11_E_NS1_11comp_targetILNS1_3genE8ELNS1_11target_archE1030ELNS1_3gpuE2ELNS1_3repE0EEENS1_30default_config_static_selectorELNS0_4arch9wavefront6targetE0EEEvT1_: ; @_ZN7rocprim17ROCPRIM_400000_NS6detail17trampoline_kernelINS0_14default_configENS1_25partition_config_selectorILNS1_17partition_subalgoE5ElNS0_10empty_typeEbEEZZNS1_14partition_implILS5_5ELb0ES3_mN6hipcub16HIPCUB_304000_NS21CountingInputIteratorIllEEPS6_NSA_22TransformInputIteratorIb7NonZeroIaEPalEENS0_5tupleIJPlS6_EEENSJ_IJSD_SD_EEES6_SK_JS6_EEE10hipError_tPvRmT3_T4_T5_T6_T7_T9_mT8_P12ihipStream_tbDpT10_ENKUlT_T0_E_clISt17integral_constantIbLb0EES16_EEDaS11_S12_EUlS11_E_NS1_11comp_targetILNS1_3genE8ELNS1_11target_archE1030ELNS1_3gpuE2ELNS1_3repE0EEENS1_30default_config_static_selectorELNS0_4arch9wavefront6targetE0EEEvT1_
; %bb.0:
	.section	.rodata,"a",@progbits
	.p2align	6, 0x0
	.amdhsa_kernel _ZN7rocprim17ROCPRIM_400000_NS6detail17trampoline_kernelINS0_14default_configENS1_25partition_config_selectorILNS1_17partition_subalgoE5ElNS0_10empty_typeEbEEZZNS1_14partition_implILS5_5ELb0ES3_mN6hipcub16HIPCUB_304000_NS21CountingInputIteratorIllEEPS6_NSA_22TransformInputIteratorIb7NonZeroIaEPalEENS0_5tupleIJPlS6_EEENSJ_IJSD_SD_EEES6_SK_JS6_EEE10hipError_tPvRmT3_T4_T5_T6_T7_T9_mT8_P12ihipStream_tbDpT10_ENKUlT_T0_E_clISt17integral_constantIbLb0EES16_EEDaS11_S12_EUlS11_E_NS1_11comp_targetILNS1_3genE8ELNS1_11target_archE1030ELNS1_3gpuE2ELNS1_3repE0EEENS1_30default_config_static_selectorELNS0_4arch9wavefront6targetE0EEEvT1_
		.amdhsa_group_segment_fixed_size 0
		.amdhsa_private_segment_fixed_size 0
		.amdhsa_kernarg_size 120
		.amdhsa_user_sgpr_count 15
		.amdhsa_user_sgpr_dispatch_ptr 0
		.amdhsa_user_sgpr_queue_ptr 0
		.amdhsa_user_sgpr_kernarg_segment_ptr 1
		.amdhsa_user_sgpr_dispatch_id 0
		.amdhsa_user_sgpr_private_segment_size 0
		.amdhsa_wavefront_size32 1
		.amdhsa_uses_dynamic_stack 0
		.amdhsa_enable_private_segment 0
		.amdhsa_system_sgpr_workgroup_id_x 1
		.amdhsa_system_sgpr_workgroup_id_y 0
		.amdhsa_system_sgpr_workgroup_id_z 0
		.amdhsa_system_sgpr_workgroup_info 0
		.amdhsa_system_vgpr_workitem_id 0
		.amdhsa_next_free_vgpr 1
		.amdhsa_next_free_sgpr 1
		.amdhsa_reserve_vcc 0
		.amdhsa_float_round_mode_32 0
		.amdhsa_float_round_mode_16_64 0
		.amdhsa_float_denorm_mode_32 3
		.amdhsa_float_denorm_mode_16_64 3
		.amdhsa_dx10_clamp 1
		.amdhsa_ieee_mode 1
		.amdhsa_fp16_overflow 0
		.amdhsa_workgroup_processor_mode 1
		.amdhsa_memory_ordered 1
		.amdhsa_forward_progress 0
		.amdhsa_shared_vgpr_count 0
		.amdhsa_exception_fp_ieee_invalid_op 0
		.amdhsa_exception_fp_denorm_src 0
		.amdhsa_exception_fp_ieee_div_zero 0
		.amdhsa_exception_fp_ieee_overflow 0
		.amdhsa_exception_fp_ieee_underflow 0
		.amdhsa_exception_fp_ieee_inexact 0
		.amdhsa_exception_int_div_zero 0
	.end_amdhsa_kernel
	.section	.text._ZN7rocprim17ROCPRIM_400000_NS6detail17trampoline_kernelINS0_14default_configENS1_25partition_config_selectorILNS1_17partition_subalgoE5ElNS0_10empty_typeEbEEZZNS1_14partition_implILS5_5ELb0ES3_mN6hipcub16HIPCUB_304000_NS21CountingInputIteratorIllEEPS6_NSA_22TransformInputIteratorIb7NonZeroIaEPalEENS0_5tupleIJPlS6_EEENSJ_IJSD_SD_EEES6_SK_JS6_EEE10hipError_tPvRmT3_T4_T5_T6_T7_T9_mT8_P12ihipStream_tbDpT10_ENKUlT_T0_E_clISt17integral_constantIbLb0EES16_EEDaS11_S12_EUlS11_E_NS1_11comp_targetILNS1_3genE8ELNS1_11target_archE1030ELNS1_3gpuE2ELNS1_3repE0EEENS1_30default_config_static_selectorELNS0_4arch9wavefront6targetE0EEEvT1_,"axG",@progbits,_ZN7rocprim17ROCPRIM_400000_NS6detail17trampoline_kernelINS0_14default_configENS1_25partition_config_selectorILNS1_17partition_subalgoE5ElNS0_10empty_typeEbEEZZNS1_14partition_implILS5_5ELb0ES3_mN6hipcub16HIPCUB_304000_NS21CountingInputIteratorIllEEPS6_NSA_22TransformInputIteratorIb7NonZeroIaEPalEENS0_5tupleIJPlS6_EEENSJ_IJSD_SD_EEES6_SK_JS6_EEE10hipError_tPvRmT3_T4_T5_T6_T7_T9_mT8_P12ihipStream_tbDpT10_ENKUlT_T0_E_clISt17integral_constantIbLb0EES16_EEDaS11_S12_EUlS11_E_NS1_11comp_targetILNS1_3genE8ELNS1_11target_archE1030ELNS1_3gpuE2ELNS1_3repE0EEENS1_30default_config_static_selectorELNS0_4arch9wavefront6targetE0EEEvT1_,comdat
.Lfunc_end44:
	.size	_ZN7rocprim17ROCPRIM_400000_NS6detail17trampoline_kernelINS0_14default_configENS1_25partition_config_selectorILNS1_17partition_subalgoE5ElNS0_10empty_typeEbEEZZNS1_14partition_implILS5_5ELb0ES3_mN6hipcub16HIPCUB_304000_NS21CountingInputIteratorIllEEPS6_NSA_22TransformInputIteratorIb7NonZeroIaEPalEENS0_5tupleIJPlS6_EEENSJ_IJSD_SD_EEES6_SK_JS6_EEE10hipError_tPvRmT3_T4_T5_T6_T7_T9_mT8_P12ihipStream_tbDpT10_ENKUlT_T0_E_clISt17integral_constantIbLb0EES16_EEDaS11_S12_EUlS11_E_NS1_11comp_targetILNS1_3genE8ELNS1_11target_archE1030ELNS1_3gpuE2ELNS1_3repE0EEENS1_30default_config_static_selectorELNS0_4arch9wavefront6targetE0EEEvT1_, .Lfunc_end44-_ZN7rocprim17ROCPRIM_400000_NS6detail17trampoline_kernelINS0_14default_configENS1_25partition_config_selectorILNS1_17partition_subalgoE5ElNS0_10empty_typeEbEEZZNS1_14partition_implILS5_5ELb0ES3_mN6hipcub16HIPCUB_304000_NS21CountingInputIteratorIllEEPS6_NSA_22TransformInputIteratorIb7NonZeroIaEPalEENS0_5tupleIJPlS6_EEENSJ_IJSD_SD_EEES6_SK_JS6_EEE10hipError_tPvRmT3_T4_T5_T6_T7_T9_mT8_P12ihipStream_tbDpT10_ENKUlT_T0_E_clISt17integral_constantIbLb0EES16_EEDaS11_S12_EUlS11_E_NS1_11comp_targetILNS1_3genE8ELNS1_11target_archE1030ELNS1_3gpuE2ELNS1_3repE0EEENS1_30default_config_static_selectorELNS0_4arch9wavefront6targetE0EEEvT1_
                                        ; -- End function
	.section	.AMDGPU.csdata,"",@progbits
; Kernel info:
; codeLenInByte = 0
; NumSgprs: 0
; NumVgprs: 0
; ScratchSize: 0
; MemoryBound: 0
; FloatMode: 240
; IeeeMode: 1
; LDSByteSize: 0 bytes/workgroup (compile time only)
; SGPRBlocks: 0
; VGPRBlocks: 0
; NumSGPRsForWavesPerEU: 1
; NumVGPRsForWavesPerEU: 1
; Occupancy: 16
; WaveLimiterHint : 0
; COMPUTE_PGM_RSRC2:SCRATCH_EN: 0
; COMPUTE_PGM_RSRC2:USER_SGPR: 15
; COMPUTE_PGM_RSRC2:TRAP_HANDLER: 0
; COMPUTE_PGM_RSRC2:TGID_X_EN: 1
; COMPUTE_PGM_RSRC2:TGID_Y_EN: 0
; COMPUTE_PGM_RSRC2:TGID_Z_EN: 0
; COMPUTE_PGM_RSRC2:TIDIG_COMP_CNT: 0
	.section	.text._ZN7rocprim17ROCPRIM_400000_NS6detail17trampoline_kernelINS0_14default_configENS1_25transform_config_selectorImLb1EEEZNS1_14transform_implILb1ES3_S5_PmPlNS0_8identityIvEEEE10hipError_tT2_T3_mT4_P12ihipStream_tbEUlT_E_NS1_11comp_targetILNS1_3genE0ELNS1_11target_archE4294967295ELNS1_3gpuE0ELNS1_3repE0EEENS1_30default_config_static_selectorELNS0_4arch9wavefront6targetE0EEEvT1_,"axG",@progbits,_ZN7rocprim17ROCPRIM_400000_NS6detail17trampoline_kernelINS0_14default_configENS1_25transform_config_selectorImLb1EEEZNS1_14transform_implILb1ES3_S5_PmPlNS0_8identityIvEEEE10hipError_tT2_T3_mT4_P12ihipStream_tbEUlT_E_NS1_11comp_targetILNS1_3genE0ELNS1_11target_archE4294967295ELNS1_3gpuE0ELNS1_3repE0EEENS1_30default_config_static_selectorELNS0_4arch9wavefront6targetE0EEEvT1_,comdat
	.protected	_ZN7rocprim17ROCPRIM_400000_NS6detail17trampoline_kernelINS0_14default_configENS1_25transform_config_selectorImLb1EEEZNS1_14transform_implILb1ES3_S5_PmPlNS0_8identityIvEEEE10hipError_tT2_T3_mT4_P12ihipStream_tbEUlT_E_NS1_11comp_targetILNS1_3genE0ELNS1_11target_archE4294967295ELNS1_3gpuE0ELNS1_3repE0EEENS1_30default_config_static_selectorELNS0_4arch9wavefront6targetE0EEEvT1_ ; -- Begin function _ZN7rocprim17ROCPRIM_400000_NS6detail17trampoline_kernelINS0_14default_configENS1_25transform_config_selectorImLb1EEEZNS1_14transform_implILb1ES3_S5_PmPlNS0_8identityIvEEEE10hipError_tT2_T3_mT4_P12ihipStream_tbEUlT_E_NS1_11comp_targetILNS1_3genE0ELNS1_11target_archE4294967295ELNS1_3gpuE0ELNS1_3repE0EEENS1_30default_config_static_selectorELNS0_4arch9wavefront6targetE0EEEvT1_
	.globl	_ZN7rocprim17ROCPRIM_400000_NS6detail17trampoline_kernelINS0_14default_configENS1_25transform_config_selectorImLb1EEEZNS1_14transform_implILb1ES3_S5_PmPlNS0_8identityIvEEEE10hipError_tT2_T3_mT4_P12ihipStream_tbEUlT_E_NS1_11comp_targetILNS1_3genE0ELNS1_11target_archE4294967295ELNS1_3gpuE0ELNS1_3repE0EEENS1_30default_config_static_selectorELNS0_4arch9wavefront6targetE0EEEvT1_
	.p2align	8
	.type	_ZN7rocprim17ROCPRIM_400000_NS6detail17trampoline_kernelINS0_14default_configENS1_25transform_config_selectorImLb1EEEZNS1_14transform_implILb1ES3_S5_PmPlNS0_8identityIvEEEE10hipError_tT2_T3_mT4_P12ihipStream_tbEUlT_E_NS1_11comp_targetILNS1_3genE0ELNS1_11target_archE4294967295ELNS1_3gpuE0ELNS1_3repE0EEENS1_30default_config_static_selectorELNS0_4arch9wavefront6targetE0EEEvT1_,@function
_ZN7rocprim17ROCPRIM_400000_NS6detail17trampoline_kernelINS0_14default_configENS1_25transform_config_selectorImLb1EEEZNS1_14transform_implILb1ES3_S5_PmPlNS0_8identityIvEEEE10hipError_tT2_T3_mT4_P12ihipStream_tbEUlT_E_NS1_11comp_targetILNS1_3genE0ELNS1_11target_archE4294967295ELNS1_3gpuE0ELNS1_3repE0EEENS1_30default_config_static_selectorELNS0_4arch9wavefront6targetE0EEEvT1_: ; @_ZN7rocprim17ROCPRIM_400000_NS6detail17trampoline_kernelINS0_14default_configENS1_25transform_config_selectorImLb1EEEZNS1_14transform_implILb1ES3_S5_PmPlNS0_8identityIvEEEE10hipError_tT2_T3_mT4_P12ihipStream_tbEUlT_E_NS1_11comp_targetILNS1_3genE0ELNS1_11target_archE4294967295ELNS1_3gpuE0ELNS1_3repE0EEENS1_30default_config_static_selectorELNS0_4arch9wavefront6targetE0EEEvT1_
; %bb.0:
	.section	.rodata,"a",@progbits
	.p2align	6, 0x0
	.amdhsa_kernel _ZN7rocprim17ROCPRIM_400000_NS6detail17trampoline_kernelINS0_14default_configENS1_25transform_config_selectorImLb1EEEZNS1_14transform_implILb1ES3_S5_PmPlNS0_8identityIvEEEE10hipError_tT2_T3_mT4_P12ihipStream_tbEUlT_E_NS1_11comp_targetILNS1_3genE0ELNS1_11target_archE4294967295ELNS1_3gpuE0ELNS1_3repE0EEENS1_30default_config_static_selectorELNS0_4arch9wavefront6targetE0EEEvT1_
		.amdhsa_group_segment_fixed_size 0
		.amdhsa_private_segment_fixed_size 0
		.amdhsa_kernarg_size 40
		.amdhsa_user_sgpr_count 15
		.amdhsa_user_sgpr_dispatch_ptr 0
		.amdhsa_user_sgpr_queue_ptr 0
		.amdhsa_user_sgpr_kernarg_segment_ptr 1
		.amdhsa_user_sgpr_dispatch_id 0
		.amdhsa_user_sgpr_private_segment_size 0
		.amdhsa_wavefront_size32 1
		.amdhsa_uses_dynamic_stack 0
		.amdhsa_enable_private_segment 0
		.amdhsa_system_sgpr_workgroup_id_x 1
		.amdhsa_system_sgpr_workgroup_id_y 0
		.amdhsa_system_sgpr_workgroup_id_z 0
		.amdhsa_system_sgpr_workgroup_info 0
		.amdhsa_system_vgpr_workitem_id 0
		.amdhsa_next_free_vgpr 1
		.amdhsa_next_free_sgpr 1
		.amdhsa_reserve_vcc 0
		.amdhsa_float_round_mode_32 0
		.amdhsa_float_round_mode_16_64 0
		.amdhsa_float_denorm_mode_32 3
		.amdhsa_float_denorm_mode_16_64 3
		.amdhsa_dx10_clamp 1
		.amdhsa_ieee_mode 1
		.amdhsa_fp16_overflow 0
		.amdhsa_workgroup_processor_mode 1
		.amdhsa_memory_ordered 1
		.amdhsa_forward_progress 0
		.amdhsa_shared_vgpr_count 0
		.amdhsa_exception_fp_ieee_invalid_op 0
		.amdhsa_exception_fp_denorm_src 0
		.amdhsa_exception_fp_ieee_div_zero 0
		.amdhsa_exception_fp_ieee_overflow 0
		.amdhsa_exception_fp_ieee_underflow 0
		.amdhsa_exception_fp_ieee_inexact 0
		.amdhsa_exception_int_div_zero 0
	.end_amdhsa_kernel
	.section	.text._ZN7rocprim17ROCPRIM_400000_NS6detail17trampoline_kernelINS0_14default_configENS1_25transform_config_selectorImLb1EEEZNS1_14transform_implILb1ES3_S5_PmPlNS0_8identityIvEEEE10hipError_tT2_T3_mT4_P12ihipStream_tbEUlT_E_NS1_11comp_targetILNS1_3genE0ELNS1_11target_archE4294967295ELNS1_3gpuE0ELNS1_3repE0EEENS1_30default_config_static_selectorELNS0_4arch9wavefront6targetE0EEEvT1_,"axG",@progbits,_ZN7rocprim17ROCPRIM_400000_NS6detail17trampoline_kernelINS0_14default_configENS1_25transform_config_selectorImLb1EEEZNS1_14transform_implILb1ES3_S5_PmPlNS0_8identityIvEEEE10hipError_tT2_T3_mT4_P12ihipStream_tbEUlT_E_NS1_11comp_targetILNS1_3genE0ELNS1_11target_archE4294967295ELNS1_3gpuE0ELNS1_3repE0EEENS1_30default_config_static_selectorELNS0_4arch9wavefront6targetE0EEEvT1_,comdat
.Lfunc_end45:
	.size	_ZN7rocprim17ROCPRIM_400000_NS6detail17trampoline_kernelINS0_14default_configENS1_25transform_config_selectorImLb1EEEZNS1_14transform_implILb1ES3_S5_PmPlNS0_8identityIvEEEE10hipError_tT2_T3_mT4_P12ihipStream_tbEUlT_E_NS1_11comp_targetILNS1_3genE0ELNS1_11target_archE4294967295ELNS1_3gpuE0ELNS1_3repE0EEENS1_30default_config_static_selectorELNS0_4arch9wavefront6targetE0EEEvT1_, .Lfunc_end45-_ZN7rocprim17ROCPRIM_400000_NS6detail17trampoline_kernelINS0_14default_configENS1_25transform_config_selectorImLb1EEEZNS1_14transform_implILb1ES3_S5_PmPlNS0_8identityIvEEEE10hipError_tT2_T3_mT4_P12ihipStream_tbEUlT_E_NS1_11comp_targetILNS1_3genE0ELNS1_11target_archE4294967295ELNS1_3gpuE0ELNS1_3repE0EEENS1_30default_config_static_selectorELNS0_4arch9wavefront6targetE0EEEvT1_
                                        ; -- End function
	.section	.AMDGPU.csdata,"",@progbits
; Kernel info:
; codeLenInByte = 0
; NumSgprs: 0
; NumVgprs: 0
; ScratchSize: 0
; MemoryBound: 0
; FloatMode: 240
; IeeeMode: 1
; LDSByteSize: 0 bytes/workgroup (compile time only)
; SGPRBlocks: 0
; VGPRBlocks: 0
; NumSGPRsForWavesPerEU: 1
; NumVGPRsForWavesPerEU: 1
; Occupancy: 16
; WaveLimiterHint : 0
; COMPUTE_PGM_RSRC2:SCRATCH_EN: 0
; COMPUTE_PGM_RSRC2:USER_SGPR: 15
; COMPUTE_PGM_RSRC2:TRAP_HANDLER: 0
; COMPUTE_PGM_RSRC2:TGID_X_EN: 1
; COMPUTE_PGM_RSRC2:TGID_Y_EN: 0
; COMPUTE_PGM_RSRC2:TGID_Z_EN: 0
; COMPUTE_PGM_RSRC2:TIDIG_COMP_CNT: 0
	.section	.text._ZN7rocprim17ROCPRIM_400000_NS6detail17trampoline_kernelINS0_14default_configENS1_25transform_config_selectorImLb1EEEZNS1_14transform_implILb1ES3_S5_PmPlNS0_8identityIvEEEE10hipError_tT2_T3_mT4_P12ihipStream_tbEUlT_E_NS1_11comp_targetILNS1_3genE10ELNS1_11target_archE1201ELNS1_3gpuE5ELNS1_3repE0EEENS1_30default_config_static_selectorELNS0_4arch9wavefront6targetE0EEEvT1_,"axG",@progbits,_ZN7rocprim17ROCPRIM_400000_NS6detail17trampoline_kernelINS0_14default_configENS1_25transform_config_selectorImLb1EEEZNS1_14transform_implILb1ES3_S5_PmPlNS0_8identityIvEEEE10hipError_tT2_T3_mT4_P12ihipStream_tbEUlT_E_NS1_11comp_targetILNS1_3genE10ELNS1_11target_archE1201ELNS1_3gpuE5ELNS1_3repE0EEENS1_30default_config_static_selectorELNS0_4arch9wavefront6targetE0EEEvT1_,comdat
	.protected	_ZN7rocprim17ROCPRIM_400000_NS6detail17trampoline_kernelINS0_14default_configENS1_25transform_config_selectorImLb1EEEZNS1_14transform_implILb1ES3_S5_PmPlNS0_8identityIvEEEE10hipError_tT2_T3_mT4_P12ihipStream_tbEUlT_E_NS1_11comp_targetILNS1_3genE10ELNS1_11target_archE1201ELNS1_3gpuE5ELNS1_3repE0EEENS1_30default_config_static_selectorELNS0_4arch9wavefront6targetE0EEEvT1_ ; -- Begin function _ZN7rocprim17ROCPRIM_400000_NS6detail17trampoline_kernelINS0_14default_configENS1_25transform_config_selectorImLb1EEEZNS1_14transform_implILb1ES3_S5_PmPlNS0_8identityIvEEEE10hipError_tT2_T3_mT4_P12ihipStream_tbEUlT_E_NS1_11comp_targetILNS1_3genE10ELNS1_11target_archE1201ELNS1_3gpuE5ELNS1_3repE0EEENS1_30default_config_static_selectorELNS0_4arch9wavefront6targetE0EEEvT1_
	.globl	_ZN7rocprim17ROCPRIM_400000_NS6detail17trampoline_kernelINS0_14default_configENS1_25transform_config_selectorImLb1EEEZNS1_14transform_implILb1ES3_S5_PmPlNS0_8identityIvEEEE10hipError_tT2_T3_mT4_P12ihipStream_tbEUlT_E_NS1_11comp_targetILNS1_3genE10ELNS1_11target_archE1201ELNS1_3gpuE5ELNS1_3repE0EEENS1_30default_config_static_selectorELNS0_4arch9wavefront6targetE0EEEvT1_
	.p2align	8
	.type	_ZN7rocprim17ROCPRIM_400000_NS6detail17trampoline_kernelINS0_14default_configENS1_25transform_config_selectorImLb1EEEZNS1_14transform_implILb1ES3_S5_PmPlNS0_8identityIvEEEE10hipError_tT2_T3_mT4_P12ihipStream_tbEUlT_E_NS1_11comp_targetILNS1_3genE10ELNS1_11target_archE1201ELNS1_3gpuE5ELNS1_3repE0EEENS1_30default_config_static_selectorELNS0_4arch9wavefront6targetE0EEEvT1_,@function
_ZN7rocprim17ROCPRIM_400000_NS6detail17trampoline_kernelINS0_14default_configENS1_25transform_config_selectorImLb1EEEZNS1_14transform_implILb1ES3_S5_PmPlNS0_8identityIvEEEE10hipError_tT2_T3_mT4_P12ihipStream_tbEUlT_E_NS1_11comp_targetILNS1_3genE10ELNS1_11target_archE1201ELNS1_3gpuE5ELNS1_3repE0EEENS1_30default_config_static_selectorELNS0_4arch9wavefront6targetE0EEEvT1_: ; @_ZN7rocprim17ROCPRIM_400000_NS6detail17trampoline_kernelINS0_14default_configENS1_25transform_config_selectorImLb1EEEZNS1_14transform_implILb1ES3_S5_PmPlNS0_8identityIvEEEE10hipError_tT2_T3_mT4_P12ihipStream_tbEUlT_E_NS1_11comp_targetILNS1_3genE10ELNS1_11target_archE1201ELNS1_3gpuE5ELNS1_3repE0EEENS1_30default_config_static_selectorELNS0_4arch9wavefront6targetE0EEEvT1_
; %bb.0:
	.section	.rodata,"a",@progbits
	.p2align	6, 0x0
	.amdhsa_kernel _ZN7rocprim17ROCPRIM_400000_NS6detail17trampoline_kernelINS0_14default_configENS1_25transform_config_selectorImLb1EEEZNS1_14transform_implILb1ES3_S5_PmPlNS0_8identityIvEEEE10hipError_tT2_T3_mT4_P12ihipStream_tbEUlT_E_NS1_11comp_targetILNS1_3genE10ELNS1_11target_archE1201ELNS1_3gpuE5ELNS1_3repE0EEENS1_30default_config_static_selectorELNS0_4arch9wavefront6targetE0EEEvT1_
		.amdhsa_group_segment_fixed_size 0
		.amdhsa_private_segment_fixed_size 0
		.amdhsa_kernarg_size 40
		.amdhsa_user_sgpr_count 15
		.amdhsa_user_sgpr_dispatch_ptr 0
		.amdhsa_user_sgpr_queue_ptr 0
		.amdhsa_user_sgpr_kernarg_segment_ptr 1
		.amdhsa_user_sgpr_dispatch_id 0
		.amdhsa_user_sgpr_private_segment_size 0
		.amdhsa_wavefront_size32 1
		.amdhsa_uses_dynamic_stack 0
		.amdhsa_enable_private_segment 0
		.amdhsa_system_sgpr_workgroup_id_x 1
		.amdhsa_system_sgpr_workgroup_id_y 0
		.amdhsa_system_sgpr_workgroup_id_z 0
		.amdhsa_system_sgpr_workgroup_info 0
		.amdhsa_system_vgpr_workitem_id 0
		.amdhsa_next_free_vgpr 1
		.amdhsa_next_free_sgpr 1
		.amdhsa_reserve_vcc 0
		.amdhsa_float_round_mode_32 0
		.amdhsa_float_round_mode_16_64 0
		.amdhsa_float_denorm_mode_32 3
		.amdhsa_float_denorm_mode_16_64 3
		.amdhsa_dx10_clamp 1
		.amdhsa_ieee_mode 1
		.amdhsa_fp16_overflow 0
		.amdhsa_workgroup_processor_mode 1
		.amdhsa_memory_ordered 1
		.amdhsa_forward_progress 0
		.amdhsa_shared_vgpr_count 0
		.amdhsa_exception_fp_ieee_invalid_op 0
		.amdhsa_exception_fp_denorm_src 0
		.amdhsa_exception_fp_ieee_div_zero 0
		.amdhsa_exception_fp_ieee_overflow 0
		.amdhsa_exception_fp_ieee_underflow 0
		.amdhsa_exception_fp_ieee_inexact 0
		.amdhsa_exception_int_div_zero 0
	.end_amdhsa_kernel
	.section	.text._ZN7rocprim17ROCPRIM_400000_NS6detail17trampoline_kernelINS0_14default_configENS1_25transform_config_selectorImLb1EEEZNS1_14transform_implILb1ES3_S5_PmPlNS0_8identityIvEEEE10hipError_tT2_T3_mT4_P12ihipStream_tbEUlT_E_NS1_11comp_targetILNS1_3genE10ELNS1_11target_archE1201ELNS1_3gpuE5ELNS1_3repE0EEENS1_30default_config_static_selectorELNS0_4arch9wavefront6targetE0EEEvT1_,"axG",@progbits,_ZN7rocprim17ROCPRIM_400000_NS6detail17trampoline_kernelINS0_14default_configENS1_25transform_config_selectorImLb1EEEZNS1_14transform_implILb1ES3_S5_PmPlNS0_8identityIvEEEE10hipError_tT2_T3_mT4_P12ihipStream_tbEUlT_E_NS1_11comp_targetILNS1_3genE10ELNS1_11target_archE1201ELNS1_3gpuE5ELNS1_3repE0EEENS1_30default_config_static_selectorELNS0_4arch9wavefront6targetE0EEEvT1_,comdat
.Lfunc_end46:
	.size	_ZN7rocprim17ROCPRIM_400000_NS6detail17trampoline_kernelINS0_14default_configENS1_25transform_config_selectorImLb1EEEZNS1_14transform_implILb1ES3_S5_PmPlNS0_8identityIvEEEE10hipError_tT2_T3_mT4_P12ihipStream_tbEUlT_E_NS1_11comp_targetILNS1_3genE10ELNS1_11target_archE1201ELNS1_3gpuE5ELNS1_3repE0EEENS1_30default_config_static_selectorELNS0_4arch9wavefront6targetE0EEEvT1_, .Lfunc_end46-_ZN7rocprim17ROCPRIM_400000_NS6detail17trampoline_kernelINS0_14default_configENS1_25transform_config_selectorImLb1EEEZNS1_14transform_implILb1ES3_S5_PmPlNS0_8identityIvEEEE10hipError_tT2_T3_mT4_P12ihipStream_tbEUlT_E_NS1_11comp_targetILNS1_3genE10ELNS1_11target_archE1201ELNS1_3gpuE5ELNS1_3repE0EEENS1_30default_config_static_selectorELNS0_4arch9wavefront6targetE0EEEvT1_
                                        ; -- End function
	.section	.AMDGPU.csdata,"",@progbits
; Kernel info:
; codeLenInByte = 0
; NumSgprs: 0
; NumVgprs: 0
; ScratchSize: 0
; MemoryBound: 0
; FloatMode: 240
; IeeeMode: 1
; LDSByteSize: 0 bytes/workgroup (compile time only)
; SGPRBlocks: 0
; VGPRBlocks: 0
; NumSGPRsForWavesPerEU: 1
; NumVGPRsForWavesPerEU: 1
; Occupancy: 16
; WaveLimiterHint : 0
; COMPUTE_PGM_RSRC2:SCRATCH_EN: 0
; COMPUTE_PGM_RSRC2:USER_SGPR: 15
; COMPUTE_PGM_RSRC2:TRAP_HANDLER: 0
; COMPUTE_PGM_RSRC2:TGID_X_EN: 1
; COMPUTE_PGM_RSRC2:TGID_Y_EN: 0
; COMPUTE_PGM_RSRC2:TGID_Z_EN: 0
; COMPUTE_PGM_RSRC2:TIDIG_COMP_CNT: 0
	.section	.text._ZN7rocprim17ROCPRIM_400000_NS6detail17trampoline_kernelINS0_14default_configENS1_25transform_config_selectorImLb1EEEZNS1_14transform_implILb1ES3_S5_PmPlNS0_8identityIvEEEE10hipError_tT2_T3_mT4_P12ihipStream_tbEUlT_E_NS1_11comp_targetILNS1_3genE5ELNS1_11target_archE942ELNS1_3gpuE9ELNS1_3repE0EEENS1_30default_config_static_selectorELNS0_4arch9wavefront6targetE0EEEvT1_,"axG",@progbits,_ZN7rocprim17ROCPRIM_400000_NS6detail17trampoline_kernelINS0_14default_configENS1_25transform_config_selectorImLb1EEEZNS1_14transform_implILb1ES3_S5_PmPlNS0_8identityIvEEEE10hipError_tT2_T3_mT4_P12ihipStream_tbEUlT_E_NS1_11comp_targetILNS1_3genE5ELNS1_11target_archE942ELNS1_3gpuE9ELNS1_3repE0EEENS1_30default_config_static_selectorELNS0_4arch9wavefront6targetE0EEEvT1_,comdat
	.protected	_ZN7rocprim17ROCPRIM_400000_NS6detail17trampoline_kernelINS0_14default_configENS1_25transform_config_selectorImLb1EEEZNS1_14transform_implILb1ES3_S5_PmPlNS0_8identityIvEEEE10hipError_tT2_T3_mT4_P12ihipStream_tbEUlT_E_NS1_11comp_targetILNS1_3genE5ELNS1_11target_archE942ELNS1_3gpuE9ELNS1_3repE0EEENS1_30default_config_static_selectorELNS0_4arch9wavefront6targetE0EEEvT1_ ; -- Begin function _ZN7rocprim17ROCPRIM_400000_NS6detail17trampoline_kernelINS0_14default_configENS1_25transform_config_selectorImLb1EEEZNS1_14transform_implILb1ES3_S5_PmPlNS0_8identityIvEEEE10hipError_tT2_T3_mT4_P12ihipStream_tbEUlT_E_NS1_11comp_targetILNS1_3genE5ELNS1_11target_archE942ELNS1_3gpuE9ELNS1_3repE0EEENS1_30default_config_static_selectorELNS0_4arch9wavefront6targetE0EEEvT1_
	.globl	_ZN7rocprim17ROCPRIM_400000_NS6detail17trampoline_kernelINS0_14default_configENS1_25transform_config_selectorImLb1EEEZNS1_14transform_implILb1ES3_S5_PmPlNS0_8identityIvEEEE10hipError_tT2_T3_mT4_P12ihipStream_tbEUlT_E_NS1_11comp_targetILNS1_3genE5ELNS1_11target_archE942ELNS1_3gpuE9ELNS1_3repE0EEENS1_30default_config_static_selectorELNS0_4arch9wavefront6targetE0EEEvT1_
	.p2align	8
	.type	_ZN7rocprim17ROCPRIM_400000_NS6detail17trampoline_kernelINS0_14default_configENS1_25transform_config_selectorImLb1EEEZNS1_14transform_implILb1ES3_S5_PmPlNS0_8identityIvEEEE10hipError_tT2_T3_mT4_P12ihipStream_tbEUlT_E_NS1_11comp_targetILNS1_3genE5ELNS1_11target_archE942ELNS1_3gpuE9ELNS1_3repE0EEENS1_30default_config_static_selectorELNS0_4arch9wavefront6targetE0EEEvT1_,@function
_ZN7rocprim17ROCPRIM_400000_NS6detail17trampoline_kernelINS0_14default_configENS1_25transform_config_selectorImLb1EEEZNS1_14transform_implILb1ES3_S5_PmPlNS0_8identityIvEEEE10hipError_tT2_T3_mT4_P12ihipStream_tbEUlT_E_NS1_11comp_targetILNS1_3genE5ELNS1_11target_archE942ELNS1_3gpuE9ELNS1_3repE0EEENS1_30default_config_static_selectorELNS0_4arch9wavefront6targetE0EEEvT1_: ; @_ZN7rocprim17ROCPRIM_400000_NS6detail17trampoline_kernelINS0_14default_configENS1_25transform_config_selectorImLb1EEEZNS1_14transform_implILb1ES3_S5_PmPlNS0_8identityIvEEEE10hipError_tT2_T3_mT4_P12ihipStream_tbEUlT_E_NS1_11comp_targetILNS1_3genE5ELNS1_11target_archE942ELNS1_3gpuE9ELNS1_3repE0EEENS1_30default_config_static_selectorELNS0_4arch9wavefront6targetE0EEEvT1_
; %bb.0:
	.section	.rodata,"a",@progbits
	.p2align	6, 0x0
	.amdhsa_kernel _ZN7rocprim17ROCPRIM_400000_NS6detail17trampoline_kernelINS0_14default_configENS1_25transform_config_selectorImLb1EEEZNS1_14transform_implILb1ES3_S5_PmPlNS0_8identityIvEEEE10hipError_tT2_T3_mT4_P12ihipStream_tbEUlT_E_NS1_11comp_targetILNS1_3genE5ELNS1_11target_archE942ELNS1_3gpuE9ELNS1_3repE0EEENS1_30default_config_static_selectorELNS0_4arch9wavefront6targetE0EEEvT1_
		.amdhsa_group_segment_fixed_size 0
		.amdhsa_private_segment_fixed_size 0
		.amdhsa_kernarg_size 40
		.amdhsa_user_sgpr_count 15
		.amdhsa_user_sgpr_dispatch_ptr 0
		.amdhsa_user_sgpr_queue_ptr 0
		.amdhsa_user_sgpr_kernarg_segment_ptr 1
		.amdhsa_user_sgpr_dispatch_id 0
		.amdhsa_user_sgpr_private_segment_size 0
		.amdhsa_wavefront_size32 1
		.amdhsa_uses_dynamic_stack 0
		.amdhsa_enable_private_segment 0
		.amdhsa_system_sgpr_workgroup_id_x 1
		.amdhsa_system_sgpr_workgroup_id_y 0
		.amdhsa_system_sgpr_workgroup_id_z 0
		.amdhsa_system_sgpr_workgroup_info 0
		.amdhsa_system_vgpr_workitem_id 0
		.amdhsa_next_free_vgpr 1
		.amdhsa_next_free_sgpr 1
		.amdhsa_reserve_vcc 0
		.amdhsa_float_round_mode_32 0
		.amdhsa_float_round_mode_16_64 0
		.amdhsa_float_denorm_mode_32 3
		.amdhsa_float_denorm_mode_16_64 3
		.amdhsa_dx10_clamp 1
		.amdhsa_ieee_mode 1
		.amdhsa_fp16_overflow 0
		.amdhsa_workgroup_processor_mode 1
		.amdhsa_memory_ordered 1
		.amdhsa_forward_progress 0
		.amdhsa_shared_vgpr_count 0
		.amdhsa_exception_fp_ieee_invalid_op 0
		.amdhsa_exception_fp_denorm_src 0
		.amdhsa_exception_fp_ieee_div_zero 0
		.amdhsa_exception_fp_ieee_overflow 0
		.amdhsa_exception_fp_ieee_underflow 0
		.amdhsa_exception_fp_ieee_inexact 0
		.amdhsa_exception_int_div_zero 0
	.end_amdhsa_kernel
	.section	.text._ZN7rocprim17ROCPRIM_400000_NS6detail17trampoline_kernelINS0_14default_configENS1_25transform_config_selectorImLb1EEEZNS1_14transform_implILb1ES3_S5_PmPlNS0_8identityIvEEEE10hipError_tT2_T3_mT4_P12ihipStream_tbEUlT_E_NS1_11comp_targetILNS1_3genE5ELNS1_11target_archE942ELNS1_3gpuE9ELNS1_3repE0EEENS1_30default_config_static_selectorELNS0_4arch9wavefront6targetE0EEEvT1_,"axG",@progbits,_ZN7rocprim17ROCPRIM_400000_NS6detail17trampoline_kernelINS0_14default_configENS1_25transform_config_selectorImLb1EEEZNS1_14transform_implILb1ES3_S5_PmPlNS0_8identityIvEEEE10hipError_tT2_T3_mT4_P12ihipStream_tbEUlT_E_NS1_11comp_targetILNS1_3genE5ELNS1_11target_archE942ELNS1_3gpuE9ELNS1_3repE0EEENS1_30default_config_static_selectorELNS0_4arch9wavefront6targetE0EEEvT1_,comdat
.Lfunc_end47:
	.size	_ZN7rocprim17ROCPRIM_400000_NS6detail17trampoline_kernelINS0_14default_configENS1_25transform_config_selectorImLb1EEEZNS1_14transform_implILb1ES3_S5_PmPlNS0_8identityIvEEEE10hipError_tT2_T3_mT4_P12ihipStream_tbEUlT_E_NS1_11comp_targetILNS1_3genE5ELNS1_11target_archE942ELNS1_3gpuE9ELNS1_3repE0EEENS1_30default_config_static_selectorELNS0_4arch9wavefront6targetE0EEEvT1_, .Lfunc_end47-_ZN7rocprim17ROCPRIM_400000_NS6detail17trampoline_kernelINS0_14default_configENS1_25transform_config_selectorImLb1EEEZNS1_14transform_implILb1ES3_S5_PmPlNS0_8identityIvEEEE10hipError_tT2_T3_mT4_P12ihipStream_tbEUlT_E_NS1_11comp_targetILNS1_3genE5ELNS1_11target_archE942ELNS1_3gpuE9ELNS1_3repE0EEENS1_30default_config_static_selectorELNS0_4arch9wavefront6targetE0EEEvT1_
                                        ; -- End function
	.section	.AMDGPU.csdata,"",@progbits
; Kernel info:
; codeLenInByte = 0
; NumSgprs: 0
; NumVgprs: 0
; ScratchSize: 0
; MemoryBound: 0
; FloatMode: 240
; IeeeMode: 1
; LDSByteSize: 0 bytes/workgroup (compile time only)
; SGPRBlocks: 0
; VGPRBlocks: 0
; NumSGPRsForWavesPerEU: 1
; NumVGPRsForWavesPerEU: 1
; Occupancy: 16
; WaveLimiterHint : 0
; COMPUTE_PGM_RSRC2:SCRATCH_EN: 0
; COMPUTE_PGM_RSRC2:USER_SGPR: 15
; COMPUTE_PGM_RSRC2:TRAP_HANDLER: 0
; COMPUTE_PGM_RSRC2:TGID_X_EN: 1
; COMPUTE_PGM_RSRC2:TGID_Y_EN: 0
; COMPUTE_PGM_RSRC2:TGID_Z_EN: 0
; COMPUTE_PGM_RSRC2:TIDIG_COMP_CNT: 0
	.section	.text._ZN7rocprim17ROCPRIM_400000_NS6detail17trampoline_kernelINS0_14default_configENS1_25transform_config_selectorImLb1EEEZNS1_14transform_implILb1ES3_S5_PmPlNS0_8identityIvEEEE10hipError_tT2_T3_mT4_P12ihipStream_tbEUlT_E_NS1_11comp_targetILNS1_3genE4ELNS1_11target_archE910ELNS1_3gpuE8ELNS1_3repE0EEENS1_30default_config_static_selectorELNS0_4arch9wavefront6targetE0EEEvT1_,"axG",@progbits,_ZN7rocprim17ROCPRIM_400000_NS6detail17trampoline_kernelINS0_14default_configENS1_25transform_config_selectorImLb1EEEZNS1_14transform_implILb1ES3_S5_PmPlNS0_8identityIvEEEE10hipError_tT2_T3_mT4_P12ihipStream_tbEUlT_E_NS1_11comp_targetILNS1_3genE4ELNS1_11target_archE910ELNS1_3gpuE8ELNS1_3repE0EEENS1_30default_config_static_selectorELNS0_4arch9wavefront6targetE0EEEvT1_,comdat
	.protected	_ZN7rocprim17ROCPRIM_400000_NS6detail17trampoline_kernelINS0_14default_configENS1_25transform_config_selectorImLb1EEEZNS1_14transform_implILb1ES3_S5_PmPlNS0_8identityIvEEEE10hipError_tT2_T3_mT4_P12ihipStream_tbEUlT_E_NS1_11comp_targetILNS1_3genE4ELNS1_11target_archE910ELNS1_3gpuE8ELNS1_3repE0EEENS1_30default_config_static_selectorELNS0_4arch9wavefront6targetE0EEEvT1_ ; -- Begin function _ZN7rocprim17ROCPRIM_400000_NS6detail17trampoline_kernelINS0_14default_configENS1_25transform_config_selectorImLb1EEEZNS1_14transform_implILb1ES3_S5_PmPlNS0_8identityIvEEEE10hipError_tT2_T3_mT4_P12ihipStream_tbEUlT_E_NS1_11comp_targetILNS1_3genE4ELNS1_11target_archE910ELNS1_3gpuE8ELNS1_3repE0EEENS1_30default_config_static_selectorELNS0_4arch9wavefront6targetE0EEEvT1_
	.globl	_ZN7rocprim17ROCPRIM_400000_NS6detail17trampoline_kernelINS0_14default_configENS1_25transform_config_selectorImLb1EEEZNS1_14transform_implILb1ES3_S5_PmPlNS0_8identityIvEEEE10hipError_tT2_T3_mT4_P12ihipStream_tbEUlT_E_NS1_11comp_targetILNS1_3genE4ELNS1_11target_archE910ELNS1_3gpuE8ELNS1_3repE0EEENS1_30default_config_static_selectorELNS0_4arch9wavefront6targetE0EEEvT1_
	.p2align	8
	.type	_ZN7rocprim17ROCPRIM_400000_NS6detail17trampoline_kernelINS0_14default_configENS1_25transform_config_selectorImLb1EEEZNS1_14transform_implILb1ES3_S5_PmPlNS0_8identityIvEEEE10hipError_tT2_T3_mT4_P12ihipStream_tbEUlT_E_NS1_11comp_targetILNS1_3genE4ELNS1_11target_archE910ELNS1_3gpuE8ELNS1_3repE0EEENS1_30default_config_static_selectorELNS0_4arch9wavefront6targetE0EEEvT1_,@function
_ZN7rocprim17ROCPRIM_400000_NS6detail17trampoline_kernelINS0_14default_configENS1_25transform_config_selectorImLb1EEEZNS1_14transform_implILb1ES3_S5_PmPlNS0_8identityIvEEEE10hipError_tT2_T3_mT4_P12ihipStream_tbEUlT_E_NS1_11comp_targetILNS1_3genE4ELNS1_11target_archE910ELNS1_3gpuE8ELNS1_3repE0EEENS1_30default_config_static_selectorELNS0_4arch9wavefront6targetE0EEEvT1_: ; @_ZN7rocprim17ROCPRIM_400000_NS6detail17trampoline_kernelINS0_14default_configENS1_25transform_config_selectorImLb1EEEZNS1_14transform_implILb1ES3_S5_PmPlNS0_8identityIvEEEE10hipError_tT2_T3_mT4_P12ihipStream_tbEUlT_E_NS1_11comp_targetILNS1_3genE4ELNS1_11target_archE910ELNS1_3gpuE8ELNS1_3repE0EEENS1_30default_config_static_selectorELNS0_4arch9wavefront6targetE0EEEvT1_
; %bb.0:
	.section	.rodata,"a",@progbits
	.p2align	6, 0x0
	.amdhsa_kernel _ZN7rocprim17ROCPRIM_400000_NS6detail17trampoline_kernelINS0_14default_configENS1_25transform_config_selectorImLb1EEEZNS1_14transform_implILb1ES3_S5_PmPlNS0_8identityIvEEEE10hipError_tT2_T3_mT4_P12ihipStream_tbEUlT_E_NS1_11comp_targetILNS1_3genE4ELNS1_11target_archE910ELNS1_3gpuE8ELNS1_3repE0EEENS1_30default_config_static_selectorELNS0_4arch9wavefront6targetE0EEEvT1_
		.amdhsa_group_segment_fixed_size 0
		.amdhsa_private_segment_fixed_size 0
		.amdhsa_kernarg_size 40
		.amdhsa_user_sgpr_count 15
		.amdhsa_user_sgpr_dispatch_ptr 0
		.amdhsa_user_sgpr_queue_ptr 0
		.amdhsa_user_sgpr_kernarg_segment_ptr 1
		.amdhsa_user_sgpr_dispatch_id 0
		.amdhsa_user_sgpr_private_segment_size 0
		.amdhsa_wavefront_size32 1
		.amdhsa_uses_dynamic_stack 0
		.amdhsa_enable_private_segment 0
		.amdhsa_system_sgpr_workgroup_id_x 1
		.amdhsa_system_sgpr_workgroup_id_y 0
		.amdhsa_system_sgpr_workgroup_id_z 0
		.amdhsa_system_sgpr_workgroup_info 0
		.amdhsa_system_vgpr_workitem_id 0
		.amdhsa_next_free_vgpr 1
		.amdhsa_next_free_sgpr 1
		.amdhsa_reserve_vcc 0
		.amdhsa_float_round_mode_32 0
		.amdhsa_float_round_mode_16_64 0
		.amdhsa_float_denorm_mode_32 3
		.amdhsa_float_denorm_mode_16_64 3
		.amdhsa_dx10_clamp 1
		.amdhsa_ieee_mode 1
		.amdhsa_fp16_overflow 0
		.amdhsa_workgroup_processor_mode 1
		.amdhsa_memory_ordered 1
		.amdhsa_forward_progress 0
		.amdhsa_shared_vgpr_count 0
		.amdhsa_exception_fp_ieee_invalid_op 0
		.amdhsa_exception_fp_denorm_src 0
		.amdhsa_exception_fp_ieee_div_zero 0
		.amdhsa_exception_fp_ieee_overflow 0
		.amdhsa_exception_fp_ieee_underflow 0
		.amdhsa_exception_fp_ieee_inexact 0
		.amdhsa_exception_int_div_zero 0
	.end_amdhsa_kernel
	.section	.text._ZN7rocprim17ROCPRIM_400000_NS6detail17trampoline_kernelINS0_14default_configENS1_25transform_config_selectorImLb1EEEZNS1_14transform_implILb1ES3_S5_PmPlNS0_8identityIvEEEE10hipError_tT2_T3_mT4_P12ihipStream_tbEUlT_E_NS1_11comp_targetILNS1_3genE4ELNS1_11target_archE910ELNS1_3gpuE8ELNS1_3repE0EEENS1_30default_config_static_selectorELNS0_4arch9wavefront6targetE0EEEvT1_,"axG",@progbits,_ZN7rocprim17ROCPRIM_400000_NS6detail17trampoline_kernelINS0_14default_configENS1_25transform_config_selectorImLb1EEEZNS1_14transform_implILb1ES3_S5_PmPlNS0_8identityIvEEEE10hipError_tT2_T3_mT4_P12ihipStream_tbEUlT_E_NS1_11comp_targetILNS1_3genE4ELNS1_11target_archE910ELNS1_3gpuE8ELNS1_3repE0EEENS1_30default_config_static_selectorELNS0_4arch9wavefront6targetE0EEEvT1_,comdat
.Lfunc_end48:
	.size	_ZN7rocprim17ROCPRIM_400000_NS6detail17trampoline_kernelINS0_14default_configENS1_25transform_config_selectorImLb1EEEZNS1_14transform_implILb1ES3_S5_PmPlNS0_8identityIvEEEE10hipError_tT2_T3_mT4_P12ihipStream_tbEUlT_E_NS1_11comp_targetILNS1_3genE4ELNS1_11target_archE910ELNS1_3gpuE8ELNS1_3repE0EEENS1_30default_config_static_selectorELNS0_4arch9wavefront6targetE0EEEvT1_, .Lfunc_end48-_ZN7rocprim17ROCPRIM_400000_NS6detail17trampoline_kernelINS0_14default_configENS1_25transform_config_selectorImLb1EEEZNS1_14transform_implILb1ES3_S5_PmPlNS0_8identityIvEEEE10hipError_tT2_T3_mT4_P12ihipStream_tbEUlT_E_NS1_11comp_targetILNS1_3genE4ELNS1_11target_archE910ELNS1_3gpuE8ELNS1_3repE0EEENS1_30default_config_static_selectorELNS0_4arch9wavefront6targetE0EEEvT1_
                                        ; -- End function
	.section	.AMDGPU.csdata,"",@progbits
; Kernel info:
; codeLenInByte = 0
; NumSgprs: 0
; NumVgprs: 0
; ScratchSize: 0
; MemoryBound: 0
; FloatMode: 240
; IeeeMode: 1
; LDSByteSize: 0 bytes/workgroup (compile time only)
; SGPRBlocks: 0
; VGPRBlocks: 0
; NumSGPRsForWavesPerEU: 1
; NumVGPRsForWavesPerEU: 1
; Occupancy: 16
; WaveLimiterHint : 0
; COMPUTE_PGM_RSRC2:SCRATCH_EN: 0
; COMPUTE_PGM_RSRC2:USER_SGPR: 15
; COMPUTE_PGM_RSRC2:TRAP_HANDLER: 0
; COMPUTE_PGM_RSRC2:TGID_X_EN: 1
; COMPUTE_PGM_RSRC2:TGID_Y_EN: 0
; COMPUTE_PGM_RSRC2:TGID_Z_EN: 0
; COMPUTE_PGM_RSRC2:TIDIG_COMP_CNT: 0
	.section	.text._ZN7rocprim17ROCPRIM_400000_NS6detail17trampoline_kernelINS0_14default_configENS1_25transform_config_selectorImLb1EEEZNS1_14transform_implILb1ES3_S5_PmPlNS0_8identityIvEEEE10hipError_tT2_T3_mT4_P12ihipStream_tbEUlT_E_NS1_11comp_targetILNS1_3genE3ELNS1_11target_archE908ELNS1_3gpuE7ELNS1_3repE0EEENS1_30default_config_static_selectorELNS0_4arch9wavefront6targetE0EEEvT1_,"axG",@progbits,_ZN7rocprim17ROCPRIM_400000_NS6detail17trampoline_kernelINS0_14default_configENS1_25transform_config_selectorImLb1EEEZNS1_14transform_implILb1ES3_S5_PmPlNS0_8identityIvEEEE10hipError_tT2_T3_mT4_P12ihipStream_tbEUlT_E_NS1_11comp_targetILNS1_3genE3ELNS1_11target_archE908ELNS1_3gpuE7ELNS1_3repE0EEENS1_30default_config_static_selectorELNS0_4arch9wavefront6targetE0EEEvT1_,comdat
	.protected	_ZN7rocprim17ROCPRIM_400000_NS6detail17trampoline_kernelINS0_14default_configENS1_25transform_config_selectorImLb1EEEZNS1_14transform_implILb1ES3_S5_PmPlNS0_8identityIvEEEE10hipError_tT2_T3_mT4_P12ihipStream_tbEUlT_E_NS1_11comp_targetILNS1_3genE3ELNS1_11target_archE908ELNS1_3gpuE7ELNS1_3repE0EEENS1_30default_config_static_selectorELNS0_4arch9wavefront6targetE0EEEvT1_ ; -- Begin function _ZN7rocprim17ROCPRIM_400000_NS6detail17trampoline_kernelINS0_14default_configENS1_25transform_config_selectorImLb1EEEZNS1_14transform_implILb1ES3_S5_PmPlNS0_8identityIvEEEE10hipError_tT2_T3_mT4_P12ihipStream_tbEUlT_E_NS1_11comp_targetILNS1_3genE3ELNS1_11target_archE908ELNS1_3gpuE7ELNS1_3repE0EEENS1_30default_config_static_selectorELNS0_4arch9wavefront6targetE0EEEvT1_
	.globl	_ZN7rocprim17ROCPRIM_400000_NS6detail17trampoline_kernelINS0_14default_configENS1_25transform_config_selectorImLb1EEEZNS1_14transform_implILb1ES3_S5_PmPlNS0_8identityIvEEEE10hipError_tT2_T3_mT4_P12ihipStream_tbEUlT_E_NS1_11comp_targetILNS1_3genE3ELNS1_11target_archE908ELNS1_3gpuE7ELNS1_3repE0EEENS1_30default_config_static_selectorELNS0_4arch9wavefront6targetE0EEEvT1_
	.p2align	8
	.type	_ZN7rocprim17ROCPRIM_400000_NS6detail17trampoline_kernelINS0_14default_configENS1_25transform_config_selectorImLb1EEEZNS1_14transform_implILb1ES3_S5_PmPlNS0_8identityIvEEEE10hipError_tT2_T3_mT4_P12ihipStream_tbEUlT_E_NS1_11comp_targetILNS1_3genE3ELNS1_11target_archE908ELNS1_3gpuE7ELNS1_3repE0EEENS1_30default_config_static_selectorELNS0_4arch9wavefront6targetE0EEEvT1_,@function
_ZN7rocprim17ROCPRIM_400000_NS6detail17trampoline_kernelINS0_14default_configENS1_25transform_config_selectorImLb1EEEZNS1_14transform_implILb1ES3_S5_PmPlNS0_8identityIvEEEE10hipError_tT2_T3_mT4_P12ihipStream_tbEUlT_E_NS1_11comp_targetILNS1_3genE3ELNS1_11target_archE908ELNS1_3gpuE7ELNS1_3repE0EEENS1_30default_config_static_selectorELNS0_4arch9wavefront6targetE0EEEvT1_: ; @_ZN7rocprim17ROCPRIM_400000_NS6detail17trampoline_kernelINS0_14default_configENS1_25transform_config_selectorImLb1EEEZNS1_14transform_implILb1ES3_S5_PmPlNS0_8identityIvEEEE10hipError_tT2_T3_mT4_P12ihipStream_tbEUlT_E_NS1_11comp_targetILNS1_3genE3ELNS1_11target_archE908ELNS1_3gpuE7ELNS1_3repE0EEENS1_30default_config_static_selectorELNS0_4arch9wavefront6targetE0EEEvT1_
; %bb.0:
	.section	.rodata,"a",@progbits
	.p2align	6, 0x0
	.amdhsa_kernel _ZN7rocprim17ROCPRIM_400000_NS6detail17trampoline_kernelINS0_14default_configENS1_25transform_config_selectorImLb1EEEZNS1_14transform_implILb1ES3_S5_PmPlNS0_8identityIvEEEE10hipError_tT2_T3_mT4_P12ihipStream_tbEUlT_E_NS1_11comp_targetILNS1_3genE3ELNS1_11target_archE908ELNS1_3gpuE7ELNS1_3repE0EEENS1_30default_config_static_selectorELNS0_4arch9wavefront6targetE0EEEvT1_
		.amdhsa_group_segment_fixed_size 0
		.amdhsa_private_segment_fixed_size 0
		.amdhsa_kernarg_size 40
		.amdhsa_user_sgpr_count 15
		.amdhsa_user_sgpr_dispatch_ptr 0
		.amdhsa_user_sgpr_queue_ptr 0
		.amdhsa_user_sgpr_kernarg_segment_ptr 1
		.amdhsa_user_sgpr_dispatch_id 0
		.amdhsa_user_sgpr_private_segment_size 0
		.amdhsa_wavefront_size32 1
		.amdhsa_uses_dynamic_stack 0
		.amdhsa_enable_private_segment 0
		.amdhsa_system_sgpr_workgroup_id_x 1
		.amdhsa_system_sgpr_workgroup_id_y 0
		.amdhsa_system_sgpr_workgroup_id_z 0
		.amdhsa_system_sgpr_workgroup_info 0
		.amdhsa_system_vgpr_workitem_id 0
		.amdhsa_next_free_vgpr 1
		.amdhsa_next_free_sgpr 1
		.amdhsa_reserve_vcc 0
		.amdhsa_float_round_mode_32 0
		.amdhsa_float_round_mode_16_64 0
		.amdhsa_float_denorm_mode_32 3
		.amdhsa_float_denorm_mode_16_64 3
		.amdhsa_dx10_clamp 1
		.amdhsa_ieee_mode 1
		.amdhsa_fp16_overflow 0
		.amdhsa_workgroup_processor_mode 1
		.amdhsa_memory_ordered 1
		.amdhsa_forward_progress 0
		.amdhsa_shared_vgpr_count 0
		.amdhsa_exception_fp_ieee_invalid_op 0
		.amdhsa_exception_fp_denorm_src 0
		.amdhsa_exception_fp_ieee_div_zero 0
		.amdhsa_exception_fp_ieee_overflow 0
		.amdhsa_exception_fp_ieee_underflow 0
		.amdhsa_exception_fp_ieee_inexact 0
		.amdhsa_exception_int_div_zero 0
	.end_amdhsa_kernel
	.section	.text._ZN7rocprim17ROCPRIM_400000_NS6detail17trampoline_kernelINS0_14default_configENS1_25transform_config_selectorImLb1EEEZNS1_14transform_implILb1ES3_S5_PmPlNS0_8identityIvEEEE10hipError_tT2_T3_mT4_P12ihipStream_tbEUlT_E_NS1_11comp_targetILNS1_3genE3ELNS1_11target_archE908ELNS1_3gpuE7ELNS1_3repE0EEENS1_30default_config_static_selectorELNS0_4arch9wavefront6targetE0EEEvT1_,"axG",@progbits,_ZN7rocprim17ROCPRIM_400000_NS6detail17trampoline_kernelINS0_14default_configENS1_25transform_config_selectorImLb1EEEZNS1_14transform_implILb1ES3_S5_PmPlNS0_8identityIvEEEE10hipError_tT2_T3_mT4_P12ihipStream_tbEUlT_E_NS1_11comp_targetILNS1_3genE3ELNS1_11target_archE908ELNS1_3gpuE7ELNS1_3repE0EEENS1_30default_config_static_selectorELNS0_4arch9wavefront6targetE0EEEvT1_,comdat
.Lfunc_end49:
	.size	_ZN7rocprim17ROCPRIM_400000_NS6detail17trampoline_kernelINS0_14default_configENS1_25transform_config_selectorImLb1EEEZNS1_14transform_implILb1ES3_S5_PmPlNS0_8identityIvEEEE10hipError_tT2_T3_mT4_P12ihipStream_tbEUlT_E_NS1_11comp_targetILNS1_3genE3ELNS1_11target_archE908ELNS1_3gpuE7ELNS1_3repE0EEENS1_30default_config_static_selectorELNS0_4arch9wavefront6targetE0EEEvT1_, .Lfunc_end49-_ZN7rocprim17ROCPRIM_400000_NS6detail17trampoline_kernelINS0_14default_configENS1_25transform_config_selectorImLb1EEEZNS1_14transform_implILb1ES3_S5_PmPlNS0_8identityIvEEEE10hipError_tT2_T3_mT4_P12ihipStream_tbEUlT_E_NS1_11comp_targetILNS1_3genE3ELNS1_11target_archE908ELNS1_3gpuE7ELNS1_3repE0EEENS1_30default_config_static_selectorELNS0_4arch9wavefront6targetE0EEEvT1_
                                        ; -- End function
	.section	.AMDGPU.csdata,"",@progbits
; Kernel info:
; codeLenInByte = 0
; NumSgprs: 0
; NumVgprs: 0
; ScratchSize: 0
; MemoryBound: 0
; FloatMode: 240
; IeeeMode: 1
; LDSByteSize: 0 bytes/workgroup (compile time only)
; SGPRBlocks: 0
; VGPRBlocks: 0
; NumSGPRsForWavesPerEU: 1
; NumVGPRsForWavesPerEU: 1
; Occupancy: 16
; WaveLimiterHint : 0
; COMPUTE_PGM_RSRC2:SCRATCH_EN: 0
; COMPUTE_PGM_RSRC2:USER_SGPR: 15
; COMPUTE_PGM_RSRC2:TRAP_HANDLER: 0
; COMPUTE_PGM_RSRC2:TGID_X_EN: 1
; COMPUTE_PGM_RSRC2:TGID_Y_EN: 0
; COMPUTE_PGM_RSRC2:TGID_Z_EN: 0
; COMPUTE_PGM_RSRC2:TIDIG_COMP_CNT: 0
	.section	.text._ZN7rocprim17ROCPRIM_400000_NS6detail17trampoline_kernelINS0_14default_configENS1_25transform_config_selectorImLb1EEEZNS1_14transform_implILb1ES3_S5_PmPlNS0_8identityIvEEEE10hipError_tT2_T3_mT4_P12ihipStream_tbEUlT_E_NS1_11comp_targetILNS1_3genE2ELNS1_11target_archE906ELNS1_3gpuE6ELNS1_3repE0EEENS1_30default_config_static_selectorELNS0_4arch9wavefront6targetE0EEEvT1_,"axG",@progbits,_ZN7rocprim17ROCPRIM_400000_NS6detail17trampoline_kernelINS0_14default_configENS1_25transform_config_selectorImLb1EEEZNS1_14transform_implILb1ES3_S5_PmPlNS0_8identityIvEEEE10hipError_tT2_T3_mT4_P12ihipStream_tbEUlT_E_NS1_11comp_targetILNS1_3genE2ELNS1_11target_archE906ELNS1_3gpuE6ELNS1_3repE0EEENS1_30default_config_static_selectorELNS0_4arch9wavefront6targetE0EEEvT1_,comdat
	.protected	_ZN7rocprim17ROCPRIM_400000_NS6detail17trampoline_kernelINS0_14default_configENS1_25transform_config_selectorImLb1EEEZNS1_14transform_implILb1ES3_S5_PmPlNS0_8identityIvEEEE10hipError_tT2_T3_mT4_P12ihipStream_tbEUlT_E_NS1_11comp_targetILNS1_3genE2ELNS1_11target_archE906ELNS1_3gpuE6ELNS1_3repE0EEENS1_30default_config_static_selectorELNS0_4arch9wavefront6targetE0EEEvT1_ ; -- Begin function _ZN7rocprim17ROCPRIM_400000_NS6detail17trampoline_kernelINS0_14default_configENS1_25transform_config_selectorImLb1EEEZNS1_14transform_implILb1ES3_S5_PmPlNS0_8identityIvEEEE10hipError_tT2_T3_mT4_P12ihipStream_tbEUlT_E_NS1_11comp_targetILNS1_3genE2ELNS1_11target_archE906ELNS1_3gpuE6ELNS1_3repE0EEENS1_30default_config_static_selectorELNS0_4arch9wavefront6targetE0EEEvT1_
	.globl	_ZN7rocprim17ROCPRIM_400000_NS6detail17trampoline_kernelINS0_14default_configENS1_25transform_config_selectorImLb1EEEZNS1_14transform_implILb1ES3_S5_PmPlNS0_8identityIvEEEE10hipError_tT2_T3_mT4_P12ihipStream_tbEUlT_E_NS1_11comp_targetILNS1_3genE2ELNS1_11target_archE906ELNS1_3gpuE6ELNS1_3repE0EEENS1_30default_config_static_selectorELNS0_4arch9wavefront6targetE0EEEvT1_
	.p2align	8
	.type	_ZN7rocprim17ROCPRIM_400000_NS6detail17trampoline_kernelINS0_14default_configENS1_25transform_config_selectorImLb1EEEZNS1_14transform_implILb1ES3_S5_PmPlNS0_8identityIvEEEE10hipError_tT2_T3_mT4_P12ihipStream_tbEUlT_E_NS1_11comp_targetILNS1_3genE2ELNS1_11target_archE906ELNS1_3gpuE6ELNS1_3repE0EEENS1_30default_config_static_selectorELNS0_4arch9wavefront6targetE0EEEvT1_,@function
_ZN7rocprim17ROCPRIM_400000_NS6detail17trampoline_kernelINS0_14default_configENS1_25transform_config_selectorImLb1EEEZNS1_14transform_implILb1ES3_S5_PmPlNS0_8identityIvEEEE10hipError_tT2_T3_mT4_P12ihipStream_tbEUlT_E_NS1_11comp_targetILNS1_3genE2ELNS1_11target_archE906ELNS1_3gpuE6ELNS1_3repE0EEENS1_30default_config_static_selectorELNS0_4arch9wavefront6targetE0EEEvT1_: ; @_ZN7rocprim17ROCPRIM_400000_NS6detail17trampoline_kernelINS0_14default_configENS1_25transform_config_selectorImLb1EEEZNS1_14transform_implILb1ES3_S5_PmPlNS0_8identityIvEEEE10hipError_tT2_T3_mT4_P12ihipStream_tbEUlT_E_NS1_11comp_targetILNS1_3genE2ELNS1_11target_archE906ELNS1_3gpuE6ELNS1_3repE0EEENS1_30default_config_static_selectorELNS0_4arch9wavefront6targetE0EEEvT1_
; %bb.0:
	.section	.rodata,"a",@progbits
	.p2align	6, 0x0
	.amdhsa_kernel _ZN7rocprim17ROCPRIM_400000_NS6detail17trampoline_kernelINS0_14default_configENS1_25transform_config_selectorImLb1EEEZNS1_14transform_implILb1ES3_S5_PmPlNS0_8identityIvEEEE10hipError_tT2_T3_mT4_P12ihipStream_tbEUlT_E_NS1_11comp_targetILNS1_3genE2ELNS1_11target_archE906ELNS1_3gpuE6ELNS1_3repE0EEENS1_30default_config_static_selectorELNS0_4arch9wavefront6targetE0EEEvT1_
		.amdhsa_group_segment_fixed_size 0
		.amdhsa_private_segment_fixed_size 0
		.amdhsa_kernarg_size 40
		.amdhsa_user_sgpr_count 15
		.amdhsa_user_sgpr_dispatch_ptr 0
		.amdhsa_user_sgpr_queue_ptr 0
		.amdhsa_user_sgpr_kernarg_segment_ptr 1
		.amdhsa_user_sgpr_dispatch_id 0
		.amdhsa_user_sgpr_private_segment_size 0
		.amdhsa_wavefront_size32 1
		.amdhsa_uses_dynamic_stack 0
		.amdhsa_enable_private_segment 0
		.amdhsa_system_sgpr_workgroup_id_x 1
		.amdhsa_system_sgpr_workgroup_id_y 0
		.amdhsa_system_sgpr_workgroup_id_z 0
		.amdhsa_system_sgpr_workgroup_info 0
		.amdhsa_system_vgpr_workitem_id 0
		.amdhsa_next_free_vgpr 1
		.amdhsa_next_free_sgpr 1
		.amdhsa_reserve_vcc 0
		.amdhsa_float_round_mode_32 0
		.amdhsa_float_round_mode_16_64 0
		.amdhsa_float_denorm_mode_32 3
		.amdhsa_float_denorm_mode_16_64 3
		.amdhsa_dx10_clamp 1
		.amdhsa_ieee_mode 1
		.amdhsa_fp16_overflow 0
		.amdhsa_workgroup_processor_mode 1
		.amdhsa_memory_ordered 1
		.amdhsa_forward_progress 0
		.amdhsa_shared_vgpr_count 0
		.amdhsa_exception_fp_ieee_invalid_op 0
		.amdhsa_exception_fp_denorm_src 0
		.amdhsa_exception_fp_ieee_div_zero 0
		.amdhsa_exception_fp_ieee_overflow 0
		.amdhsa_exception_fp_ieee_underflow 0
		.amdhsa_exception_fp_ieee_inexact 0
		.amdhsa_exception_int_div_zero 0
	.end_amdhsa_kernel
	.section	.text._ZN7rocprim17ROCPRIM_400000_NS6detail17trampoline_kernelINS0_14default_configENS1_25transform_config_selectorImLb1EEEZNS1_14transform_implILb1ES3_S5_PmPlNS0_8identityIvEEEE10hipError_tT2_T3_mT4_P12ihipStream_tbEUlT_E_NS1_11comp_targetILNS1_3genE2ELNS1_11target_archE906ELNS1_3gpuE6ELNS1_3repE0EEENS1_30default_config_static_selectorELNS0_4arch9wavefront6targetE0EEEvT1_,"axG",@progbits,_ZN7rocprim17ROCPRIM_400000_NS6detail17trampoline_kernelINS0_14default_configENS1_25transform_config_selectorImLb1EEEZNS1_14transform_implILb1ES3_S5_PmPlNS0_8identityIvEEEE10hipError_tT2_T3_mT4_P12ihipStream_tbEUlT_E_NS1_11comp_targetILNS1_3genE2ELNS1_11target_archE906ELNS1_3gpuE6ELNS1_3repE0EEENS1_30default_config_static_selectorELNS0_4arch9wavefront6targetE0EEEvT1_,comdat
.Lfunc_end50:
	.size	_ZN7rocprim17ROCPRIM_400000_NS6detail17trampoline_kernelINS0_14default_configENS1_25transform_config_selectorImLb1EEEZNS1_14transform_implILb1ES3_S5_PmPlNS0_8identityIvEEEE10hipError_tT2_T3_mT4_P12ihipStream_tbEUlT_E_NS1_11comp_targetILNS1_3genE2ELNS1_11target_archE906ELNS1_3gpuE6ELNS1_3repE0EEENS1_30default_config_static_selectorELNS0_4arch9wavefront6targetE0EEEvT1_, .Lfunc_end50-_ZN7rocprim17ROCPRIM_400000_NS6detail17trampoline_kernelINS0_14default_configENS1_25transform_config_selectorImLb1EEEZNS1_14transform_implILb1ES3_S5_PmPlNS0_8identityIvEEEE10hipError_tT2_T3_mT4_P12ihipStream_tbEUlT_E_NS1_11comp_targetILNS1_3genE2ELNS1_11target_archE906ELNS1_3gpuE6ELNS1_3repE0EEENS1_30default_config_static_selectorELNS0_4arch9wavefront6targetE0EEEvT1_
                                        ; -- End function
	.section	.AMDGPU.csdata,"",@progbits
; Kernel info:
; codeLenInByte = 0
; NumSgprs: 0
; NumVgprs: 0
; ScratchSize: 0
; MemoryBound: 0
; FloatMode: 240
; IeeeMode: 1
; LDSByteSize: 0 bytes/workgroup (compile time only)
; SGPRBlocks: 0
; VGPRBlocks: 0
; NumSGPRsForWavesPerEU: 1
; NumVGPRsForWavesPerEU: 1
; Occupancy: 16
; WaveLimiterHint : 0
; COMPUTE_PGM_RSRC2:SCRATCH_EN: 0
; COMPUTE_PGM_RSRC2:USER_SGPR: 15
; COMPUTE_PGM_RSRC2:TRAP_HANDLER: 0
; COMPUTE_PGM_RSRC2:TGID_X_EN: 1
; COMPUTE_PGM_RSRC2:TGID_Y_EN: 0
; COMPUTE_PGM_RSRC2:TGID_Z_EN: 0
; COMPUTE_PGM_RSRC2:TIDIG_COMP_CNT: 0
	.section	.text._ZN7rocprim17ROCPRIM_400000_NS6detail17trampoline_kernelINS0_14default_configENS1_25transform_config_selectorImLb1EEEZNS1_14transform_implILb1ES3_S5_PmPlNS0_8identityIvEEEE10hipError_tT2_T3_mT4_P12ihipStream_tbEUlT_E_NS1_11comp_targetILNS1_3genE9ELNS1_11target_archE1100ELNS1_3gpuE3ELNS1_3repE0EEENS1_30default_config_static_selectorELNS0_4arch9wavefront6targetE0EEEvT1_,"axG",@progbits,_ZN7rocprim17ROCPRIM_400000_NS6detail17trampoline_kernelINS0_14default_configENS1_25transform_config_selectorImLb1EEEZNS1_14transform_implILb1ES3_S5_PmPlNS0_8identityIvEEEE10hipError_tT2_T3_mT4_P12ihipStream_tbEUlT_E_NS1_11comp_targetILNS1_3genE9ELNS1_11target_archE1100ELNS1_3gpuE3ELNS1_3repE0EEENS1_30default_config_static_selectorELNS0_4arch9wavefront6targetE0EEEvT1_,comdat
	.protected	_ZN7rocprim17ROCPRIM_400000_NS6detail17trampoline_kernelINS0_14default_configENS1_25transform_config_selectorImLb1EEEZNS1_14transform_implILb1ES3_S5_PmPlNS0_8identityIvEEEE10hipError_tT2_T3_mT4_P12ihipStream_tbEUlT_E_NS1_11comp_targetILNS1_3genE9ELNS1_11target_archE1100ELNS1_3gpuE3ELNS1_3repE0EEENS1_30default_config_static_selectorELNS0_4arch9wavefront6targetE0EEEvT1_ ; -- Begin function _ZN7rocprim17ROCPRIM_400000_NS6detail17trampoline_kernelINS0_14default_configENS1_25transform_config_selectorImLb1EEEZNS1_14transform_implILb1ES3_S5_PmPlNS0_8identityIvEEEE10hipError_tT2_T3_mT4_P12ihipStream_tbEUlT_E_NS1_11comp_targetILNS1_3genE9ELNS1_11target_archE1100ELNS1_3gpuE3ELNS1_3repE0EEENS1_30default_config_static_selectorELNS0_4arch9wavefront6targetE0EEEvT1_
	.globl	_ZN7rocprim17ROCPRIM_400000_NS6detail17trampoline_kernelINS0_14default_configENS1_25transform_config_selectorImLb1EEEZNS1_14transform_implILb1ES3_S5_PmPlNS0_8identityIvEEEE10hipError_tT2_T3_mT4_P12ihipStream_tbEUlT_E_NS1_11comp_targetILNS1_3genE9ELNS1_11target_archE1100ELNS1_3gpuE3ELNS1_3repE0EEENS1_30default_config_static_selectorELNS0_4arch9wavefront6targetE0EEEvT1_
	.p2align	8
	.type	_ZN7rocprim17ROCPRIM_400000_NS6detail17trampoline_kernelINS0_14default_configENS1_25transform_config_selectorImLb1EEEZNS1_14transform_implILb1ES3_S5_PmPlNS0_8identityIvEEEE10hipError_tT2_T3_mT4_P12ihipStream_tbEUlT_E_NS1_11comp_targetILNS1_3genE9ELNS1_11target_archE1100ELNS1_3gpuE3ELNS1_3repE0EEENS1_30default_config_static_selectorELNS0_4arch9wavefront6targetE0EEEvT1_,@function
_ZN7rocprim17ROCPRIM_400000_NS6detail17trampoline_kernelINS0_14default_configENS1_25transform_config_selectorImLb1EEEZNS1_14transform_implILb1ES3_S5_PmPlNS0_8identityIvEEEE10hipError_tT2_T3_mT4_P12ihipStream_tbEUlT_E_NS1_11comp_targetILNS1_3genE9ELNS1_11target_archE1100ELNS1_3gpuE3ELNS1_3repE0EEENS1_30default_config_static_selectorELNS0_4arch9wavefront6targetE0EEEvT1_: ; @_ZN7rocprim17ROCPRIM_400000_NS6detail17trampoline_kernelINS0_14default_configENS1_25transform_config_selectorImLb1EEEZNS1_14transform_implILb1ES3_S5_PmPlNS0_8identityIvEEEE10hipError_tT2_T3_mT4_P12ihipStream_tbEUlT_E_NS1_11comp_targetILNS1_3genE9ELNS1_11target_archE1100ELNS1_3gpuE3ELNS1_3repE0EEENS1_30default_config_static_selectorELNS0_4arch9wavefront6targetE0EEEvT1_
; %bb.0:
	s_load_b256 s[4:11], s[0:1], 0x0
	s_waitcnt lgkmcnt(0)
	s_load_b32 s9, s[0:1], 0x28
	s_lshl_b64 s[0:1], s[6:7], 3
	s_delay_alu instid0(SALU_CYCLE_1)
	s_add_u32 s4, s4, s0
	s_addc_u32 s5, s5, s1
	s_add_u32 s6, s10, s0
	s_addc_u32 s7, s11, s1
	s_lshl_b32 s0, s15, 11
	s_mov_b32 s1, 0
	s_waitcnt lgkmcnt(0)
	s_add_i32 s9, s9, -1
	s_lshl_b64 s[2:3], s[0:1], 3
	s_mov_b32 s1, -1
	s_add_u32 s4, s4, s2
	s_addc_u32 s5, s5, s3
	s_cmp_lg_u32 s15, s9
	s_cbranch_scc0 .LBB51_2
; %bb.1:
	v_lshlrev_b32_e32 v5, 4, v0
	s_add_u32 s10, s6, s2
	s_addc_u32 s11, s7, s3
	s_mov_b32 s1, 0
	global_load_b128 v[1:4], v5, s[4:5] slc dlc
	s_waitcnt vmcnt(0)
	global_store_b128 v5, v[1:4], s[10:11]
.LBB51_2:
	s_and_not1_b32 vcc_lo, exec_lo, s1
	s_cbranch_vccnz .LBB51_11
; %bb.3:
	s_sub_i32 s0, s8, s0
	v_lshlrev_b32_e32 v5, 3, v0
	v_cmp_gt_u32_e32 vcc_lo, s0, v0
                                        ; implicit-def: $vgpr1_vgpr2_vgpr3_vgpr4
	s_and_saveexec_b32 s1, vcc_lo
	s_cbranch_execz .LBB51_5
; %bb.4:
	global_load_b64 v[1:2], v5, s[4:5]
.LBB51_5:
	s_or_b32 exec_lo, exec_lo, s1
	v_or_b32_e32 v0, 0x400, v0
	s_delay_alu instid0(VALU_DEP_1) | instskip(NEXT) | instid1(VALU_DEP_1)
	v_cmp_gt_u32_e64 s0, s0, v0
	s_and_saveexec_b32 s1, s0
	s_cbranch_execz .LBB51_7
; %bb.6:
	v_lshlrev_b32_e32 v0, 3, v0
	global_load_b64 v[3:4], v0, s[4:5]
.LBB51_7:
	s_or_b32 exec_lo, exec_lo, s1
	s_add_u32 s1, s6, s2
	s_addc_u32 s2, s7, s3
	v_add_co_u32 v5, s1, s1, v5
	s_delay_alu instid0(VALU_DEP_1)
	v_add_co_ci_u32_e64 v6, null, s2, 0, s1
	s_and_saveexec_b32 s1, vcc_lo
	s_cbranch_execz .LBB51_9
; %bb.8:
	s_waitcnt vmcnt(0)
	global_store_b64 v[5:6], v[1:2], off
.LBB51_9:
	s_or_b32 exec_lo, exec_lo, s1
	s_and_saveexec_b32 s1, s0
	s_cbranch_execz .LBB51_11
; %bb.10:
	v_add_co_u32 v0, vcc_lo, 0x2000, v5
	s_waitcnt vmcnt(0)
	v_add_co_ci_u32_e32 v1, vcc_lo, 0, v6, vcc_lo
	global_store_b64 v[0:1], v[3:4], off
.LBB51_11:
	s_nop 0
	s_sendmsg sendmsg(MSG_DEALLOC_VGPRS)
	s_endpgm
	.section	.rodata,"a",@progbits
	.p2align	6, 0x0
	.amdhsa_kernel _ZN7rocprim17ROCPRIM_400000_NS6detail17trampoline_kernelINS0_14default_configENS1_25transform_config_selectorImLb1EEEZNS1_14transform_implILb1ES3_S5_PmPlNS0_8identityIvEEEE10hipError_tT2_T3_mT4_P12ihipStream_tbEUlT_E_NS1_11comp_targetILNS1_3genE9ELNS1_11target_archE1100ELNS1_3gpuE3ELNS1_3repE0EEENS1_30default_config_static_selectorELNS0_4arch9wavefront6targetE0EEEvT1_
		.amdhsa_group_segment_fixed_size 0
		.amdhsa_private_segment_fixed_size 0
		.amdhsa_kernarg_size 296
		.amdhsa_user_sgpr_count 15
		.amdhsa_user_sgpr_dispatch_ptr 0
		.amdhsa_user_sgpr_queue_ptr 0
		.amdhsa_user_sgpr_kernarg_segment_ptr 1
		.amdhsa_user_sgpr_dispatch_id 0
		.amdhsa_user_sgpr_private_segment_size 0
		.amdhsa_wavefront_size32 1
		.amdhsa_uses_dynamic_stack 0
		.amdhsa_enable_private_segment 0
		.amdhsa_system_sgpr_workgroup_id_x 1
		.amdhsa_system_sgpr_workgroup_id_y 0
		.amdhsa_system_sgpr_workgroup_id_z 0
		.amdhsa_system_sgpr_workgroup_info 0
		.amdhsa_system_vgpr_workitem_id 0
		.amdhsa_next_free_vgpr 7
		.amdhsa_next_free_sgpr 16
		.amdhsa_reserve_vcc 1
		.amdhsa_float_round_mode_32 0
		.amdhsa_float_round_mode_16_64 0
		.amdhsa_float_denorm_mode_32 3
		.amdhsa_float_denorm_mode_16_64 3
		.amdhsa_dx10_clamp 1
		.amdhsa_ieee_mode 1
		.amdhsa_fp16_overflow 0
		.amdhsa_workgroup_processor_mode 1
		.amdhsa_memory_ordered 1
		.amdhsa_forward_progress 0
		.amdhsa_shared_vgpr_count 0
		.amdhsa_exception_fp_ieee_invalid_op 0
		.amdhsa_exception_fp_denorm_src 0
		.amdhsa_exception_fp_ieee_div_zero 0
		.amdhsa_exception_fp_ieee_overflow 0
		.amdhsa_exception_fp_ieee_underflow 0
		.amdhsa_exception_fp_ieee_inexact 0
		.amdhsa_exception_int_div_zero 0
	.end_amdhsa_kernel
	.section	.text._ZN7rocprim17ROCPRIM_400000_NS6detail17trampoline_kernelINS0_14default_configENS1_25transform_config_selectorImLb1EEEZNS1_14transform_implILb1ES3_S5_PmPlNS0_8identityIvEEEE10hipError_tT2_T3_mT4_P12ihipStream_tbEUlT_E_NS1_11comp_targetILNS1_3genE9ELNS1_11target_archE1100ELNS1_3gpuE3ELNS1_3repE0EEENS1_30default_config_static_selectorELNS0_4arch9wavefront6targetE0EEEvT1_,"axG",@progbits,_ZN7rocprim17ROCPRIM_400000_NS6detail17trampoline_kernelINS0_14default_configENS1_25transform_config_selectorImLb1EEEZNS1_14transform_implILb1ES3_S5_PmPlNS0_8identityIvEEEE10hipError_tT2_T3_mT4_P12ihipStream_tbEUlT_E_NS1_11comp_targetILNS1_3genE9ELNS1_11target_archE1100ELNS1_3gpuE3ELNS1_3repE0EEENS1_30default_config_static_selectorELNS0_4arch9wavefront6targetE0EEEvT1_,comdat
.Lfunc_end51:
	.size	_ZN7rocprim17ROCPRIM_400000_NS6detail17trampoline_kernelINS0_14default_configENS1_25transform_config_selectorImLb1EEEZNS1_14transform_implILb1ES3_S5_PmPlNS0_8identityIvEEEE10hipError_tT2_T3_mT4_P12ihipStream_tbEUlT_E_NS1_11comp_targetILNS1_3genE9ELNS1_11target_archE1100ELNS1_3gpuE3ELNS1_3repE0EEENS1_30default_config_static_selectorELNS0_4arch9wavefront6targetE0EEEvT1_, .Lfunc_end51-_ZN7rocprim17ROCPRIM_400000_NS6detail17trampoline_kernelINS0_14default_configENS1_25transform_config_selectorImLb1EEEZNS1_14transform_implILb1ES3_S5_PmPlNS0_8identityIvEEEE10hipError_tT2_T3_mT4_P12ihipStream_tbEUlT_E_NS1_11comp_targetILNS1_3genE9ELNS1_11target_archE1100ELNS1_3gpuE3ELNS1_3repE0EEENS1_30default_config_static_selectorELNS0_4arch9wavefront6targetE0EEEvT1_
                                        ; -- End function
	.section	.AMDGPU.csdata,"",@progbits
; Kernel info:
; codeLenInByte = 304
; NumSgprs: 18
; NumVgprs: 7
; ScratchSize: 0
; MemoryBound: 1
; FloatMode: 240
; IeeeMode: 1
; LDSByteSize: 0 bytes/workgroup (compile time only)
; SGPRBlocks: 2
; VGPRBlocks: 0
; NumSGPRsForWavesPerEU: 18
; NumVGPRsForWavesPerEU: 7
; Occupancy: 16
; WaveLimiterHint : 0
; COMPUTE_PGM_RSRC2:SCRATCH_EN: 0
; COMPUTE_PGM_RSRC2:USER_SGPR: 15
; COMPUTE_PGM_RSRC2:TRAP_HANDLER: 0
; COMPUTE_PGM_RSRC2:TGID_X_EN: 1
; COMPUTE_PGM_RSRC2:TGID_Y_EN: 0
; COMPUTE_PGM_RSRC2:TGID_Z_EN: 0
; COMPUTE_PGM_RSRC2:TIDIG_COMP_CNT: 0
	.section	.text._ZN7rocprim17ROCPRIM_400000_NS6detail17trampoline_kernelINS0_14default_configENS1_25transform_config_selectorImLb1EEEZNS1_14transform_implILb1ES3_S5_PmPlNS0_8identityIvEEEE10hipError_tT2_T3_mT4_P12ihipStream_tbEUlT_E_NS1_11comp_targetILNS1_3genE8ELNS1_11target_archE1030ELNS1_3gpuE2ELNS1_3repE0EEENS1_30default_config_static_selectorELNS0_4arch9wavefront6targetE0EEEvT1_,"axG",@progbits,_ZN7rocprim17ROCPRIM_400000_NS6detail17trampoline_kernelINS0_14default_configENS1_25transform_config_selectorImLb1EEEZNS1_14transform_implILb1ES3_S5_PmPlNS0_8identityIvEEEE10hipError_tT2_T3_mT4_P12ihipStream_tbEUlT_E_NS1_11comp_targetILNS1_3genE8ELNS1_11target_archE1030ELNS1_3gpuE2ELNS1_3repE0EEENS1_30default_config_static_selectorELNS0_4arch9wavefront6targetE0EEEvT1_,comdat
	.protected	_ZN7rocprim17ROCPRIM_400000_NS6detail17trampoline_kernelINS0_14default_configENS1_25transform_config_selectorImLb1EEEZNS1_14transform_implILb1ES3_S5_PmPlNS0_8identityIvEEEE10hipError_tT2_T3_mT4_P12ihipStream_tbEUlT_E_NS1_11comp_targetILNS1_3genE8ELNS1_11target_archE1030ELNS1_3gpuE2ELNS1_3repE0EEENS1_30default_config_static_selectorELNS0_4arch9wavefront6targetE0EEEvT1_ ; -- Begin function _ZN7rocprim17ROCPRIM_400000_NS6detail17trampoline_kernelINS0_14default_configENS1_25transform_config_selectorImLb1EEEZNS1_14transform_implILb1ES3_S5_PmPlNS0_8identityIvEEEE10hipError_tT2_T3_mT4_P12ihipStream_tbEUlT_E_NS1_11comp_targetILNS1_3genE8ELNS1_11target_archE1030ELNS1_3gpuE2ELNS1_3repE0EEENS1_30default_config_static_selectorELNS0_4arch9wavefront6targetE0EEEvT1_
	.globl	_ZN7rocprim17ROCPRIM_400000_NS6detail17trampoline_kernelINS0_14default_configENS1_25transform_config_selectorImLb1EEEZNS1_14transform_implILb1ES3_S5_PmPlNS0_8identityIvEEEE10hipError_tT2_T3_mT4_P12ihipStream_tbEUlT_E_NS1_11comp_targetILNS1_3genE8ELNS1_11target_archE1030ELNS1_3gpuE2ELNS1_3repE0EEENS1_30default_config_static_selectorELNS0_4arch9wavefront6targetE0EEEvT1_
	.p2align	8
	.type	_ZN7rocprim17ROCPRIM_400000_NS6detail17trampoline_kernelINS0_14default_configENS1_25transform_config_selectorImLb1EEEZNS1_14transform_implILb1ES3_S5_PmPlNS0_8identityIvEEEE10hipError_tT2_T3_mT4_P12ihipStream_tbEUlT_E_NS1_11comp_targetILNS1_3genE8ELNS1_11target_archE1030ELNS1_3gpuE2ELNS1_3repE0EEENS1_30default_config_static_selectorELNS0_4arch9wavefront6targetE0EEEvT1_,@function
_ZN7rocprim17ROCPRIM_400000_NS6detail17trampoline_kernelINS0_14default_configENS1_25transform_config_selectorImLb1EEEZNS1_14transform_implILb1ES3_S5_PmPlNS0_8identityIvEEEE10hipError_tT2_T3_mT4_P12ihipStream_tbEUlT_E_NS1_11comp_targetILNS1_3genE8ELNS1_11target_archE1030ELNS1_3gpuE2ELNS1_3repE0EEENS1_30default_config_static_selectorELNS0_4arch9wavefront6targetE0EEEvT1_: ; @_ZN7rocprim17ROCPRIM_400000_NS6detail17trampoline_kernelINS0_14default_configENS1_25transform_config_selectorImLb1EEEZNS1_14transform_implILb1ES3_S5_PmPlNS0_8identityIvEEEE10hipError_tT2_T3_mT4_P12ihipStream_tbEUlT_E_NS1_11comp_targetILNS1_3genE8ELNS1_11target_archE1030ELNS1_3gpuE2ELNS1_3repE0EEENS1_30default_config_static_selectorELNS0_4arch9wavefront6targetE0EEEvT1_
; %bb.0:
	.section	.rodata,"a",@progbits
	.p2align	6, 0x0
	.amdhsa_kernel _ZN7rocprim17ROCPRIM_400000_NS6detail17trampoline_kernelINS0_14default_configENS1_25transform_config_selectorImLb1EEEZNS1_14transform_implILb1ES3_S5_PmPlNS0_8identityIvEEEE10hipError_tT2_T3_mT4_P12ihipStream_tbEUlT_E_NS1_11comp_targetILNS1_3genE8ELNS1_11target_archE1030ELNS1_3gpuE2ELNS1_3repE0EEENS1_30default_config_static_selectorELNS0_4arch9wavefront6targetE0EEEvT1_
		.amdhsa_group_segment_fixed_size 0
		.amdhsa_private_segment_fixed_size 0
		.amdhsa_kernarg_size 40
		.amdhsa_user_sgpr_count 15
		.amdhsa_user_sgpr_dispatch_ptr 0
		.amdhsa_user_sgpr_queue_ptr 0
		.amdhsa_user_sgpr_kernarg_segment_ptr 1
		.amdhsa_user_sgpr_dispatch_id 0
		.amdhsa_user_sgpr_private_segment_size 0
		.amdhsa_wavefront_size32 1
		.amdhsa_uses_dynamic_stack 0
		.amdhsa_enable_private_segment 0
		.amdhsa_system_sgpr_workgroup_id_x 1
		.amdhsa_system_sgpr_workgroup_id_y 0
		.amdhsa_system_sgpr_workgroup_id_z 0
		.amdhsa_system_sgpr_workgroup_info 0
		.amdhsa_system_vgpr_workitem_id 0
		.amdhsa_next_free_vgpr 1
		.amdhsa_next_free_sgpr 1
		.amdhsa_reserve_vcc 0
		.amdhsa_float_round_mode_32 0
		.amdhsa_float_round_mode_16_64 0
		.amdhsa_float_denorm_mode_32 3
		.amdhsa_float_denorm_mode_16_64 3
		.amdhsa_dx10_clamp 1
		.amdhsa_ieee_mode 1
		.amdhsa_fp16_overflow 0
		.amdhsa_workgroup_processor_mode 1
		.amdhsa_memory_ordered 1
		.amdhsa_forward_progress 0
		.amdhsa_shared_vgpr_count 0
		.amdhsa_exception_fp_ieee_invalid_op 0
		.amdhsa_exception_fp_denorm_src 0
		.amdhsa_exception_fp_ieee_div_zero 0
		.amdhsa_exception_fp_ieee_overflow 0
		.amdhsa_exception_fp_ieee_underflow 0
		.amdhsa_exception_fp_ieee_inexact 0
		.amdhsa_exception_int_div_zero 0
	.end_amdhsa_kernel
	.section	.text._ZN7rocprim17ROCPRIM_400000_NS6detail17trampoline_kernelINS0_14default_configENS1_25transform_config_selectorImLb1EEEZNS1_14transform_implILb1ES3_S5_PmPlNS0_8identityIvEEEE10hipError_tT2_T3_mT4_P12ihipStream_tbEUlT_E_NS1_11comp_targetILNS1_3genE8ELNS1_11target_archE1030ELNS1_3gpuE2ELNS1_3repE0EEENS1_30default_config_static_selectorELNS0_4arch9wavefront6targetE0EEEvT1_,"axG",@progbits,_ZN7rocprim17ROCPRIM_400000_NS6detail17trampoline_kernelINS0_14default_configENS1_25transform_config_selectorImLb1EEEZNS1_14transform_implILb1ES3_S5_PmPlNS0_8identityIvEEEE10hipError_tT2_T3_mT4_P12ihipStream_tbEUlT_E_NS1_11comp_targetILNS1_3genE8ELNS1_11target_archE1030ELNS1_3gpuE2ELNS1_3repE0EEENS1_30default_config_static_selectorELNS0_4arch9wavefront6targetE0EEEvT1_,comdat
.Lfunc_end52:
	.size	_ZN7rocprim17ROCPRIM_400000_NS6detail17trampoline_kernelINS0_14default_configENS1_25transform_config_selectorImLb1EEEZNS1_14transform_implILb1ES3_S5_PmPlNS0_8identityIvEEEE10hipError_tT2_T3_mT4_P12ihipStream_tbEUlT_E_NS1_11comp_targetILNS1_3genE8ELNS1_11target_archE1030ELNS1_3gpuE2ELNS1_3repE0EEENS1_30default_config_static_selectorELNS0_4arch9wavefront6targetE0EEEvT1_, .Lfunc_end52-_ZN7rocprim17ROCPRIM_400000_NS6detail17trampoline_kernelINS0_14default_configENS1_25transform_config_selectorImLb1EEEZNS1_14transform_implILb1ES3_S5_PmPlNS0_8identityIvEEEE10hipError_tT2_T3_mT4_P12ihipStream_tbEUlT_E_NS1_11comp_targetILNS1_3genE8ELNS1_11target_archE1030ELNS1_3gpuE2ELNS1_3repE0EEENS1_30default_config_static_selectorELNS0_4arch9wavefront6targetE0EEEvT1_
                                        ; -- End function
	.section	.AMDGPU.csdata,"",@progbits
; Kernel info:
; codeLenInByte = 0
; NumSgprs: 0
; NumVgprs: 0
; ScratchSize: 0
; MemoryBound: 0
; FloatMode: 240
; IeeeMode: 1
; LDSByteSize: 0 bytes/workgroup (compile time only)
; SGPRBlocks: 0
; VGPRBlocks: 0
; NumSGPRsForWavesPerEU: 1
; NumVGPRsForWavesPerEU: 1
; Occupancy: 16
; WaveLimiterHint : 0
; COMPUTE_PGM_RSRC2:SCRATCH_EN: 0
; COMPUTE_PGM_RSRC2:USER_SGPR: 15
; COMPUTE_PGM_RSRC2:TRAP_HANDLER: 0
; COMPUTE_PGM_RSRC2:TGID_X_EN: 1
; COMPUTE_PGM_RSRC2:TGID_Y_EN: 0
; COMPUTE_PGM_RSRC2:TGID_Z_EN: 0
; COMPUTE_PGM_RSRC2:TIDIG_COMP_CNT: 0
	.section	.text._ZN7rocprim17ROCPRIM_400000_NS6detail31init_lookback_scan_state_kernelINS1_19lookback_scan_stateImLb1ELb1EEENS1_16block_id_wrapperIjLb1EEEEEvT_jT0_jPNS7_10value_typeE,"axG",@progbits,_ZN7rocprim17ROCPRIM_400000_NS6detail31init_lookback_scan_state_kernelINS1_19lookback_scan_stateImLb1ELb1EEENS1_16block_id_wrapperIjLb1EEEEEvT_jT0_jPNS7_10value_typeE,comdat
	.protected	_ZN7rocprim17ROCPRIM_400000_NS6detail31init_lookback_scan_state_kernelINS1_19lookback_scan_stateImLb1ELb1EEENS1_16block_id_wrapperIjLb1EEEEEvT_jT0_jPNS7_10value_typeE ; -- Begin function _ZN7rocprim17ROCPRIM_400000_NS6detail31init_lookback_scan_state_kernelINS1_19lookback_scan_stateImLb1ELb1EEENS1_16block_id_wrapperIjLb1EEEEEvT_jT0_jPNS7_10value_typeE
	.globl	_ZN7rocprim17ROCPRIM_400000_NS6detail31init_lookback_scan_state_kernelINS1_19lookback_scan_stateImLb1ELb1EEENS1_16block_id_wrapperIjLb1EEEEEvT_jT0_jPNS7_10value_typeE
	.p2align	8
	.type	_ZN7rocprim17ROCPRIM_400000_NS6detail31init_lookback_scan_state_kernelINS1_19lookback_scan_stateImLb1ELb1EEENS1_16block_id_wrapperIjLb1EEEEEvT_jT0_jPNS7_10value_typeE,@function
_ZN7rocprim17ROCPRIM_400000_NS6detail31init_lookback_scan_state_kernelINS1_19lookback_scan_stateImLb1ELb1EEENS1_16block_id_wrapperIjLb1EEEEEvT_jT0_jPNS7_10value_typeE: ; @_ZN7rocprim17ROCPRIM_400000_NS6detail31init_lookback_scan_state_kernelINS1_19lookback_scan_stateImLb1ELb1EEENS1_16block_id_wrapperIjLb1EEEEEvT_jT0_jPNS7_10value_typeE
; %bb.0:
	s_clause 0x3
	s_load_b32 s6, s[0:1], 0x34
	s_load_b64 s[4:5], s[0:1], 0x20
	s_load_b64 s[2:3], s[0:1], 0x0
	s_load_b32 s8, s[0:1], 0x8
	s_waitcnt lgkmcnt(0)
	s_and_b32 s6, s6, 0xffff
	s_cmp_eq_u64 s[4:5], 0
	v_mad_u64_u32 v[1:2], null, s15, s6, v[0:1]
	s_cbranch_scc1 .LBB53_10
; %bb.1:
	s_load_b32 s6, s[0:1], 0x18
	s_waitcnt lgkmcnt(0)
	s_cmp_lt_u32 s6, s8
	s_cselect_b32 s7, s6, 0
	s_delay_alu instid0(VALU_DEP_1) | instid1(SALU_CYCLE_1)
	v_cmp_eq_u32_e32 vcc_lo, s7, v1
	s_mov_b32 s7, 0
	s_and_saveexec_b32 s9, vcc_lo
	s_cbranch_execz .LBB53_9
; %bb.2:
	s_add_i32 s6, s6, 32
	s_mov_b32 s10, exec_lo
	s_lshl_b64 s[6:7], s[6:7], 4
	v_mov_b32_e32 v6, 0
	s_add_u32 s6, s2, s6
	s_addc_u32 s7, s3, s7
	s_delay_alu instid0(SALU_CYCLE_1) | instskip(SKIP_2) | instid1(VALU_DEP_1)
	v_dual_mov_b32 v2, s6 :: v_dual_mov_b32 v3, s7
	;;#ASMSTART
	global_load_dwordx4 v[2:5], v[2:3] off glc	
s_waitcnt vmcnt(0)
	;;#ASMEND
	v_and_b32_e32 v5, 0xff, v4
	v_cmpx_eq_u64_e32 0, v[5:6]
	s_cbranch_execz .LBB53_8
; %bb.3:
	v_dual_mov_b32 v8, s7 :: v_dual_mov_b32 v7, s6
	s_mov_b32 s7, 1
	s_mov_b32 s6, 0
	.p2align	6
.LBB53_4:                               ; =>This Loop Header: Depth=1
                                        ;     Child Loop BB53_5 Depth 2
	s_max_u32 s11, s7, 1
.LBB53_5:                               ;   Parent Loop BB53_4 Depth=1
                                        ; =>  This Inner Loop Header: Depth=2
	s_delay_alu instid0(SALU_CYCLE_1)
	s_add_i32 s11, s11, -1
	s_sleep 1
	s_cmp_eq_u32 s11, 0
	s_cbranch_scc0 .LBB53_5
; %bb.6:                                ;   in Loop: Header=BB53_4 Depth=1
	;;#ASMSTART
	global_load_dwordx4 v[2:5], v[7:8] off glc	
s_waitcnt vmcnt(0)
	;;#ASMEND
	v_and_b32_e32 v5, 0xff, v4
	s_cmp_lt_u32 s7, 32
	s_cselect_b32 s11, -1, 0
	s_delay_alu instid0(SALU_CYCLE_1) | instskip(NEXT) | instid1(VALU_DEP_1)
	s_cmp_lg_u32 s11, 0
	v_cmp_ne_u64_e32 vcc_lo, 0, v[5:6]
	s_addc_u32 s7, s7, 0
	s_or_b32 s6, vcc_lo, s6
	s_delay_alu instid0(SALU_CYCLE_1)
	s_and_not1_b32 exec_lo, exec_lo, s6
	s_cbranch_execnz .LBB53_4
; %bb.7:
	s_or_b32 exec_lo, exec_lo, s6
.LBB53_8:
	s_delay_alu instid0(SALU_CYCLE_1)
	s_or_b32 exec_lo, exec_lo, s10
	v_mov_b32_e32 v0, 0
	global_store_b64 v0, v[2:3], s[4:5]
.LBB53_9:
	s_or_b32 exec_lo, exec_lo, s9
.LBB53_10:
	s_delay_alu instid0(SALU_CYCLE_1) | instskip(NEXT) | instid1(VALU_DEP_1)
	s_mov_b32 s4, exec_lo
	v_cmpx_eq_u32_e32 0, v1
	s_cbranch_execz .LBB53_12
; %bb.11:
	s_load_b64 s[0:1], s[0:1], 0x10
	v_mov_b32_e32 v0, 0
	s_waitcnt lgkmcnt(0)
	global_store_b32 v0, v0, s[0:1]
.LBB53_12:
	s_or_b32 exec_lo, exec_lo, s4
	s_delay_alu instid0(SALU_CYCLE_1)
	s_mov_b32 s0, exec_lo
	v_cmpx_gt_u32_e64 s8, v1
	s_cbranch_execz .LBB53_14
; %bb.13:
	v_dual_mov_b32 v3, 0 :: v_dual_add_nc_u32 v2, 32, v1
	s_delay_alu instid0(VALU_DEP_1) | instskip(SKIP_2) | instid1(VALU_DEP_3)
	v_lshlrev_b64 v[5:6], 4, v[2:3]
	v_mov_b32_e32 v2, v3
	v_mov_b32_e32 v4, v3
	v_add_co_u32 v7, vcc_lo, s2, v5
	s_delay_alu instid0(VALU_DEP_4)
	v_add_co_ci_u32_e32 v8, vcc_lo, s3, v6, vcc_lo
	v_mov_b32_e32 v5, v3
	global_store_b128 v[7:8], v[2:5], off
.LBB53_14:
	s_or_b32 exec_lo, exec_lo, s0
	s_delay_alu instid0(SALU_CYCLE_1)
	s_mov_b32 s0, exec_lo
	v_cmpx_gt_u32_e32 32, v1
	s_cbranch_execz .LBB53_16
; %bb.15:
	v_dual_mov_b32 v2, 0 :: v_dual_mov_b32 v3, 0xff
	s_delay_alu instid0(VALU_DEP_1) | instskip(SKIP_1) | instid1(VALU_DEP_2)
	v_lshlrev_b64 v[4:5], 4, v[1:2]
	v_mov_b32_e32 v1, v2
	v_add_co_u32 v6, vcc_lo, s2, v4
	s_delay_alu instid0(VALU_DEP_3)
	v_add_co_ci_u32_e32 v7, vcc_lo, s3, v5, vcc_lo
	v_mov_b32_e32 v4, v2
	global_store_b128 v[6:7], v[1:4], off
.LBB53_16:
	s_nop 0
	s_sendmsg sendmsg(MSG_DEALLOC_VGPRS)
	s_endpgm
	.section	.rodata,"a",@progbits
	.p2align	6, 0x0
	.amdhsa_kernel _ZN7rocprim17ROCPRIM_400000_NS6detail31init_lookback_scan_state_kernelINS1_19lookback_scan_stateImLb1ELb1EEENS1_16block_id_wrapperIjLb1EEEEEvT_jT0_jPNS7_10value_typeE
		.amdhsa_group_segment_fixed_size 0
		.amdhsa_private_segment_fixed_size 0
		.amdhsa_kernarg_size 296
		.amdhsa_user_sgpr_count 15
		.amdhsa_user_sgpr_dispatch_ptr 0
		.amdhsa_user_sgpr_queue_ptr 0
		.amdhsa_user_sgpr_kernarg_segment_ptr 1
		.amdhsa_user_sgpr_dispatch_id 0
		.amdhsa_user_sgpr_private_segment_size 0
		.amdhsa_wavefront_size32 1
		.amdhsa_uses_dynamic_stack 0
		.amdhsa_enable_private_segment 0
		.amdhsa_system_sgpr_workgroup_id_x 1
		.amdhsa_system_sgpr_workgroup_id_y 0
		.amdhsa_system_sgpr_workgroup_id_z 0
		.amdhsa_system_sgpr_workgroup_info 0
		.amdhsa_system_vgpr_workitem_id 0
		.amdhsa_next_free_vgpr 9
		.amdhsa_next_free_sgpr 16
		.amdhsa_reserve_vcc 1
		.amdhsa_float_round_mode_32 0
		.amdhsa_float_round_mode_16_64 0
		.amdhsa_float_denorm_mode_32 3
		.amdhsa_float_denorm_mode_16_64 3
		.amdhsa_dx10_clamp 1
		.amdhsa_ieee_mode 1
		.amdhsa_fp16_overflow 0
		.amdhsa_workgroup_processor_mode 1
		.amdhsa_memory_ordered 1
		.amdhsa_forward_progress 0
		.amdhsa_shared_vgpr_count 0
		.amdhsa_exception_fp_ieee_invalid_op 0
		.amdhsa_exception_fp_denorm_src 0
		.amdhsa_exception_fp_ieee_div_zero 0
		.amdhsa_exception_fp_ieee_overflow 0
		.amdhsa_exception_fp_ieee_underflow 0
		.amdhsa_exception_fp_ieee_inexact 0
		.amdhsa_exception_int_div_zero 0
	.end_amdhsa_kernel
	.section	.text._ZN7rocprim17ROCPRIM_400000_NS6detail31init_lookback_scan_state_kernelINS1_19lookback_scan_stateImLb1ELb1EEENS1_16block_id_wrapperIjLb1EEEEEvT_jT0_jPNS7_10value_typeE,"axG",@progbits,_ZN7rocprim17ROCPRIM_400000_NS6detail31init_lookback_scan_state_kernelINS1_19lookback_scan_stateImLb1ELb1EEENS1_16block_id_wrapperIjLb1EEEEEvT_jT0_jPNS7_10value_typeE,comdat
.Lfunc_end53:
	.size	_ZN7rocprim17ROCPRIM_400000_NS6detail31init_lookback_scan_state_kernelINS1_19lookback_scan_stateImLb1ELb1EEENS1_16block_id_wrapperIjLb1EEEEEvT_jT0_jPNS7_10value_typeE, .Lfunc_end53-_ZN7rocprim17ROCPRIM_400000_NS6detail31init_lookback_scan_state_kernelINS1_19lookback_scan_stateImLb1ELb1EEENS1_16block_id_wrapperIjLb1EEEEEvT_jT0_jPNS7_10value_typeE
                                        ; -- End function
	.section	.AMDGPU.csdata,"",@progbits
; Kernel info:
; codeLenInByte = 560
; NumSgprs: 18
; NumVgprs: 9
; ScratchSize: 0
; MemoryBound: 0
; FloatMode: 240
; IeeeMode: 1
; LDSByteSize: 0 bytes/workgroup (compile time only)
; SGPRBlocks: 2
; VGPRBlocks: 1
; NumSGPRsForWavesPerEU: 18
; NumVGPRsForWavesPerEU: 9
; Occupancy: 16
; WaveLimiterHint : 0
; COMPUTE_PGM_RSRC2:SCRATCH_EN: 0
; COMPUTE_PGM_RSRC2:USER_SGPR: 15
; COMPUTE_PGM_RSRC2:TRAP_HANDLER: 0
; COMPUTE_PGM_RSRC2:TGID_X_EN: 1
; COMPUTE_PGM_RSRC2:TGID_Y_EN: 0
; COMPUTE_PGM_RSRC2:TGID_Z_EN: 0
; COMPUTE_PGM_RSRC2:TIDIG_COMP_CNT: 0
	.section	.text._ZN7rocprim17ROCPRIM_400000_NS6detail17trampoline_kernelINS0_14default_configENS1_25partition_config_selectorILNS1_17partition_subalgoE5ElNS0_10empty_typeEbEEZZNS1_14partition_implILS5_5ELb0ES3_mN6hipcub16HIPCUB_304000_NS21CountingInputIteratorIllEEPS6_NSA_22TransformInputIteratorIb7NonZeroIaEPalEENS0_5tupleIJPlS6_EEENSJ_IJSD_SD_EEES6_SK_JS6_EEE10hipError_tPvRmT3_T4_T5_T6_T7_T9_mT8_P12ihipStream_tbDpT10_ENKUlT_T0_E_clISt17integral_constantIbLb1EES16_EEDaS11_S12_EUlS11_E_NS1_11comp_targetILNS1_3genE0ELNS1_11target_archE4294967295ELNS1_3gpuE0ELNS1_3repE0EEENS1_30default_config_static_selectorELNS0_4arch9wavefront6targetE0EEEvT1_,"axG",@progbits,_ZN7rocprim17ROCPRIM_400000_NS6detail17trampoline_kernelINS0_14default_configENS1_25partition_config_selectorILNS1_17partition_subalgoE5ElNS0_10empty_typeEbEEZZNS1_14partition_implILS5_5ELb0ES3_mN6hipcub16HIPCUB_304000_NS21CountingInputIteratorIllEEPS6_NSA_22TransformInputIteratorIb7NonZeroIaEPalEENS0_5tupleIJPlS6_EEENSJ_IJSD_SD_EEES6_SK_JS6_EEE10hipError_tPvRmT3_T4_T5_T6_T7_T9_mT8_P12ihipStream_tbDpT10_ENKUlT_T0_E_clISt17integral_constantIbLb1EES16_EEDaS11_S12_EUlS11_E_NS1_11comp_targetILNS1_3genE0ELNS1_11target_archE4294967295ELNS1_3gpuE0ELNS1_3repE0EEENS1_30default_config_static_selectorELNS0_4arch9wavefront6targetE0EEEvT1_,comdat
	.protected	_ZN7rocprim17ROCPRIM_400000_NS6detail17trampoline_kernelINS0_14default_configENS1_25partition_config_selectorILNS1_17partition_subalgoE5ElNS0_10empty_typeEbEEZZNS1_14partition_implILS5_5ELb0ES3_mN6hipcub16HIPCUB_304000_NS21CountingInputIteratorIllEEPS6_NSA_22TransformInputIteratorIb7NonZeroIaEPalEENS0_5tupleIJPlS6_EEENSJ_IJSD_SD_EEES6_SK_JS6_EEE10hipError_tPvRmT3_T4_T5_T6_T7_T9_mT8_P12ihipStream_tbDpT10_ENKUlT_T0_E_clISt17integral_constantIbLb1EES16_EEDaS11_S12_EUlS11_E_NS1_11comp_targetILNS1_3genE0ELNS1_11target_archE4294967295ELNS1_3gpuE0ELNS1_3repE0EEENS1_30default_config_static_selectorELNS0_4arch9wavefront6targetE0EEEvT1_ ; -- Begin function _ZN7rocprim17ROCPRIM_400000_NS6detail17trampoline_kernelINS0_14default_configENS1_25partition_config_selectorILNS1_17partition_subalgoE5ElNS0_10empty_typeEbEEZZNS1_14partition_implILS5_5ELb0ES3_mN6hipcub16HIPCUB_304000_NS21CountingInputIteratorIllEEPS6_NSA_22TransformInputIteratorIb7NonZeroIaEPalEENS0_5tupleIJPlS6_EEENSJ_IJSD_SD_EEES6_SK_JS6_EEE10hipError_tPvRmT3_T4_T5_T6_T7_T9_mT8_P12ihipStream_tbDpT10_ENKUlT_T0_E_clISt17integral_constantIbLb1EES16_EEDaS11_S12_EUlS11_E_NS1_11comp_targetILNS1_3genE0ELNS1_11target_archE4294967295ELNS1_3gpuE0ELNS1_3repE0EEENS1_30default_config_static_selectorELNS0_4arch9wavefront6targetE0EEEvT1_
	.globl	_ZN7rocprim17ROCPRIM_400000_NS6detail17trampoline_kernelINS0_14default_configENS1_25partition_config_selectorILNS1_17partition_subalgoE5ElNS0_10empty_typeEbEEZZNS1_14partition_implILS5_5ELb0ES3_mN6hipcub16HIPCUB_304000_NS21CountingInputIteratorIllEEPS6_NSA_22TransformInputIteratorIb7NonZeroIaEPalEENS0_5tupleIJPlS6_EEENSJ_IJSD_SD_EEES6_SK_JS6_EEE10hipError_tPvRmT3_T4_T5_T6_T7_T9_mT8_P12ihipStream_tbDpT10_ENKUlT_T0_E_clISt17integral_constantIbLb1EES16_EEDaS11_S12_EUlS11_E_NS1_11comp_targetILNS1_3genE0ELNS1_11target_archE4294967295ELNS1_3gpuE0ELNS1_3repE0EEENS1_30default_config_static_selectorELNS0_4arch9wavefront6targetE0EEEvT1_
	.p2align	8
	.type	_ZN7rocprim17ROCPRIM_400000_NS6detail17trampoline_kernelINS0_14default_configENS1_25partition_config_selectorILNS1_17partition_subalgoE5ElNS0_10empty_typeEbEEZZNS1_14partition_implILS5_5ELb0ES3_mN6hipcub16HIPCUB_304000_NS21CountingInputIteratorIllEEPS6_NSA_22TransformInputIteratorIb7NonZeroIaEPalEENS0_5tupleIJPlS6_EEENSJ_IJSD_SD_EEES6_SK_JS6_EEE10hipError_tPvRmT3_T4_T5_T6_T7_T9_mT8_P12ihipStream_tbDpT10_ENKUlT_T0_E_clISt17integral_constantIbLb1EES16_EEDaS11_S12_EUlS11_E_NS1_11comp_targetILNS1_3genE0ELNS1_11target_archE4294967295ELNS1_3gpuE0ELNS1_3repE0EEENS1_30default_config_static_selectorELNS0_4arch9wavefront6targetE0EEEvT1_,@function
_ZN7rocprim17ROCPRIM_400000_NS6detail17trampoline_kernelINS0_14default_configENS1_25partition_config_selectorILNS1_17partition_subalgoE5ElNS0_10empty_typeEbEEZZNS1_14partition_implILS5_5ELb0ES3_mN6hipcub16HIPCUB_304000_NS21CountingInputIteratorIllEEPS6_NSA_22TransformInputIteratorIb7NonZeroIaEPalEENS0_5tupleIJPlS6_EEENSJ_IJSD_SD_EEES6_SK_JS6_EEE10hipError_tPvRmT3_T4_T5_T6_T7_T9_mT8_P12ihipStream_tbDpT10_ENKUlT_T0_E_clISt17integral_constantIbLb1EES16_EEDaS11_S12_EUlS11_E_NS1_11comp_targetILNS1_3genE0ELNS1_11target_archE4294967295ELNS1_3gpuE0ELNS1_3repE0EEENS1_30default_config_static_selectorELNS0_4arch9wavefront6targetE0EEEvT1_: ; @_ZN7rocprim17ROCPRIM_400000_NS6detail17trampoline_kernelINS0_14default_configENS1_25partition_config_selectorILNS1_17partition_subalgoE5ElNS0_10empty_typeEbEEZZNS1_14partition_implILS5_5ELb0ES3_mN6hipcub16HIPCUB_304000_NS21CountingInputIteratorIllEEPS6_NSA_22TransformInputIteratorIb7NonZeroIaEPalEENS0_5tupleIJPlS6_EEENSJ_IJSD_SD_EEES6_SK_JS6_EEE10hipError_tPvRmT3_T4_T5_T6_T7_T9_mT8_P12ihipStream_tbDpT10_ENKUlT_T0_E_clISt17integral_constantIbLb1EES16_EEDaS11_S12_EUlS11_E_NS1_11comp_targetILNS1_3genE0ELNS1_11target_archE4294967295ELNS1_3gpuE0ELNS1_3repE0EEENS1_30default_config_static_selectorELNS0_4arch9wavefront6targetE0EEEvT1_
; %bb.0:
	.section	.rodata,"a",@progbits
	.p2align	6, 0x0
	.amdhsa_kernel _ZN7rocprim17ROCPRIM_400000_NS6detail17trampoline_kernelINS0_14default_configENS1_25partition_config_selectorILNS1_17partition_subalgoE5ElNS0_10empty_typeEbEEZZNS1_14partition_implILS5_5ELb0ES3_mN6hipcub16HIPCUB_304000_NS21CountingInputIteratorIllEEPS6_NSA_22TransformInputIteratorIb7NonZeroIaEPalEENS0_5tupleIJPlS6_EEENSJ_IJSD_SD_EEES6_SK_JS6_EEE10hipError_tPvRmT3_T4_T5_T6_T7_T9_mT8_P12ihipStream_tbDpT10_ENKUlT_T0_E_clISt17integral_constantIbLb1EES16_EEDaS11_S12_EUlS11_E_NS1_11comp_targetILNS1_3genE0ELNS1_11target_archE4294967295ELNS1_3gpuE0ELNS1_3repE0EEENS1_30default_config_static_selectorELNS0_4arch9wavefront6targetE0EEEvT1_
		.amdhsa_group_segment_fixed_size 0
		.amdhsa_private_segment_fixed_size 0
		.amdhsa_kernarg_size 136
		.amdhsa_user_sgpr_count 15
		.amdhsa_user_sgpr_dispatch_ptr 0
		.amdhsa_user_sgpr_queue_ptr 0
		.amdhsa_user_sgpr_kernarg_segment_ptr 1
		.amdhsa_user_sgpr_dispatch_id 0
		.amdhsa_user_sgpr_private_segment_size 0
		.amdhsa_wavefront_size32 1
		.amdhsa_uses_dynamic_stack 0
		.amdhsa_enable_private_segment 0
		.amdhsa_system_sgpr_workgroup_id_x 1
		.amdhsa_system_sgpr_workgroup_id_y 0
		.amdhsa_system_sgpr_workgroup_id_z 0
		.amdhsa_system_sgpr_workgroup_info 0
		.amdhsa_system_vgpr_workitem_id 0
		.amdhsa_next_free_vgpr 1
		.amdhsa_next_free_sgpr 1
		.amdhsa_reserve_vcc 0
		.amdhsa_float_round_mode_32 0
		.amdhsa_float_round_mode_16_64 0
		.amdhsa_float_denorm_mode_32 3
		.amdhsa_float_denorm_mode_16_64 3
		.amdhsa_dx10_clamp 1
		.amdhsa_ieee_mode 1
		.amdhsa_fp16_overflow 0
		.amdhsa_workgroup_processor_mode 1
		.amdhsa_memory_ordered 1
		.amdhsa_forward_progress 0
		.amdhsa_shared_vgpr_count 0
		.amdhsa_exception_fp_ieee_invalid_op 0
		.amdhsa_exception_fp_denorm_src 0
		.amdhsa_exception_fp_ieee_div_zero 0
		.amdhsa_exception_fp_ieee_overflow 0
		.amdhsa_exception_fp_ieee_underflow 0
		.amdhsa_exception_fp_ieee_inexact 0
		.amdhsa_exception_int_div_zero 0
	.end_amdhsa_kernel
	.section	.text._ZN7rocprim17ROCPRIM_400000_NS6detail17trampoline_kernelINS0_14default_configENS1_25partition_config_selectorILNS1_17partition_subalgoE5ElNS0_10empty_typeEbEEZZNS1_14partition_implILS5_5ELb0ES3_mN6hipcub16HIPCUB_304000_NS21CountingInputIteratorIllEEPS6_NSA_22TransformInputIteratorIb7NonZeroIaEPalEENS0_5tupleIJPlS6_EEENSJ_IJSD_SD_EEES6_SK_JS6_EEE10hipError_tPvRmT3_T4_T5_T6_T7_T9_mT8_P12ihipStream_tbDpT10_ENKUlT_T0_E_clISt17integral_constantIbLb1EES16_EEDaS11_S12_EUlS11_E_NS1_11comp_targetILNS1_3genE0ELNS1_11target_archE4294967295ELNS1_3gpuE0ELNS1_3repE0EEENS1_30default_config_static_selectorELNS0_4arch9wavefront6targetE0EEEvT1_,"axG",@progbits,_ZN7rocprim17ROCPRIM_400000_NS6detail17trampoline_kernelINS0_14default_configENS1_25partition_config_selectorILNS1_17partition_subalgoE5ElNS0_10empty_typeEbEEZZNS1_14partition_implILS5_5ELb0ES3_mN6hipcub16HIPCUB_304000_NS21CountingInputIteratorIllEEPS6_NSA_22TransformInputIteratorIb7NonZeroIaEPalEENS0_5tupleIJPlS6_EEENSJ_IJSD_SD_EEES6_SK_JS6_EEE10hipError_tPvRmT3_T4_T5_T6_T7_T9_mT8_P12ihipStream_tbDpT10_ENKUlT_T0_E_clISt17integral_constantIbLb1EES16_EEDaS11_S12_EUlS11_E_NS1_11comp_targetILNS1_3genE0ELNS1_11target_archE4294967295ELNS1_3gpuE0ELNS1_3repE0EEENS1_30default_config_static_selectorELNS0_4arch9wavefront6targetE0EEEvT1_,comdat
.Lfunc_end54:
	.size	_ZN7rocprim17ROCPRIM_400000_NS6detail17trampoline_kernelINS0_14default_configENS1_25partition_config_selectorILNS1_17partition_subalgoE5ElNS0_10empty_typeEbEEZZNS1_14partition_implILS5_5ELb0ES3_mN6hipcub16HIPCUB_304000_NS21CountingInputIteratorIllEEPS6_NSA_22TransformInputIteratorIb7NonZeroIaEPalEENS0_5tupleIJPlS6_EEENSJ_IJSD_SD_EEES6_SK_JS6_EEE10hipError_tPvRmT3_T4_T5_T6_T7_T9_mT8_P12ihipStream_tbDpT10_ENKUlT_T0_E_clISt17integral_constantIbLb1EES16_EEDaS11_S12_EUlS11_E_NS1_11comp_targetILNS1_3genE0ELNS1_11target_archE4294967295ELNS1_3gpuE0ELNS1_3repE0EEENS1_30default_config_static_selectorELNS0_4arch9wavefront6targetE0EEEvT1_, .Lfunc_end54-_ZN7rocprim17ROCPRIM_400000_NS6detail17trampoline_kernelINS0_14default_configENS1_25partition_config_selectorILNS1_17partition_subalgoE5ElNS0_10empty_typeEbEEZZNS1_14partition_implILS5_5ELb0ES3_mN6hipcub16HIPCUB_304000_NS21CountingInputIteratorIllEEPS6_NSA_22TransformInputIteratorIb7NonZeroIaEPalEENS0_5tupleIJPlS6_EEENSJ_IJSD_SD_EEES6_SK_JS6_EEE10hipError_tPvRmT3_T4_T5_T6_T7_T9_mT8_P12ihipStream_tbDpT10_ENKUlT_T0_E_clISt17integral_constantIbLb1EES16_EEDaS11_S12_EUlS11_E_NS1_11comp_targetILNS1_3genE0ELNS1_11target_archE4294967295ELNS1_3gpuE0ELNS1_3repE0EEENS1_30default_config_static_selectorELNS0_4arch9wavefront6targetE0EEEvT1_
                                        ; -- End function
	.section	.AMDGPU.csdata,"",@progbits
; Kernel info:
; codeLenInByte = 0
; NumSgprs: 0
; NumVgprs: 0
; ScratchSize: 0
; MemoryBound: 0
; FloatMode: 240
; IeeeMode: 1
; LDSByteSize: 0 bytes/workgroup (compile time only)
; SGPRBlocks: 0
; VGPRBlocks: 0
; NumSGPRsForWavesPerEU: 1
; NumVGPRsForWavesPerEU: 1
; Occupancy: 16
; WaveLimiterHint : 0
; COMPUTE_PGM_RSRC2:SCRATCH_EN: 0
; COMPUTE_PGM_RSRC2:USER_SGPR: 15
; COMPUTE_PGM_RSRC2:TRAP_HANDLER: 0
; COMPUTE_PGM_RSRC2:TGID_X_EN: 1
; COMPUTE_PGM_RSRC2:TGID_Y_EN: 0
; COMPUTE_PGM_RSRC2:TGID_Z_EN: 0
; COMPUTE_PGM_RSRC2:TIDIG_COMP_CNT: 0
	.section	.text._ZN7rocprim17ROCPRIM_400000_NS6detail17trampoline_kernelINS0_14default_configENS1_25partition_config_selectorILNS1_17partition_subalgoE5ElNS0_10empty_typeEbEEZZNS1_14partition_implILS5_5ELb0ES3_mN6hipcub16HIPCUB_304000_NS21CountingInputIteratorIllEEPS6_NSA_22TransformInputIteratorIb7NonZeroIaEPalEENS0_5tupleIJPlS6_EEENSJ_IJSD_SD_EEES6_SK_JS6_EEE10hipError_tPvRmT3_T4_T5_T6_T7_T9_mT8_P12ihipStream_tbDpT10_ENKUlT_T0_E_clISt17integral_constantIbLb1EES16_EEDaS11_S12_EUlS11_E_NS1_11comp_targetILNS1_3genE5ELNS1_11target_archE942ELNS1_3gpuE9ELNS1_3repE0EEENS1_30default_config_static_selectorELNS0_4arch9wavefront6targetE0EEEvT1_,"axG",@progbits,_ZN7rocprim17ROCPRIM_400000_NS6detail17trampoline_kernelINS0_14default_configENS1_25partition_config_selectorILNS1_17partition_subalgoE5ElNS0_10empty_typeEbEEZZNS1_14partition_implILS5_5ELb0ES3_mN6hipcub16HIPCUB_304000_NS21CountingInputIteratorIllEEPS6_NSA_22TransformInputIteratorIb7NonZeroIaEPalEENS0_5tupleIJPlS6_EEENSJ_IJSD_SD_EEES6_SK_JS6_EEE10hipError_tPvRmT3_T4_T5_T6_T7_T9_mT8_P12ihipStream_tbDpT10_ENKUlT_T0_E_clISt17integral_constantIbLb1EES16_EEDaS11_S12_EUlS11_E_NS1_11comp_targetILNS1_3genE5ELNS1_11target_archE942ELNS1_3gpuE9ELNS1_3repE0EEENS1_30default_config_static_selectorELNS0_4arch9wavefront6targetE0EEEvT1_,comdat
	.protected	_ZN7rocprim17ROCPRIM_400000_NS6detail17trampoline_kernelINS0_14default_configENS1_25partition_config_selectorILNS1_17partition_subalgoE5ElNS0_10empty_typeEbEEZZNS1_14partition_implILS5_5ELb0ES3_mN6hipcub16HIPCUB_304000_NS21CountingInputIteratorIllEEPS6_NSA_22TransformInputIteratorIb7NonZeroIaEPalEENS0_5tupleIJPlS6_EEENSJ_IJSD_SD_EEES6_SK_JS6_EEE10hipError_tPvRmT3_T4_T5_T6_T7_T9_mT8_P12ihipStream_tbDpT10_ENKUlT_T0_E_clISt17integral_constantIbLb1EES16_EEDaS11_S12_EUlS11_E_NS1_11comp_targetILNS1_3genE5ELNS1_11target_archE942ELNS1_3gpuE9ELNS1_3repE0EEENS1_30default_config_static_selectorELNS0_4arch9wavefront6targetE0EEEvT1_ ; -- Begin function _ZN7rocprim17ROCPRIM_400000_NS6detail17trampoline_kernelINS0_14default_configENS1_25partition_config_selectorILNS1_17partition_subalgoE5ElNS0_10empty_typeEbEEZZNS1_14partition_implILS5_5ELb0ES3_mN6hipcub16HIPCUB_304000_NS21CountingInputIteratorIllEEPS6_NSA_22TransformInputIteratorIb7NonZeroIaEPalEENS0_5tupleIJPlS6_EEENSJ_IJSD_SD_EEES6_SK_JS6_EEE10hipError_tPvRmT3_T4_T5_T6_T7_T9_mT8_P12ihipStream_tbDpT10_ENKUlT_T0_E_clISt17integral_constantIbLb1EES16_EEDaS11_S12_EUlS11_E_NS1_11comp_targetILNS1_3genE5ELNS1_11target_archE942ELNS1_3gpuE9ELNS1_3repE0EEENS1_30default_config_static_selectorELNS0_4arch9wavefront6targetE0EEEvT1_
	.globl	_ZN7rocprim17ROCPRIM_400000_NS6detail17trampoline_kernelINS0_14default_configENS1_25partition_config_selectorILNS1_17partition_subalgoE5ElNS0_10empty_typeEbEEZZNS1_14partition_implILS5_5ELb0ES3_mN6hipcub16HIPCUB_304000_NS21CountingInputIteratorIllEEPS6_NSA_22TransformInputIteratorIb7NonZeroIaEPalEENS0_5tupleIJPlS6_EEENSJ_IJSD_SD_EEES6_SK_JS6_EEE10hipError_tPvRmT3_T4_T5_T6_T7_T9_mT8_P12ihipStream_tbDpT10_ENKUlT_T0_E_clISt17integral_constantIbLb1EES16_EEDaS11_S12_EUlS11_E_NS1_11comp_targetILNS1_3genE5ELNS1_11target_archE942ELNS1_3gpuE9ELNS1_3repE0EEENS1_30default_config_static_selectorELNS0_4arch9wavefront6targetE0EEEvT1_
	.p2align	8
	.type	_ZN7rocprim17ROCPRIM_400000_NS6detail17trampoline_kernelINS0_14default_configENS1_25partition_config_selectorILNS1_17partition_subalgoE5ElNS0_10empty_typeEbEEZZNS1_14partition_implILS5_5ELb0ES3_mN6hipcub16HIPCUB_304000_NS21CountingInputIteratorIllEEPS6_NSA_22TransformInputIteratorIb7NonZeroIaEPalEENS0_5tupleIJPlS6_EEENSJ_IJSD_SD_EEES6_SK_JS6_EEE10hipError_tPvRmT3_T4_T5_T6_T7_T9_mT8_P12ihipStream_tbDpT10_ENKUlT_T0_E_clISt17integral_constantIbLb1EES16_EEDaS11_S12_EUlS11_E_NS1_11comp_targetILNS1_3genE5ELNS1_11target_archE942ELNS1_3gpuE9ELNS1_3repE0EEENS1_30default_config_static_selectorELNS0_4arch9wavefront6targetE0EEEvT1_,@function
_ZN7rocprim17ROCPRIM_400000_NS6detail17trampoline_kernelINS0_14default_configENS1_25partition_config_selectorILNS1_17partition_subalgoE5ElNS0_10empty_typeEbEEZZNS1_14partition_implILS5_5ELb0ES3_mN6hipcub16HIPCUB_304000_NS21CountingInputIteratorIllEEPS6_NSA_22TransformInputIteratorIb7NonZeroIaEPalEENS0_5tupleIJPlS6_EEENSJ_IJSD_SD_EEES6_SK_JS6_EEE10hipError_tPvRmT3_T4_T5_T6_T7_T9_mT8_P12ihipStream_tbDpT10_ENKUlT_T0_E_clISt17integral_constantIbLb1EES16_EEDaS11_S12_EUlS11_E_NS1_11comp_targetILNS1_3genE5ELNS1_11target_archE942ELNS1_3gpuE9ELNS1_3repE0EEENS1_30default_config_static_selectorELNS0_4arch9wavefront6targetE0EEEvT1_: ; @_ZN7rocprim17ROCPRIM_400000_NS6detail17trampoline_kernelINS0_14default_configENS1_25partition_config_selectorILNS1_17partition_subalgoE5ElNS0_10empty_typeEbEEZZNS1_14partition_implILS5_5ELb0ES3_mN6hipcub16HIPCUB_304000_NS21CountingInputIteratorIllEEPS6_NSA_22TransformInputIteratorIb7NonZeroIaEPalEENS0_5tupleIJPlS6_EEENSJ_IJSD_SD_EEES6_SK_JS6_EEE10hipError_tPvRmT3_T4_T5_T6_T7_T9_mT8_P12ihipStream_tbDpT10_ENKUlT_T0_E_clISt17integral_constantIbLb1EES16_EEDaS11_S12_EUlS11_E_NS1_11comp_targetILNS1_3genE5ELNS1_11target_archE942ELNS1_3gpuE9ELNS1_3repE0EEENS1_30default_config_static_selectorELNS0_4arch9wavefront6targetE0EEEvT1_
; %bb.0:
	.section	.rodata,"a",@progbits
	.p2align	6, 0x0
	.amdhsa_kernel _ZN7rocprim17ROCPRIM_400000_NS6detail17trampoline_kernelINS0_14default_configENS1_25partition_config_selectorILNS1_17partition_subalgoE5ElNS0_10empty_typeEbEEZZNS1_14partition_implILS5_5ELb0ES3_mN6hipcub16HIPCUB_304000_NS21CountingInputIteratorIllEEPS6_NSA_22TransformInputIteratorIb7NonZeroIaEPalEENS0_5tupleIJPlS6_EEENSJ_IJSD_SD_EEES6_SK_JS6_EEE10hipError_tPvRmT3_T4_T5_T6_T7_T9_mT8_P12ihipStream_tbDpT10_ENKUlT_T0_E_clISt17integral_constantIbLb1EES16_EEDaS11_S12_EUlS11_E_NS1_11comp_targetILNS1_3genE5ELNS1_11target_archE942ELNS1_3gpuE9ELNS1_3repE0EEENS1_30default_config_static_selectorELNS0_4arch9wavefront6targetE0EEEvT1_
		.amdhsa_group_segment_fixed_size 0
		.amdhsa_private_segment_fixed_size 0
		.amdhsa_kernarg_size 136
		.amdhsa_user_sgpr_count 15
		.amdhsa_user_sgpr_dispatch_ptr 0
		.amdhsa_user_sgpr_queue_ptr 0
		.amdhsa_user_sgpr_kernarg_segment_ptr 1
		.amdhsa_user_sgpr_dispatch_id 0
		.amdhsa_user_sgpr_private_segment_size 0
		.amdhsa_wavefront_size32 1
		.amdhsa_uses_dynamic_stack 0
		.amdhsa_enable_private_segment 0
		.amdhsa_system_sgpr_workgroup_id_x 1
		.amdhsa_system_sgpr_workgroup_id_y 0
		.amdhsa_system_sgpr_workgroup_id_z 0
		.amdhsa_system_sgpr_workgroup_info 0
		.amdhsa_system_vgpr_workitem_id 0
		.amdhsa_next_free_vgpr 1
		.amdhsa_next_free_sgpr 1
		.amdhsa_reserve_vcc 0
		.amdhsa_float_round_mode_32 0
		.amdhsa_float_round_mode_16_64 0
		.amdhsa_float_denorm_mode_32 3
		.amdhsa_float_denorm_mode_16_64 3
		.amdhsa_dx10_clamp 1
		.amdhsa_ieee_mode 1
		.amdhsa_fp16_overflow 0
		.amdhsa_workgroup_processor_mode 1
		.amdhsa_memory_ordered 1
		.amdhsa_forward_progress 0
		.amdhsa_shared_vgpr_count 0
		.amdhsa_exception_fp_ieee_invalid_op 0
		.amdhsa_exception_fp_denorm_src 0
		.amdhsa_exception_fp_ieee_div_zero 0
		.amdhsa_exception_fp_ieee_overflow 0
		.amdhsa_exception_fp_ieee_underflow 0
		.amdhsa_exception_fp_ieee_inexact 0
		.amdhsa_exception_int_div_zero 0
	.end_amdhsa_kernel
	.section	.text._ZN7rocprim17ROCPRIM_400000_NS6detail17trampoline_kernelINS0_14default_configENS1_25partition_config_selectorILNS1_17partition_subalgoE5ElNS0_10empty_typeEbEEZZNS1_14partition_implILS5_5ELb0ES3_mN6hipcub16HIPCUB_304000_NS21CountingInputIteratorIllEEPS6_NSA_22TransformInputIteratorIb7NonZeroIaEPalEENS0_5tupleIJPlS6_EEENSJ_IJSD_SD_EEES6_SK_JS6_EEE10hipError_tPvRmT3_T4_T5_T6_T7_T9_mT8_P12ihipStream_tbDpT10_ENKUlT_T0_E_clISt17integral_constantIbLb1EES16_EEDaS11_S12_EUlS11_E_NS1_11comp_targetILNS1_3genE5ELNS1_11target_archE942ELNS1_3gpuE9ELNS1_3repE0EEENS1_30default_config_static_selectorELNS0_4arch9wavefront6targetE0EEEvT1_,"axG",@progbits,_ZN7rocprim17ROCPRIM_400000_NS6detail17trampoline_kernelINS0_14default_configENS1_25partition_config_selectorILNS1_17partition_subalgoE5ElNS0_10empty_typeEbEEZZNS1_14partition_implILS5_5ELb0ES3_mN6hipcub16HIPCUB_304000_NS21CountingInputIteratorIllEEPS6_NSA_22TransformInputIteratorIb7NonZeroIaEPalEENS0_5tupleIJPlS6_EEENSJ_IJSD_SD_EEES6_SK_JS6_EEE10hipError_tPvRmT3_T4_T5_T6_T7_T9_mT8_P12ihipStream_tbDpT10_ENKUlT_T0_E_clISt17integral_constantIbLb1EES16_EEDaS11_S12_EUlS11_E_NS1_11comp_targetILNS1_3genE5ELNS1_11target_archE942ELNS1_3gpuE9ELNS1_3repE0EEENS1_30default_config_static_selectorELNS0_4arch9wavefront6targetE0EEEvT1_,comdat
.Lfunc_end55:
	.size	_ZN7rocprim17ROCPRIM_400000_NS6detail17trampoline_kernelINS0_14default_configENS1_25partition_config_selectorILNS1_17partition_subalgoE5ElNS0_10empty_typeEbEEZZNS1_14partition_implILS5_5ELb0ES3_mN6hipcub16HIPCUB_304000_NS21CountingInputIteratorIllEEPS6_NSA_22TransformInputIteratorIb7NonZeroIaEPalEENS0_5tupleIJPlS6_EEENSJ_IJSD_SD_EEES6_SK_JS6_EEE10hipError_tPvRmT3_T4_T5_T6_T7_T9_mT8_P12ihipStream_tbDpT10_ENKUlT_T0_E_clISt17integral_constantIbLb1EES16_EEDaS11_S12_EUlS11_E_NS1_11comp_targetILNS1_3genE5ELNS1_11target_archE942ELNS1_3gpuE9ELNS1_3repE0EEENS1_30default_config_static_selectorELNS0_4arch9wavefront6targetE0EEEvT1_, .Lfunc_end55-_ZN7rocprim17ROCPRIM_400000_NS6detail17trampoline_kernelINS0_14default_configENS1_25partition_config_selectorILNS1_17partition_subalgoE5ElNS0_10empty_typeEbEEZZNS1_14partition_implILS5_5ELb0ES3_mN6hipcub16HIPCUB_304000_NS21CountingInputIteratorIllEEPS6_NSA_22TransformInputIteratorIb7NonZeroIaEPalEENS0_5tupleIJPlS6_EEENSJ_IJSD_SD_EEES6_SK_JS6_EEE10hipError_tPvRmT3_T4_T5_T6_T7_T9_mT8_P12ihipStream_tbDpT10_ENKUlT_T0_E_clISt17integral_constantIbLb1EES16_EEDaS11_S12_EUlS11_E_NS1_11comp_targetILNS1_3genE5ELNS1_11target_archE942ELNS1_3gpuE9ELNS1_3repE0EEENS1_30default_config_static_selectorELNS0_4arch9wavefront6targetE0EEEvT1_
                                        ; -- End function
	.section	.AMDGPU.csdata,"",@progbits
; Kernel info:
; codeLenInByte = 0
; NumSgprs: 0
; NumVgprs: 0
; ScratchSize: 0
; MemoryBound: 0
; FloatMode: 240
; IeeeMode: 1
; LDSByteSize: 0 bytes/workgroup (compile time only)
; SGPRBlocks: 0
; VGPRBlocks: 0
; NumSGPRsForWavesPerEU: 1
; NumVGPRsForWavesPerEU: 1
; Occupancy: 16
; WaveLimiterHint : 0
; COMPUTE_PGM_RSRC2:SCRATCH_EN: 0
; COMPUTE_PGM_RSRC2:USER_SGPR: 15
; COMPUTE_PGM_RSRC2:TRAP_HANDLER: 0
; COMPUTE_PGM_RSRC2:TGID_X_EN: 1
; COMPUTE_PGM_RSRC2:TGID_Y_EN: 0
; COMPUTE_PGM_RSRC2:TGID_Z_EN: 0
; COMPUTE_PGM_RSRC2:TIDIG_COMP_CNT: 0
	.section	.text._ZN7rocprim17ROCPRIM_400000_NS6detail17trampoline_kernelINS0_14default_configENS1_25partition_config_selectorILNS1_17partition_subalgoE5ElNS0_10empty_typeEbEEZZNS1_14partition_implILS5_5ELb0ES3_mN6hipcub16HIPCUB_304000_NS21CountingInputIteratorIllEEPS6_NSA_22TransformInputIteratorIb7NonZeroIaEPalEENS0_5tupleIJPlS6_EEENSJ_IJSD_SD_EEES6_SK_JS6_EEE10hipError_tPvRmT3_T4_T5_T6_T7_T9_mT8_P12ihipStream_tbDpT10_ENKUlT_T0_E_clISt17integral_constantIbLb1EES16_EEDaS11_S12_EUlS11_E_NS1_11comp_targetILNS1_3genE4ELNS1_11target_archE910ELNS1_3gpuE8ELNS1_3repE0EEENS1_30default_config_static_selectorELNS0_4arch9wavefront6targetE0EEEvT1_,"axG",@progbits,_ZN7rocprim17ROCPRIM_400000_NS6detail17trampoline_kernelINS0_14default_configENS1_25partition_config_selectorILNS1_17partition_subalgoE5ElNS0_10empty_typeEbEEZZNS1_14partition_implILS5_5ELb0ES3_mN6hipcub16HIPCUB_304000_NS21CountingInputIteratorIllEEPS6_NSA_22TransformInputIteratorIb7NonZeroIaEPalEENS0_5tupleIJPlS6_EEENSJ_IJSD_SD_EEES6_SK_JS6_EEE10hipError_tPvRmT3_T4_T5_T6_T7_T9_mT8_P12ihipStream_tbDpT10_ENKUlT_T0_E_clISt17integral_constantIbLb1EES16_EEDaS11_S12_EUlS11_E_NS1_11comp_targetILNS1_3genE4ELNS1_11target_archE910ELNS1_3gpuE8ELNS1_3repE0EEENS1_30default_config_static_selectorELNS0_4arch9wavefront6targetE0EEEvT1_,comdat
	.protected	_ZN7rocprim17ROCPRIM_400000_NS6detail17trampoline_kernelINS0_14default_configENS1_25partition_config_selectorILNS1_17partition_subalgoE5ElNS0_10empty_typeEbEEZZNS1_14partition_implILS5_5ELb0ES3_mN6hipcub16HIPCUB_304000_NS21CountingInputIteratorIllEEPS6_NSA_22TransformInputIteratorIb7NonZeroIaEPalEENS0_5tupleIJPlS6_EEENSJ_IJSD_SD_EEES6_SK_JS6_EEE10hipError_tPvRmT3_T4_T5_T6_T7_T9_mT8_P12ihipStream_tbDpT10_ENKUlT_T0_E_clISt17integral_constantIbLb1EES16_EEDaS11_S12_EUlS11_E_NS1_11comp_targetILNS1_3genE4ELNS1_11target_archE910ELNS1_3gpuE8ELNS1_3repE0EEENS1_30default_config_static_selectorELNS0_4arch9wavefront6targetE0EEEvT1_ ; -- Begin function _ZN7rocprim17ROCPRIM_400000_NS6detail17trampoline_kernelINS0_14default_configENS1_25partition_config_selectorILNS1_17partition_subalgoE5ElNS0_10empty_typeEbEEZZNS1_14partition_implILS5_5ELb0ES3_mN6hipcub16HIPCUB_304000_NS21CountingInputIteratorIllEEPS6_NSA_22TransformInputIteratorIb7NonZeroIaEPalEENS0_5tupleIJPlS6_EEENSJ_IJSD_SD_EEES6_SK_JS6_EEE10hipError_tPvRmT3_T4_T5_T6_T7_T9_mT8_P12ihipStream_tbDpT10_ENKUlT_T0_E_clISt17integral_constantIbLb1EES16_EEDaS11_S12_EUlS11_E_NS1_11comp_targetILNS1_3genE4ELNS1_11target_archE910ELNS1_3gpuE8ELNS1_3repE0EEENS1_30default_config_static_selectorELNS0_4arch9wavefront6targetE0EEEvT1_
	.globl	_ZN7rocprim17ROCPRIM_400000_NS6detail17trampoline_kernelINS0_14default_configENS1_25partition_config_selectorILNS1_17partition_subalgoE5ElNS0_10empty_typeEbEEZZNS1_14partition_implILS5_5ELb0ES3_mN6hipcub16HIPCUB_304000_NS21CountingInputIteratorIllEEPS6_NSA_22TransformInputIteratorIb7NonZeroIaEPalEENS0_5tupleIJPlS6_EEENSJ_IJSD_SD_EEES6_SK_JS6_EEE10hipError_tPvRmT3_T4_T5_T6_T7_T9_mT8_P12ihipStream_tbDpT10_ENKUlT_T0_E_clISt17integral_constantIbLb1EES16_EEDaS11_S12_EUlS11_E_NS1_11comp_targetILNS1_3genE4ELNS1_11target_archE910ELNS1_3gpuE8ELNS1_3repE0EEENS1_30default_config_static_selectorELNS0_4arch9wavefront6targetE0EEEvT1_
	.p2align	8
	.type	_ZN7rocprim17ROCPRIM_400000_NS6detail17trampoline_kernelINS0_14default_configENS1_25partition_config_selectorILNS1_17partition_subalgoE5ElNS0_10empty_typeEbEEZZNS1_14partition_implILS5_5ELb0ES3_mN6hipcub16HIPCUB_304000_NS21CountingInputIteratorIllEEPS6_NSA_22TransformInputIteratorIb7NonZeroIaEPalEENS0_5tupleIJPlS6_EEENSJ_IJSD_SD_EEES6_SK_JS6_EEE10hipError_tPvRmT3_T4_T5_T6_T7_T9_mT8_P12ihipStream_tbDpT10_ENKUlT_T0_E_clISt17integral_constantIbLb1EES16_EEDaS11_S12_EUlS11_E_NS1_11comp_targetILNS1_3genE4ELNS1_11target_archE910ELNS1_3gpuE8ELNS1_3repE0EEENS1_30default_config_static_selectorELNS0_4arch9wavefront6targetE0EEEvT1_,@function
_ZN7rocprim17ROCPRIM_400000_NS6detail17trampoline_kernelINS0_14default_configENS1_25partition_config_selectorILNS1_17partition_subalgoE5ElNS0_10empty_typeEbEEZZNS1_14partition_implILS5_5ELb0ES3_mN6hipcub16HIPCUB_304000_NS21CountingInputIteratorIllEEPS6_NSA_22TransformInputIteratorIb7NonZeroIaEPalEENS0_5tupleIJPlS6_EEENSJ_IJSD_SD_EEES6_SK_JS6_EEE10hipError_tPvRmT3_T4_T5_T6_T7_T9_mT8_P12ihipStream_tbDpT10_ENKUlT_T0_E_clISt17integral_constantIbLb1EES16_EEDaS11_S12_EUlS11_E_NS1_11comp_targetILNS1_3genE4ELNS1_11target_archE910ELNS1_3gpuE8ELNS1_3repE0EEENS1_30default_config_static_selectorELNS0_4arch9wavefront6targetE0EEEvT1_: ; @_ZN7rocprim17ROCPRIM_400000_NS6detail17trampoline_kernelINS0_14default_configENS1_25partition_config_selectorILNS1_17partition_subalgoE5ElNS0_10empty_typeEbEEZZNS1_14partition_implILS5_5ELb0ES3_mN6hipcub16HIPCUB_304000_NS21CountingInputIteratorIllEEPS6_NSA_22TransformInputIteratorIb7NonZeroIaEPalEENS0_5tupleIJPlS6_EEENSJ_IJSD_SD_EEES6_SK_JS6_EEE10hipError_tPvRmT3_T4_T5_T6_T7_T9_mT8_P12ihipStream_tbDpT10_ENKUlT_T0_E_clISt17integral_constantIbLb1EES16_EEDaS11_S12_EUlS11_E_NS1_11comp_targetILNS1_3genE4ELNS1_11target_archE910ELNS1_3gpuE8ELNS1_3repE0EEENS1_30default_config_static_selectorELNS0_4arch9wavefront6targetE0EEEvT1_
; %bb.0:
	.section	.rodata,"a",@progbits
	.p2align	6, 0x0
	.amdhsa_kernel _ZN7rocprim17ROCPRIM_400000_NS6detail17trampoline_kernelINS0_14default_configENS1_25partition_config_selectorILNS1_17partition_subalgoE5ElNS0_10empty_typeEbEEZZNS1_14partition_implILS5_5ELb0ES3_mN6hipcub16HIPCUB_304000_NS21CountingInputIteratorIllEEPS6_NSA_22TransformInputIteratorIb7NonZeroIaEPalEENS0_5tupleIJPlS6_EEENSJ_IJSD_SD_EEES6_SK_JS6_EEE10hipError_tPvRmT3_T4_T5_T6_T7_T9_mT8_P12ihipStream_tbDpT10_ENKUlT_T0_E_clISt17integral_constantIbLb1EES16_EEDaS11_S12_EUlS11_E_NS1_11comp_targetILNS1_3genE4ELNS1_11target_archE910ELNS1_3gpuE8ELNS1_3repE0EEENS1_30default_config_static_selectorELNS0_4arch9wavefront6targetE0EEEvT1_
		.amdhsa_group_segment_fixed_size 0
		.amdhsa_private_segment_fixed_size 0
		.amdhsa_kernarg_size 136
		.amdhsa_user_sgpr_count 15
		.amdhsa_user_sgpr_dispatch_ptr 0
		.amdhsa_user_sgpr_queue_ptr 0
		.amdhsa_user_sgpr_kernarg_segment_ptr 1
		.amdhsa_user_sgpr_dispatch_id 0
		.amdhsa_user_sgpr_private_segment_size 0
		.amdhsa_wavefront_size32 1
		.amdhsa_uses_dynamic_stack 0
		.amdhsa_enable_private_segment 0
		.amdhsa_system_sgpr_workgroup_id_x 1
		.amdhsa_system_sgpr_workgroup_id_y 0
		.amdhsa_system_sgpr_workgroup_id_z 0
		.amdhsa_system_sgpr_workgroup_info 0
		.amdhsa_system_vgpr_workitem_id 0
		.amdhsa_next_free_vgpr 1
		.amdhsa_next_free_sgpr 1
		.amdhsa_reserve_vcc 0
		.amdhsa_float_round_mode_32 0
		.amdhsa_float_round_mode_16_64 0
		.amdhsa_float_denorm_mode_32 3
		.amdhsa_float_denorm_mode_16_64 3
		.amdhsa_dx10_clamp 1
		.amdhsa_ieee_mode 1
		.amdhsa_fp16_overflow 0
		.amdhsa_workgroup_processor_mode 1
		.amdhsa_memory_ordered 1
		.amdhsa_forward_progress 0
		.amdhsa_shared_vgpr_count 0
		.amdhsa_exception_fp_ieee_invalid_op 0
		.amdhsa_exception_fp_denorm_src 0
		.amdhsa_exception_fp_ieee_div_zero 0
		.amdhsa_exception_fp_ieee_overflow 0
		.amdhsa_exception_fp_ieee_underflow 0
		.amdhsa_exception_fp_ieee_inexact 0
		.amdhsa_exception_int_div_zero 0
	.end_amdhsa_kernel
	.section	.text._ZN7rocprim17ROCPRIM_400000_NS6detail17trampoline_kernelINS0_14default_configENS1_25partition_config_selectorILNS1_17partition_subalgoE5ElNS0_10empty_typeEbEEZZNS1_14partition_implILS5_5ELb0ES3_mN6hipcub16HIPCUB_304000_NS21CountingInputIteratorIllEEPS6_NSA_22TransformInputIteratorIb7NonZeroIaEPalEENS0_5tupleIJPlS6_EEENSJ_IJSD_SD_EEES6_SK_JS6_EEE10hipError_tPvRmT3_T4_T5_T6_T7_T9_mT8_P12ihipStream_tbDpT10_ENKUlT_T0_E_clISt17integral_constantIbLb1EES16_EEDaS11_S12_EUlS11_E_NS1_11comp_targetILNS1_3genE4ELNS1_11target_archE910ELNS1_3gpuE8ELNS1_3repE0EEENS1_30default_config_static_selectorELNS0_4arch9wavefront6targetE0EEEvT1_,"axG",@progbits,_ZN7rocprim17ROCPRIM_400000_NS6detail17trampoline_kernelINS0_14default_configENS1_25partition_config_selectorILNS1_17partition_subalgoE5ElNS0_10empty_typeEbEEZZNS1_14partition_implILS5_5ELb0ES3_mN6hipcub16HIPCUB_304000_NS21CountingInputIteratorIllEEPS6_NSA_22TransformInputIteratorIb7NonZeroIaEPalEENS0_5tupleIJPlS6_EEENSJ_IJSD_SD_EEES6_SK_JS6_EEE10hipError_tPvRmT3_T4_T5_T6_T7_T9_mT8_P12ihipStream_tbDpT10_ENKUlT_T0_E_clISt17integral_constantIbLb1EES16_EEDaS11_S12_EUlS11_E_NS1_11comp_targetILNS1_3genE4ELNS1_11target_archE910ELNS1_3gpuE8ELNS1_3repE0EEENS1_30default_config_static_selectorELNS0_4arch9wavefront6targetE0EEEvT1_,comdat
.Lfunc_end56:
	.size	_ZN7rocprim17ROCPRIM_400000_NS6detail17trampoline_kernelINS0_14default_configENS1_25partition_config_selectorILNS1_17partition_subalgoE5ElNS0_10empty_typeEbEEZZNS1_14partition_implILS5_5ELb0ES3_mN6hipcub16HIPCUB_304000_NS21CountingInputIteratorIllEEPS6_NSA_22TransformInputIteratorIb7NonZeroIaEPalEENS0_5tupleIJPlS6_EEENSJ_IJSD_SD_EEES6_SK_JS6_EEE10hipError_tPvRmT3_T4_T5_T6_T7_T9_mT8_P12ihipStream_tbDpT10_ENKUlT_T0_E_clISt17integral_constantIbLb1EES16_EEDaS11_S12_EUlS11_E_NS1_11comp_targetILNS1_3genE4ELNS1_11target_archE910ELNS1_3gpuE8ELNS1_3repE0EEENS1_30default_config_static_selectorELNS0_4arch9wavefront6targetE0EEEvT1_, .Lfunc_end56-_ZN7rocprim17ROCPRIM_400000_NS6detail17trampoline_kernelINS0_14default_configENS1_25partition_config_selectorILNS1_17partition_subalgoE5ElNS0_10empty_typeEbEEZZNS1_14partition_implILS5_5ELb0ES3_mN6hipcub16HIPCUB_304000_NS21CountingInputIteratorIllEEPS6_NSA_22TransformInputIteratorIb7NonZeroIaEPalEENS0_5tupleIJPlS6_EEENSJ_IJSD_SD_EEES6_SK_JS6_EEE10hipError_tPvRmT3_T4_T5_T6_T7_T9_mT8_P12ihipStream_tbDpT10_ENKUlT_T0_E_clISt17integral_constantIbLb1EES16_EEDaS11_S12_EUlS11_E_NS1_11comp_targetILNS1_3genE4ELNS1_11target_archE910ELNS1_3gpuE8ELNS1_3repE0EEENS1_30default_config_static_selectorELNS0_4arch9wavefront6targetE0EEEvT1_
                                        ; -- End function
	.section	.AMDGPU.csdata,"",@progbits
; Kernel info:
; codeLenInByte = 0
; NumSgprs: 0
; NumVgprs: 0
; ScratchSize: 0
; MemoryBound: 0
; FloatMode: 240
; IeeeMode: 1
; LDSByteSize: 0 bytes/workgroup (compile time only)
; SGPRBlocks: 0
; VGPRBlocks: 0
; NumSGPRsForWavesPerEU: 1
; NumVGPRsForWavesPerEU: 1
; Occupancy: 15
; WaveLimiterHint : 0
; COMPUTE_PGM_RSRC2:SCRATCH_EN: 0
; COMPUTE_PGM_RSRC2:USER_SGPR: 15
; COMPUTE_PGM_RSRC2:TRAP_HANDLER: 0
; COMPUTE_PGM_RSRC2:TGID_X_EN: 1
; COMPUTE_PGM_RSRC2:TGID_Y_EN: 0
; COMPUTE_PGM_RSRC2:TGID_Z_EN: 0
; COMPUTE_PGM_RSRC2:TIDIG_COMP_CNT: 0
	.section	.text._ZN7rocprim17ROCPRIM_400000_NS6detail17trampoline_kernelINS0_14default_configENS1_25partition_config_selectorILNS1_17partition_subalgoE5ElNS0_10empty_typeEbEEZZNS1_14partition_implILS5_5ELb0ES3_mN6hipcub16HIPCUB_304000_NS21CountingInputIteratorIllEEPS6_NSA_22TransformInputIteratorIb7NonZeroIaEPalEENS0_5tupleIJPlS6_EEENSJ_IJSD_SD_EEES6_SK_JS6_EEE10hipError_tPvRmT3_T4_T5_T6_T7_T9_mT8_P12ihipStream_tbDpT10_ENKUlT_T0_E_clISt17integral_constantIbLb1EES16_EEDaS11_S12_EUlS11_E_NS1_11comp_targetILNS1_3genE3ELNS1_11target_archE908ELNS1_3gpuE7ELNS1_3repE0EEENS1_30default_config_static_selectorELNS0_4arch9wavefront6targetE0EEEvT1_,"axG",@progbits,_ZN7rocprim17ROCPRIM_400000_NS6detail17trampoline_kernelINS0_14default_configENS1_25partition_config_selectorILNS1_17partition_subalgoE5ElNS0_10empty_typeEbEEZZNS1_14partition_implILS5_5ELb0ES3_mN6hipcub16HIPCUB_304000_NS21CountingInputIteratorIllEEPS6_NSA_22TransformInputIteratorIb7NonZeroIaEPalEENS0_5tupleIJPlS6_EEENSJ_IJSD_SD_EEES6_SK_JS6_EEE10hipError_tPvRmT3_T4_T5_T6_T7_T9_mT8_P12ihipStream_tbDpT10_ENKUlT_T0_E_clISt17integral_constantIbLb1EES16_EEDaS11_S12_EUlS11_E_NS1_11comp_targetILNS1_3genE3ELNS1_11target_archE908ELNS1_3gpuE7ELNS1_3repE0EEENS1_30default_config_static_selectorELNS0_4arch9wavefront6targetE0EEEvT1_,comdat
	.protected	_ZN7rocprim17ROCPRIM_400000_NS6detail17trampoline_kernelINS0_14default_configENS1_25partition_config_selectorILNS1_17partition_subalgoE5ElNS0_10empty_typeEbEEZZNS1_14partition_implILS5_5ELb0ES3_mN6hipcub16HIPCUB_304000_NS21CountingInputIteratorIllEEPS6_NSA_22TransformInputIteratorIb7NonZeroIaEPalEENS0_5tupleIJPlS6_EEENSJ_IJSD_SD_EEES6_SK_JS6_EEE10hipError_tPvRmT3_T4_T5_T6_T7_T9_mT8_P12ihipStream_tbDpT10_ENKUlT_T0_E_clISt17integral_constantIbLb1EES16_EEDaS11_S12_EUlS11_E_NS1_11comp_targetILNS1_3genE3ELNS1_11target_archE908ELNS1_3gpuE7ELNS1_3repE0EEENS1_30default_config_static_selectorELNS0_4arch9wavefront6targetE0EEEvT1_ ; -- Begin function _ZN7rocprim17ROCPRIM_400000_NS6detail17trampoline_kernelINS0_14default_configENS1_25partition_config_selectorILNS1_17partition_subalgoE5ElNS0_10empty_typeEbEEZZNS1_14partition_implILS5_5ELb0ES3_mN6hipcub16HIPCUB_304000_NS21CountingInputIteratorIllEEPS6_NSA_22TransformInputIteratorIb7NonZeroIaEPalEENS0_5tupleIJPlS6_EEENSJ_IJSD_SD_EEES6_SK_JS6_EEE10hipError_tPvRmT3_T4_T5_T6_T7_T9_mT8_P12ihipStream_tbDpT10_ENKUlT_T0_E_clISt17integral_constantIbLb1EES16_EEDaS11_S12_EUlS11_E_NS1_11comp_targetILNS1_3genE3ELNS1_11target_archE908ELNS1_3gpuE7ELNS1_3repE0EEENS1_30default_config_static_selectorELNS0_4arch9wavefront6targetE0EEEvT1_
	.globl	_ZN7rocprim17ROCPRIM_400000_NS6detail17trampoline_kernelINS0_14default_configENS1_25partition_config_selectorILNS1_17partition_subalgoE5ElNS0_10empty_typeEbEEZZNS1_14partition_implILS5_5ELb0ES3_mN6hipcub16HIPCUB_304000_NS21CountingInputIteratorIllEEPS6_NSA_22TransformInputIteratorIb7NonZeroIaEPalEENS0_5tupleIJPlS6_EEENSJ_IJSD_SD_EEES6_SK_JS6_EEE10hipError_tPvRmT3_T4_T5_T6_T7_T9_mT8_P12ihipStream_tbDpT10_ENKUlT_T0_E_clISt17integral_constantIbLb1EES16_EEDaS11_S12_EUlS11_E_NS1_11comp_targetILNS1_3genE3ELNS1_11target_archE908ELNS1_3gpuE7ELNS1_3repE0EEENS1_30default_config_static_selectorELNS0_4arch9wavefront6targetE0EEEvT1_
	.p2align	8
	.type	_ZN7rocprim17ROCPRIM_400000_NS6detail17trampoline_kernelINS0_14default_configENS1_25partition_config_selectorILNS1_17partition_subalgoE5ElNS0_10empty_typeEbEEZZNS1_14partition_implILS5_5ELb0ES3_mN6hipcub16HIPCUB_304000_NS21CountingInputIteratorIllEEPS6_NSA_22TransformInputIteratorIb7NonZeroIaEPalEENS0_5tupleIJPlS6_EEENSJ_IJSD_SD_EEES6_SK_JS6_EEE10hipError_tPvRmT3_T4_T5_T6_T7_T9_mT8_P12ihipStream_tbDpT10_ENKUlT_T0_E_clISt17integral_constantIbLb1EES16_EEDaS11_S12_EUlS11_E_NS1_11comp_targetILNS1_3genE3ELNS1_11target_archE908ELNS1_3gpuE7ELNS1_3repE0EEENS1_30default_config_static_selectorELNS0_4arch9wavefront6targetE0EEEvT1_,@function
_ZN7rocprim17ROCPRIM_400000_NS6detail17trampoline_kernelINS0_14default_configENS1_25partition_config_selectorILNS1_17partition_subalgoE5ElNS0_10empty_typeEbEEZZNS1_14partition_implILS5_5ELb0ES3_mN6hipcub16HIPCUB_304000_NS21CountingInputIteratorIllEEPS6_NSA_22TransformInputIteratorIb7NonZeroIaEPalEENS0_5tupleIJPlS6_EEENSJ_IJSD_SD_EEES6_SK_JS6_EEE10hipError_tPvRmT3_T4_T5_T6_T7_T9_mT8_P12ihipStream_tbDpT10_ENKUlT_T0_E_clISt17integral_constantIbLb1EES16_EEDaS11_S12_EUlS11_E_NS1_11comp_targetILNS1_3genE3ELNS1_11target_archE908ELNS1_3gpuE7ELNS1_3repE0EEENS1_30default_config_static_selectorELNS0_4arch9wavefront6targetE0EEEvT1_: ; @_ZN7rocprim17ROCPRIM_400000_NS6detail17trampoline_kernelINS0_14default_configENS1_25partition_config_selectorILNS1_17partition_subalgoE5ElNS0_10empty_typeEbEEZZNS1_14partition_implILS5_5ELb0ES3_mN6hipcub16HIPCUB_304000_NS21CountingInputIteratorIllEEPS6_NSA_22TransformInputIteratorIb7NonZeroIaEPalEENS0_5tupleIJPlS6_EEENSJ_IJSD_SD_EEES6_SK_JS6_EEE10hipError_tPvRmT3_T4_T5_T6_T7_T9_mT8_P12ihipStream_tbDpT10_ENKUlT_T0_E_clISt17integral_constantIbLb1EES16_EEDaS11_S12_EUlS11_E_NS1_11comp_targetILNS1_3genE3ELNS1_11target_archE908ELNS1_3gpuE7ELNS1_3repE0EEENS1_30default_config_static_selectorELNS0_4arch9wavefront6targetE0EEEvT1_
; %bb.0:
	.section	.rodata,"a",@progbits
	.p2align	6, 0x0
	.amdhsa_kernel _ZN7rocprim17ROCPRIM_400000_NS6detail17trampoline_kernelINS0_14default_configENS1_25partition_config_selectorILNS1_17partition_subalgoE5ElNS0_10empty_typeEbEEZZNS1_14partition_implILS5_5ELb0ES3_mN6hipcub16HIPCUB_304000_NS21CountingInputIteratorIllEEPS6_NSA_22TransformInputIteratorIb7NonZeroIaEPalEENS0_5tupleIJPlS6_EEENSJ_IJSD_SD_EEES6_SK_JS6_EEE10hipError_tPvRmT3_T4_T5_T6_T7_T9_mT8_P12ihipStream_tbDpT10_ENKUlT_T0_E_clISt17integral_constantIbLb1EES16_EEDaS11_S12_EUlS11_E_NS1_11comp_targetILNS1_3genE3ELNS1_11target_archE908ELNS1_3gpuE7ELNS1_3repE0EEENS1_30default_config_static_selectorELNS0_4arch9wavefront6targetE0EEEvT1_
		.amdhsa_group_segment_fixed_size 0
		.amdhsa_private_segment_fixed_size 0
		.amdhsa_kernarg_size 136
		.amdhsa_user_sgpr_count 15
		.amdhsa_user_sgpr_dispatch_ptr 0
		.amdhsa_user_sgpr_queue_ptr 0
		.amdhsa_user_sgpr_kernarg_segment_ptr 1
		.amdhsa_user_sgpr_dispatch_id 0
		.amdhsa_user_sgpr_private_segment_size 0
		.amdhsa_wavefront_size32 1
		.amdhsa_uses_dynamic_stack 0
		.amdhsa_enable_private_segment 0
		.amdhsa_system_sgpr_workgroup_id_x 1
		.amdhsa_system_sgpr_workgroup_id_y 0
		.amdhsa_system_sgpr_workgroup_id_z 0
		.amdhsa_system_sgpr_workgroup_info 0
		.amdhsa_system_vgpr_workitem_id 0
		.amdhsa_next_free_vgpr 1
		.amdhsa_next_free_sgpr 1
		.amdhsa_reserve_vcc 0
		.amdhsa_float_round_mode_32 0
		.amdhsa_float_round_mode_16_64 0
		.amdhsa_float_denorm_mode_32 3
		.amdhsa_float_denorm_mode_16_64 3
		.amdhsa_dx10_clamp 1
		.amdhsa_ieee_mode 1
		.amdhsa_fp16_overflow 0
		.amdhsa_workgroup_processor_mode 1
		.amdhsa_memory_ordered 1
		.amdhsa_forward_progress 0
		.amdhsa_shared_vgpr_count 0
		.amdhsa_exception_fp_ieee_invalid_op 0
		.amdhsa_exception_fp_denorm_src 0
		.amdhsa_exception_fp_ieee_div_zero 0
		.amdhsa_exception_fp_ieee_overflow 0
		.amdhsa_exception_fp_ieee_underflow 0
		.amdhsa_exception_fp_ieee_inexact 0
		.amdhsa_exception_int_div_zero 0
	.end_amdhsa_kernel
	.section	.text._ZN7rocprim17ROCPRIM_400000_NS6detail17trampoline_kernelINS0_14default_configENS1_25partition_config_selectorILNS1_17partition_subalgoE5ElNS0_10empty_typeEbEEZZNS1_14partition_implILS5_5ELb0ES3_mN6hipcub16HIPCUB_304000_NS21CountingInputIteratorIllEEPS6_NSA_22TransformInputIteratorIb7NonZeroIaEPalEENS0_5tupleIJPlS6_EEENSJ_IJSD_SD_EEES6_SK_JS6_EEE10hipError_tPvRmT3_T4_T5_T6_T7_T9_mT8_P12ihipStream_tbDpT10_ENKUlT_T0_E_clISt17integral_constantIbLb1EES16_EEDaS11_S12_EUlS11_E_NS1_11comp_targetILNS1_3genE3ELNS1_11target_archE908ELNS1_3gpuE7ELNS1_3repE0EEENS1_30default_config_static_selectorELNS0_4arch9wavefront6targetE0EEEvT1_,"axG",@progbits,_ZN7rocprim17ROCPRIM_400000_NS6detail17trampoline_kernelINS0_14default_configENS1_25partition_config_selectorILNS1_17partition_subalgoE5ElNS0_10empty_typeEbEEZZNS1_14partition_implILS5_5ELb0ES3_mN6hipcub16HIPCUB_304000_NS21CountingInputIteratorIllEEPS6_NSA_22TransformInputIteratorIb7NonZeroIaEPalEENS0_5tupleIJPlS6_EEENSJ_IJSD_SD_EEES6_SK_JS6_EEE10hipError_tPvRmT3_T4_T5_T6_T7_T9_mT8_P12ihipStream_tbDpT10_ENKUlT_T0_E_clISt17integral_constantIbLb1EES16_EEDaS11_S12_EUlS11_E_NS1_11comp_targetILNS1_3genE3ELNS1_11target_archE908ELNS1_3gpuE7ELNS1_3repE0EEENS1_30default_config_static_selectorELNS0_4arch9wavefront6targetE0EEEvT1_,comdat
.Lfunc_end57:
	.size	_ZN7rocprim17ROCPRIM_400000_NS6detail17trampoline_kernelINS0_14default_configENS1_25partition_config_selectorILNS1_17partition_subalgoE5ElNS0_10empty_typeEbEEZZNS1_14partition_implILS5_5ELb0ES3_mN6hipcub16HIPCUB_304000_NS21CountingInputIteratorIllEEPS6_NSA_22TransformInputIteratorIb7NonZeroIaEPalEENS0_5tupleIJPlS6_EEENSJ_IJSD_SD_EEES6_SK_JS6_EEE10hipError_tPvRmT3_T4_T5_T6_T7_T9_mT8_P12ihipStream_tbDpT10_ENKUlT_T0_E_clISt17integral_constantIbLb1EES16_EEDaS11_S12_EUlS11_E_NS1_11comp_targetILNS1_3genE3ELNS1_11target_archE908ELNS1_3gpuE7ELNS1_3repE0EEENS1_30default_config_static_selectorELNS0_4arch9wavefront6targetE0EEEvT1_, .Lfunc_end57-_ZN7rocprim17ROCPRIM_400000_NS6detail17trampoline_kernelINS0_14default_configENS1_25partition_config_selectorILNS1_17partition_subalgoE5ElNS0_10empty_typeEbEEZZNS1_14partition_implILS5_5ELb0ES3_mN6hipcub16HIPCUB_304000_NS21CountingInputIteratorIllEEPS6_NSA_22TransformInputIteratorIb7NonZeroIaEPalEENS0_5tupleIJPlS6_EEENSJ_IJSD_SD_EEES6_SK_JS6_EEE10hipError_tPvRmT3_T4_T5_T6_T7_T9_mT8_P12ihipStream_tbDpT10_ENKUlT_T0_E_clISt17integral_constantIbLb1EES16_EEDaS11_S12_EUlS11_E_NS1_11comp_targetILNS1_3genE3ELNS1_11target_archE908ELNS1_3gpuE7ELNS1_3repE0EEENS1_30default_config_static_selectorELNS0_4arch9wavefront6targetE0EEEvT1_
                                        ; -- End function
	.section	.AMDGPU.csdata,"",@progbits
; Kernel info:
; codeLenInByte = 0
; NumSgprs: 0
; NumVgprs: 0
; ScratchSize: 0
; MemoryBound: 0
; FloatMode: 240
; IeeeMode: 1
; LDSByteSize: 0 bytes/workgroup (compile time only)
; SGPRBlocks: 0
; VGPRBlocks: 0
; NumSGPRsForWavesPerEU: 1
; NumVGPRsForWavesPerEU: 1
; Occupancy: 16
; WaveLimiterHint : 0
; COMPUTE_PGM_RSRC2:SCRATCH_EN: 0
; COMPUTE_PGM_RSRC2:USER_SGPR: 15
; COMPUTE_PGM_RSRC2:TRAP_HANDLER: 0
; COMPUTE_PGM_RSRC2:TGID_X_EN: 1
; COMPUTE_PGM_RSRC2:TGID_Y_EN: 0
; COMPUTE_PGM_RSRC2:TGID_Z_EN: 0
; COMPUTE_PGM_RSRC2:TIDIG_COMP_CNT: 0
	.section	.text._ZN7rocprim17ROCPRIM_400000_NS6detail17trampoline_kernelINS0_14default_configENS1_25partition_config_selectorILNS1_17partition_subalgoE5ElNS0_10empty_typeEbEEZZNS1_14partition_implILS5_5ELb0ES3_mN6hipcub16HIPCUB_304000_NS21CountingInputIteratorIllEEPS6_NSA_22TransformInputIteratorIb7NonZeroIaEPalEENS0_5tupleIJPlS6_EEENSJ_IJSD_SD_EEES6_SK_JS6_EEE10hipError_tPvRmT3_T4_T5_T6_T7_T9_mT8_P12ihipStream_tbDpT10_ENKUlT_T0_E_clISt17integral_constantIbLb1EES16_EEDaS11_S12_EUlS11_E_NS1_11comp_targetILNS1_3genE2ELNS1_11target_archE906ELNS1_3gpuE6ELNS1_3repE0EEENS1_30default_config_static_selectorELNS0_4arch9wavefront6targetE0EEEvT1_,"axG",@progbits,_ZN7rocprim17ROCPRIM_400000_NS6detail17trampoline_kernelINS0_14default_configENS1_25partition_config_selectorILNS1_17partition_subalgoE5ElNS0_10empty_typeEbEEZZNS1_14partition_implILS5_5ELb0ES3_mN6hipcub16HIPCUB_304000_NS21CountingInputIteratorIllEEPS6_NSA_22TransformInputIteratorIb7NonZeroIaEPalEENS0_5tupleIJPlS6_EEENSJ_IJSD_SD_EEES6_SK_JS6_EEE10hipError_tPvRmT3_T4_T5_T6_T7_T9_mT8_P12ihipStream_tbDpT10_ENKUlT_T0_E_clISt17integral_constantIbLb1EES16_EEDaS11_S12_EUlS11_E_NS1_11comp_targetILNS1_3genE2ELNS1_11target_archE906ELNS1_3gpuE6ELNS1_3repE0EEENS1_30default_config_static_selectorELNS0_4arch9wavefront6targetE0EEEvT1_,comdat
	.protected	_ZN7rocprim17ROCPRIM_400000_NS6detail17trampoline_kernelINS0_14default_configENS1_25partition_config_selectorILNS1_17partition_subalgoE5ElNS0_10empty_typeEbEEZZNS1_14partition_implILS5_5ELb0ES3_mN6hipcub16HIPCUB_304000_NS21CountingInputIteratorIllEEPS6_NSA_22TransformInputIteratorIb7NonZeroIaEPalEENS0_5tupleIJPlS6_EEENSJ_IJSD_SD_EEES6_SK_JS6_EEE10hipError_tPvRmT3_T4_T5_T6_T7_T9_mT8_P12ihipStream_tbDpT10_ENKUlT_T0_E_clISt17integral_constantIbLb1EES16_EEDaS11_S12_EUlS11_E_NS1_11comp_targetILNS1_3genE2ELNS1_11target_archE906ELNS1_3gpuE6ELNS1_3repE0EEENS1_30default_config_static_selectorELNS0_4arch9wavefront6targetE0EEEvT1_ ; -- Begin function _ZN7rocprim17ROCPRIM_400000_NS6detail17trampoline_kernelINS0_14default_configENS1_25partition_config_selectorILNS1_17partition_subalgoE5ElNS0_10empty_typeEbEEZZNS1_14partition_implILS5_5ELb0ES3_mN6hipcub16HIPCUB_304000_NS21CountingInputIteratorIllEEPS6_NSA_22TransformInputIteratorIb7NonZeroIaEPalEENS0_5tupleIJPlS6_EEENSJ_IJSD_SD_EEES6_SK_JS6_EEE10hipError_tPvRmT3_T4_T5_T6_T7_T9_mT8_P12ihipStream_tbDpT10_ENKUlT_T0_E_clISt17integral_constantIbLb1EES16_EEDaS11_S12_EUlS11_E_NS1_11comp_targetILNS1_3genE2ELNS1_11target_archE906ELNS1_3gpuE6ELNS1_3repE0EEENS1_30default_config_static_selectorELNS0_4arch9wavefront6targetE0EEEvT1_
	.globl	_ZN7rocprim17ROCPRIM_400000_NS6detail17trampoline_kernelINS0_14default_configENS1_25partition_config_selectorILNS1_17partition_subalgoE5ElNS0_10empty_typeEbEEZZNS1_14partition_implILS5_5ELb0ES3_mN6hipcub16HIPCUB_304000_NS21CountingInputIteratorIllEEPS6_NSA_22TransformInputIteratorIb7NonZeroIaEPalEENS0_5tupleIJPlS6_EEENSJ_IJSD_SD_EEES6_SK_JS6_EEE10hipError_tPvRmT3_T4_T5_T6_T7_T9_mT8_P12ihipStream_tbDpT10_ENKUlT_T0_E_clISt17integral_constantIbLb1EES16_EEDaS11_S12_EUlS11_E_NS1_11comp_targetILNS1_3genE2ELNS1_11target_archE906ELNS1_3gpuE6ELNS1_3repE0EEENS1_30default_config_static_selectorELNS0_4arch9wavefront6targetE0EEEvT1_
	.p2align	8
	.type	_ZN7rocprim17ROCPRIM_400000_NS6detail17trampoline_kernelINS0_14default_configENS1_25partition_config_selectorILNS1_17partition_subalgoE5ElNS0_10empty_typeEbEEZZNS1_14partition_implILS5_5ELb0ES3_mN6hipcub16HIPCUB_304000_NS21CountingInputIteratorIllEEPS6_NSA_22TransformInputIteratorIb7NonZeroIaEPalEENS0_5tupleIJPlS6_EEENSJ_IJSD_SD_EEES6_SK_JS6_EEE10hipError_tPvRmT3_T4_T5_T6_T7_T9_mT8_P12ihipStream_tbDpT10_ENKUlT_T0_E_clISt17integral_constantIbLb1EES16_EEDaS11_S12_EUlS11_E_NS1_11comp_targetILNS1_3genE2ELNS1_11target_archE906ELNS1_3gpuE6ELNS1_3repE0EEENS1_30default_config_static_selectorELNS0_4arch9wavefront6targetE0EEEvT1_,@function
_ZN7rocprim17ROCPRIM_400000_NS6detail17trampoline_kernelINS0_14default_configENS1_25partition_config_selectorILNS1_17partition_subalgoE5ElNS0_10empty_typeEbEEZZNS1_14partition_implILS5_5ELb0ES3_mN6hipcub16HIPCUB_304000_NS21CountingInputIteratorIllEEPS6_NSA_22TransformInputIteratorIb7NonZeroIaEPalEENS0_5tupleIJPlS6_EEENSJ_IJSD_SD_EEES6_SK_JS6_EEE10hipError_tPvRmT3_T4_T5_T6_T7_T9_mT8_P12ihipStream_tbDpT10_ENKUlT_T0_E_clISt17integral_constantIbLb1EES16_EEDaS11_S12_EUlS11_E_NS1_11comp_targetILNS1_3genE2ELNS1_11target_archE906ELNS1_3gpuE6ELNS1_3repE0EEENS1_30default_config_static_selectorELNS0_4arch9wavefront6targetE0EEEvT1_: ; @_ZN7rocprim17ROCPRIM_400000_NS6detail17trampoline_kernelINS0_14default_configENS1_25partition_config_selectorILNS1_17partition_subalgoE5ElNS0_10empty_typeEbEEZZNS1_14partition_implILS5_5ELb0ES3_mN6hipcub16HIPCUB_304000_NS21CountingInputIteratorIllEEPS6_NSA_22TransformInputIteratorIb7NonZeroIaEPalEENS0_5tupleIJPlS6_EEENSJ_IJSD_SD_EEES6_SK_JS6_EEE10hipError_tPvRmT3_T4_T5_T6_T7_T9_mT8_P12ihipStream_tbDpT10_ENKUlT_T0_E_clISt17integral_constantIbLb1EES16_EEDaS11_S12_EUlS11_E_NS1_11comp_targetILNS1_3genE2ELNS1_11target_archE906ELNS1_3gpuE6ELNS1_3repE0EEENS1_30default_config_static_selectorELNS0_4arch9wavefront6targetE0EEEvT1_
; %bb.0:
	.section	.rodata,"a",@progbits
	.p2align	6, 0x0
	.amdhsa_kernel _ZN7rocprim17ROCPRIM_400000_NS6detail17trampoline_kernelINS0_14default_configENS1_25partition_config_selectorILNS1_17partition_subalgoE5ElNS0_10empty_typeEbEEZZNS1_14partition_implILS5_5ELb0ES3_mN6hipcub16HIPCUB_304000_NS21CountingInputIteratorIllEEPS6_NSA_22TransformInputIteratorIb7NonZeroIaEPalEENS0_5tupleIJPlS6_EEENSJ_IJSD_SD_EEES6_SK_JS6_EEE10hipError_tPvRmT3_T4_T5_T6_T7_T9_mT8_P12ihipStream_tbDpT10_ENKUlT_T0_E_clISt17integral_constantIbLb1EES16_EEDaS11_S12_EUlS11_E_NS1_11comp_targetILNS1_3genE2ELNS1_11target_archE906ELNS1_3gpuE6ELNS1_3repE0EEENS1_30default_config_static_selectorELNS0_4arch9wavefront6targetE0EEEvT1_
		.amdhsa_group_segment_fixed_size 0
		.amdhsa_private_segment_fixed_size 0
		.amdhsa_kernarg_size 136
		.amdhsa_user_sgpr_count 15
		.amdhsa_user_sgpr_dispatch_ptr 0
		.amdhsa_user_sgpr_queue_ptr 0
		.amdhsa_user_sgpr_kernarg_segment_ptr 1
		.amdhsa_user_sgpr_dispatch_id 0
		.amdhsa_user_sgpr_private_segment_size 0
		.amdhsa_wavefront_size32 1
		.amdhsa_uses_dynamic_stack 0
		.amdhsa_enable_private_segment 0
		.amdhsa_system_sgpr_workgroup_id_x 1
		.amdhsa_system_sgpr_workgroup_id_y 0
		.amdhsa_system_sgpr_workgroup_id_z 0
		.amdhsa_system_sgpr_workgroup_info 0
		.amdhsa_system_vgpr_workitem_id 0
		.amdhsa_next_free_vgpr 1
		.amdhsa_next_free_sgpr 1
		.amdhsa_reserve_vcc 0
		.amdhsa_float_round_mode_32 0
		.amdhsa_float_round_mode_16_64 0
		.amdhsa_float_denorm_mode_32 3
		.amdhsa_float_denorm_mode_16_64 3
		.amdhsa_dx10_clamp 1
		.amdhsa_ieee_mode 1
		.amdhsa_fp16_overflow 0
		.amdhsa_workgroup_processor_mode 1
		.amdhsa_memory_ordered 1
		.amdhsa_forward_progress 0
		.amdhsa_shared_vgpr_count 0
		.amdhsa_exception_fp_ieee_invalid_op 0
		.amdhsa_exception_fp_denorm_src 0
		.amdhsa_exception_fp_ieee_div_zero 0
		.amdhsa_exception_fp_ieee_overflow 0
		.amdhsa_exception_fp_ieee_underflow 0
		.amdhsa_exception_fp_ieee_inexact 0
		.amdhsa_exception_int_div_zero 0
	.end_amdhsa_kernel
	.section	.text._ZN7rocprim17ROCPRIM_400000_NS6detail17trampoline_kernelINS0_14default_configENS1_25partition_config_selectorILNS1_17partition_subalgoE5ElNS0_10empty_typeEbEEZZNS1_14partition_implILS5_5ELb0ES3_mN6hipcub16HIPCUB_304000_NS21CountingInputIteratorIllEEPS6_NSA_22TransformInputIteratorIb7NonZeroIaEPalEENS0_5tupleIJPlS6_EEENSJ_IJSD_SD_EEES6_SK_JS6_EEE10hipError_tPvRmT3_T4_T5_T6_T7_T9_mT8_P12ihipStream_tbDpT10_ENKUlT_T0_E_clISt17integral_constantIbLb1EES16_EEDaS11_S12_EUlS11_E_NS1_11comp_targetILNS1_3genE2ELNS1_11target_archE906ELNS1_3gpuE6ELNS1_3repE0EEENS1_30default_config_static_selectorELNS0_4arch9wavefront6targetE0EEEvT1_,"axG",@progbits,_ZN7rocprim17ROCPRIM_400000_NS6detail17trampoline_kernelINS0_14default_configENS1_25partition_config_selectorILNS1_17partition_subalgoE5ElNS0_10empty_typeEbEEZZNS1_14partition_implILS5_5ELb0ES3_mN6hipcub16HIPCUB_304000_NS21CountingInputIteratorIllEEPS6_NSA_22TransformInputIteratorIb7NonZeroIaEPalEENS0_5tupleIJPlS6_EEENSJ_IJSD_SD_EEES6_SK_JS6_EEE10hipError_tPvRmT3_T4_T5_T6_T7_T9_mT8_P12ihipStream_tbDpT10_ENKUlT_T0_E_clISt17integral_constantIbLb1EES16_EEDaS11_S12_EUlS11_E_NS1_11comp_targetILNS1_3genE2ELNS1_11target_archE906ELNS1_3gpuE6ELNS1_3repE0EEENS1_30default_config_static_selectorELNS0_4arch9wavefront6targetE0EEEvT1_,comdat
.Lfunc_end58:
	.size	_ZN7rocprim17ROCPRIM_400000_NS6detail17trampoline_kernelINS0_14default_configENS1_25partition_config_selectorILNS1_17partition_subalgoE5ElNS0_10empty_typeEbEEZZNS1_14partition_implILS5_5ELb0ES3_mN6hipcub16HIPCUB_304000_NS21CountingInputIteratorIllEEPS6_NSA_22TransformInputIteratorIb7NonZeroIaEPalEENS0_5tupleIJPlS6_EEENSJ_IJSD_SD_EEES6_SK_JS6_EEE10hipError_tPvRmT3_T4_T5_T6_T7_T9_mT8_P12ihipStream_tbDpT10_ENKUlT_T0_E_clISt17integral_constantIbLb1EES16_EEDaS11_S12_EUlS11_E_NS1_11comp_targetILNS1_3genE2ELNS1_11target_archE906ELNS1_3gpuE6ELNS1_3repE0EEENS1_30default_config_static_selectorELNS0_4arch9wavefront6targetE0EEEvT1_, .Lfunc_end58-_ZN7rocprim17ROCPRIM_400000_NS6detail17trampoline_kernelINS0_14default_configENS1_25partition_config_selectorILNS1_17partition_subalgoE5ElNS0_10empty_typeEbEEZZNS1_14partition_implILS5_5ELb0ES3_mN6hipcub16HIPCUB_304000_NS21CountingInputIteratorIllEEPS6_NSA_22TransformInputIteratorIb7NonZeroIaEPalEENS0_5tupleIJPlS6_EEENSJ_IJSD_SD_EEES6_SK_JS6_EEE10hipError_tPvRmT3_T4_T5_T6_T7_T9_mT8_P12ihipStream_tbDpT10_ENKUlT_T0_E_clISt17integral_constantIbLb1EES16_EEDaS11_S12_EUlS11_E_NS1_11comp_targetILNS1_3genE2ELNS1_11target_archE906ELNS1_3gpuE6ELNS1_3repE0EEENS1_30default_config_static_selectorELNS0_4arch9wavefront6targetE0EEEvT1_
                                        ; -- End function
	.section	.AMDGPU.csdata,"",@progbits
; Kernel info:
; codeLenInByte = 0
; NumSgprs: 0
; NumVgprs: 0
; ScratchSize: 0
; MemoryBound: 0
; FloatMode: 240
; IeeeMode: 1
; LDSByteSize: 0 bytes/workgroup (compile time only)
; SGPRBlocks: 0
; VGPRBlocks: 0
; NumSGPRsForWavesPerEU: 1
; NumVGPRsForWavesPerEU: 1
; Occupancy: 16
; WaveLimiterHint : 0
; COMPUTE_PGM_RSRC2:SCRATCH_EN: 0
; COMPUTE_PGM_RSRC2:USER_SGPR: 15
; COMPUTE_PGM_RSRC2:TRAP_HANDLER: 0
; COMPUTE_PGM_RSRC2:TGID_X_EN: 1
; COMPUTE_PGM_RSRC2:TGID_Y_EN: 0
; COMPUTE_PGM_RSRC2:TGID_Z_EN: 0
; COMPUTE_PGM_RSRC2:TIDIG_COMP_CNT: 0
	.section	.text._ZN7rocprim17ROCPRIM_400000_NS6detail17trampoline_kernelINS0_14default_configENS1_25partition_config_selectorILNS1_17partition_subalgoE5ElNS0_10empty_typeEbEEZZNS1_14partition_implILS5_5ELb0ES3_mN6hipcub16HIPCUB_304000_NS21CountingInputIteratorIllEEPS6_NSA_22TransformInputIteratorIb7NonZeroIaEPalEENS0_5tupleIJPlS6_EEENSJ_IJSD_SD_EEES6_SK_JS6_EEE10hipError_tPvRmT3_T4_T5_T6_T7_T9_mT8_P12ihipStream_tbDpT10_ENKUlT_T0_E_clISt17integral_constantIbLb1EES16_EEDaS11_S12_EUlS11_E_NS1_11comp_targetILNS1_3genE10ELNS1_11target_archE1200ELNS1_3gpuE4ELNS1_3repE0EEENS1_30default_config_static_selectorELNS0_4arch9wavefront6targetE0EEEvT1_,"axG",@progbits,_ZN7rocprim17ROCPRIM_400000_NS6detail17trampoline_kernelINS0_14default_configENS1_25partition_config_selectorILNS1_17partition_subalgoE5ElNS0_10empty_typeEbEEZZNS1_14partition_implILS5_5ELb0ES3_mN6hipcub16HIPCUB_304000_NS21CountingInputIteratorIllEEPS6_NSA_22TransformInputIteratorIb7NonZeroIaEPalEENS0_5tupleIJPlS6_EEENSJ_IJSD_SD_EEES6_SK_JS6_EEE10hipError_tPvRmT3_T4_T5_T6_T7_T9_mT8_P12ihipStream_tbDpT10_ENKUlT_T0_E_clISt17integral_constantIbLb1EES16_EEDaS11_S12_EUlS11_E_NS1_11comp_targetILNS1_3genE10ELNS1_11target_archE1200ELNS1_3gpuE4ELNS1_3repE0EEENS1_30default_config_static_selectorELNS0_4arch9wavefront6targetE0EEEvT1_,comdat
	.protected	_ZN7rocprim17ROCPRIM_400000_NS6detail17trampoline_kernelINS0_14default_configENS1_25partition_config_selectorILNS1_17partition_subalgoE5ElNS0_10empty_typeEbEEZZNS1_14partition_implILS5_5ELb0ES3_mN6hipcub16HIPCUB_304000_NS21CountingInputIteratorIllEEPS6_NSA_22TransformInputIteratorIb7NonZeroIaEPalEENS0_5tupleIJPlS6_EEENSJ_IJSD_SD_EEES6_SK_JS6_EEE10hipError_tPvRmT3_T4_T5_T6_T7_T9_mT8_P12ihipStream_tbDpT10_ENKUlT_T0_E_clISt17integral_constantIbLb1EES16_EEDaS11_S12_EUlS11_E_NS1_11comp_targetILNS1_3genE10ELNS1_11target_archE1200ELNS1_3gpuE4ELNS1_3repE0EEENS1_30default_config_static_selectorELNS0_4arch9wavefront6targetE0EEEvT1_ ; -- Begin function _ZN7rocprim17ROCPRIM_400000_NS6detail17trampoline_kernelINS0_14default_configENS1_25partition_config_selectorILNS1_17partition_subalgoE5ElNS0_10empty_typeEbEEZZNS1_14partition_implILS5_5ELb0ES3_mN6hipcub16HIPCUB_304000_NS21CountingInputIteratorIllEEPS6_NSA_22TransformInputIteratorIb7NonZeroIaEPalEENS0_5tupleIJPlS6_EEENSJ_IJSD_SD_EEES6_SK_JS6_EEE10hipError_tPvRmT3_T4_T5_T6_T7_T9_mT8_P12ihipStream_tbDpT10_ENKUlT_T0_E_clISt17integral_constantIbLb1EES16_EEDaS11_S12_EUlS11_E_NS1_11comp_targetILNS1_3genE10ELNS1_11target_archE1200ELNS1_3gpuE4ELNS1_3repE0EEENS1_30default_config_static_selectorELNS0_4arch9wavefront6targetE0EEEvT1_
	.globl	_ZN7rocprim17ROCPRIM_400000_NS6detail17trampoline_kernelINS0_14default_configENS1_25partition_config_selectorILNS1_17partition_subalgoE5ElNS0_10empty_typeEbEEZZNS1_14partition_implILS5_5ELb0ES3_mN6hipcub16HIPCUB_304000_NS21CountingInputIteratorIllEEPS6_NSA_22TransformInputIteratorIb7NonZeroIaEPalEENS0_5tupleIJPlS6_EEENSJ_IJSD_SD_EEES6_SK_JS6_EEE10hipError_tPvRmT3_T4_T5_T6_T7_T9_mT8_P12ihipStream_tbDpT10_ENKUlT_T0_E_clISt17integral_constantIbLb1EES16_EEDaS11_S12_EUlS11_E_NS1_11comp_targetILNS1_3genE10ELNS1_11target_archE1200ELNS1_3gpuE4ELNS1_3repE0EEENS1_30default_config_static_selectorELNS0_4arch9wavefront6targetE0EEEvT1_
	.p2align	8
	.type	_ZN7rocprim17ROCPRIM_400000_NS6detail17trampoline_kernelINS0_14default_configENS1_25partition_config_selectorILNS1_17partition_subalgoE5ElNS0_10empty_typeEbEEZZNS1_14partition_implILS5_5ELb0ES3_mN6hipcub16HIPCUB_304000_NS21CountingInputIteratorIllEEPS6_NSA_22TransformInputIteratorIb7NonZeroIaEPalEENS0_5tupleIJPlS6_EEENSJ_IJSD_SD_EEES6_SK_JS6_EEE10hipError_tPvRmT3_T4_T5_T6_T7_T9_mT8_P12ihipStream_tbDpT10_ENKUlT_T0_E_clISt17integral_constantIbLb1EES16_EEDaS11_S12_EUlS11_E_NS1_11comp_targetILNS1_3genE10ELNS1_11target_archE1200ELNS1_3gpuE4ELNS1_3repE0EEENS1_30default_config_static_selectorELNS0_4arch9wavefront6targetE0EEEvT1_,@function
_ZN7rocprim17ROCPRIM_400000_NS6detail17trampoline_kernelINS0_14default_configENS1_25partition_config_selectorILNS1_17partition_subalgoE5ElNS0_10empty_typeEbEEZZNS1_14partition_implILS5_5ELb0ES3_mN6hipcub16HIPCUB_304000_NS21CountingInputIteratorIllEEPS6_NSA_22TransformInputIteratorIb7NonZeroIaEPalEENS0_5tupleIJPlS6_EEENSJ_IJSD_SD_EEES6_SK_JS6_EEE10hipError_tPvRmT3_T4_T5_T6_T7_T9_mT8_P12ihipStream_tbDpT10_ENKUlT_T0_E_clISt17integral_constantIbLb1EES16_EEDaS11_S12_EUlS11_E_NS1_11comp_targetILNS1_3genE10ELNS1_11target_archE1200ELNS1_3gpuE4ELNS1_3repE0EEENS1_30default_config_static_selectorELNS0_4arch9wavefront6targetE0EEEvT1_: ; @_ZN7rocprim17ROCPRIM_400000_NS6detail17trampoline_kernelINS0_14default_configENS1_25partition_config_selectorILNS1_17partition_subalgoE5ElNS0_10empty_typeEbEEZZNS1_14partition_implILS5_5ELb0ES3_mN6hipcub16HIPCUB_304000_NS21CountingInputIteratorIllEEPS6_NSA_22TransformInputIteratorIb7NonZeroIaEPalEENS0_5tupleIJPlS6_EEENSJ_IJSD_SD_EEES6_SK_JS6_EEE10hipError_tPvRmT3_T4_T5_T6_T7_T9_mT8_P12ihipStream_tbDpT10_ENKUlT_T0_E_clISt17integral_constantIbLb1EES16_EEDaS11_S12_EUlS11_E_NS1_11comp_targetILNS1_3genE10ELNS1_11target_archE1200ELNS1_3gpuE4ELNS1_3repE0EEENS1_30default_config_static_selectorELNS0_4arch9wavefront6targetE0EEEvT1_
; %bb.0:
	.section	.rodata,"a",@progbits
	.p2align	6, 0x0
	.amdhsa_kernel _ZN7rocprim17ROCPRIM_400000_NS6detail17trampoline_kernelINS0_14default_configENS1_25partition_config_selectorILNS1_17partition_subalgoE5ElNS0_10empty_typeEbEEZZNS1_14partition_implILS5_5ELb0ES3_mN6hipcub16HIPCUB_304000_NS21CountingInputIteratorIllEEPS6_NSA_22TransformInputIteratorIb7NonZeroIaEPalEENS0_5tupleIJPlS6_EEENSJ_IJSD_SD_EEES6_SK_JS6_EEE10hipError_tPvRmT3_T4_T5_T6_T7_T9_mT8_P12ihipStream_tbDpT10_ENKUlT_T0_E_clISt17integral_constantIbLb1EES16_EEDaS11_S12_EUlS11_E_NS1_11comp_targetILNS1_3genE10ELNS1_11target_archE1200ELNS1_3gpuE4ELNS1_3repE0EEENS1_30default_config_static_selectorELNS0_4arch9wavefront6targetE0EEEvT1_
		.amdhsa_group_segment_fixed_size 0
		.amdhsa_private_segment_fixed_size 0
		.amdhsa_kernarg_size 136
		.amdhsa_user_sgpr_count 15
		.amdhsa_user_sgpr_dispatch_ptr 0
		.amdhsa_user_sgpr_queue_ptr 0
		.amdhsa_user_sgpr_kernarg_segment_ptr 1
		.amdhsa_user_sgpr_dispatch_id 0
		.amdhsa_user_sgpr_private_segment_size 0
		.amdhsa_wavefront_size32 1
		.amdhsa_uses_dynamic_stack 0
		.amdhsa_enable_private_segment 0
		.amdhsa_system_sgpr_workgroup_id_x 1
		.amdhsa_system_sgpr_workgroup_id_y 0
		.amdhsa_system_sgpr_workgroup_id_z 0
		.amdhsa_system_sgpr_workgroup_info 0
		.amdhsa_system_vgpr_workitem_id 0
		.amdhsa_next_free_vgpr 1
		.amdhsa_next_free_sgpr 1
		.amdhsa_reserve_vcc 0
		.amdhsa_float_round_mode_32 0
		.amdhsa_float_round_mode_16_64 0
		.amdhsa_float_denorm_mode_32 3
		.amdhsa_float_denorm_mode_16_64 3
		.amdhsa_dx10_clamp 1
		.amdhsa_ieee_mode 1
		.amdhsa_fp16_overflow 0
		.amdhsa_workgroup_processor_mode 1
		.amdhsa_memory_ordered 1
		.amdhsa_forward_progress 0
		.amdhsa_shared_vgpr_count 0
		.amdhsa_exception_fp_ieee_invalid_op 0
		.amdhsa_exception_fp_denorm_src 0
		.amdhsa_exception_fp_ieee_div_zero 0
		.amdhsa_exception_fp_ieee_overflow 0
		.amdhsa_exception_fp_ieee_underflow 0
		.amdhsa_exception_fp_ieee_inexact 0
		.amdhsa_exception_int_div_zero 0
	.end_amdhsa_kernel
	.section	.text._ZN7rocprim17ROCPRIM_400000_NS6detail17trampoline_kernelINS0_14default_configENS1_25partition_config_selectorILNS1_17partition_subalgoE5ElNS0_10empty_typeEbEEZZNS1_14partition_implILS5_5ELb0ES3_mN6hipcub16HIPCUB_304000_NS21CountingInputIteratorIllEEPS6_NSA_22TransformInputIteratorIb7NonZeroIaEPalEENS0_5tupleIJPlS6_EEENSJ_IJSD_SD_EEES6_SK_JS6_EEE10hipError_tPvRmT3_T4_T5_T6_T7_T9_mT8_P12ihipStream_tbDpT10_ENKUlT_T0_E_clISt17integral_constantIbLb1EES16_EEDaS11_S12_EUlS11_E_NS1_11comp_targetILNS1_3genE10ELNS1_11target_archE1200ELNS1_3gpuE4ELNS1_3repE0EEENS1_30default_config_static_selectorELNS0_4arch9wavefront6targetE0EEEvT1_,"axG",@progbits,_ZN7rocprim17ROCPRIM_400000_NS6detail17trampoline_kernelINS0_14default_configENS1_25partition_config_selectorILNS1_17partition_subalgoE5ElNS0_10empty_typeEbEEZZNS1_14partition_implILS5_5ELb0ES3_mN6hipcub16HIPCUB_304000_NS21CountingInputIteratorIllEEPS6_NSA_22TransformInputIteratorIb7NonZeroIaEPalEENS0_5tupleIJPlS6_EEENSJ_IJSD_SD_EEES6_SK_JS6_EEE10hipError_tPvRmT3_T4_T5_T6_T7_T9_mT8_P12ihipStream_tbDpT10_ENKUlT_T0_E_clISt17integral_constantIbLb1EES16_EEDaS11_S12_EUlS11_E_NS1_11comp_targetILNS1_3genE10ELNS1_11target_archE1200ELNS1_3gpuE4ELNS1_3repE0EEENS1_30default_config_static_selectorELNS0_4arch9wavefront6targetE0EEEvT1_,comdat
.Lfunc_end59:
	.size	_ZN7rocprim17ROCPRIM_400000_NS6detail17trampoline_kernelINS0_14default_configENS1_25partition_config_selectorILNS1_17partition_subalgoE5ElNS0_10empty_typeEbEEZZNS1_14partition_implILS5_5ELb0ES3_mN6hipcub16HIPCUB_304000_NS21CountingInputIteratorIllEEPS6_NSA_22TransformInputIteratorIb7NonZeroIaEPalEENS0_5tupleIJPlS6_EEENSJ_IJSD_SD_EEES6_SK_JS6_EEE10hipError_tPvRmT3_T4_T5_T6_T7_T9_mT8_P12ihipStream_tbDpT10_ENKUlT_T0_E_clISt17integral_constantIbLb1EES16_EEDaS11_S12_EUlS11_E_NS1_11comp_targetILNS1_3genE10ELNS1_11target_archE1200ELNS1_3gpuE4ELNS1_3repE0EEENS1_30default_config_static_selectorELNS0_4arch9wavefront6targetE0EEEvT1_, .Lfunc_end59-_ZN7rocprim17ROCPRIM_400000_NS6detail17trampoline_kernelINS0_14default_configENS1_25partition_config_selectorILNS1_17partition_subalgoE5ElNS0_10empty_typeEbEEZZNS1_14partition_implILS5_5ELb0ES3_mN6hipcub16HIPCUB_304000_NS21CountingInputIteratorIllEEPS6_NSA_22TransformInputIteratorIb7NonZeroIaEPalEENS0_5tupleIJPlS6_EEENSJ_IJSD_SD_EEES6_SK_JS6_EEE10hipError_tPvRmT3_T4_T5_T6_T7_T9_mT8_P12ihipStream_tbDpT10_ENKUlT_T0_E_clISt17integral_constantIbLb1EES16_EEDaS11_S12_EUlS11_E_NS1_11comp_targetILNS1_3genE10ELNS1_11target_archE1200ELNS1_3gpuE4ELNS1_3repE0EEENS1_30default_config_static_selectorELNS0_4arch9wavefront6targetE0EEEvT1_
                                        ; -- End function
	.section	.AMDGPU.csdata,"",@progbits
; Kernel info:
; codeLenInByte = 0
; NumSgprs: 0
; NumVgprs: 0
; ScratchSize: 0
; MemoryBound: 0
; FloatMode: 240
; IeeeMode: 1
; LDSByteSize: 0 bytes/workgroup (compile time only)
; SGPRBlocks: 0
; VGPRBlocks: 0
; NumSGPRsForWavesPerEU: 1
; NumVGPRsForWavesPerEU: 1
; Occupancy: 16
; WaveLimiterHint : 0
; COMPUTE_PGM_RSRC2:SCRATCH_EN: 0
; COMPUTE_PGM_RSRC2:USER_SGPR: 15
; COMPUTE_PGM_RSRC2:TRAP_HANDLER: 0
; COMPUTE_PGM_RSRC2:TGID_X_EN: 1
; COMPUTE_PGM_RSRC2:TGID_Y_EN: 0
; COMPUTE_PGM_RSRC2:TGID_Z_EN: 0
; COMPUTE_PGM_RSRC2:TIDIG_COMP_CNT: 0
	.section	.text._ZN7rocprim17ROCPRIM_400000_NS6detail17trampoline_kernelINS0_14default_configENS1_25partition_config_selectorILNS1_17partition_subalgoE5ElNS0_10empty_typeEbEEZZNS1_14partition_implILS5_5ELb0ES3_mN6hipcub16HIPCUB_304000_NS21CountingInputIteratorIllEEPS6_NSA_22TransformInputIteratorIb7NonZeroIaEPalEENS0_5tupleIJPlS6_EEENSJ_IJSD_SD_EEES6_SK_JS6_EEE10hipError_tPvRmT3_T4_T5_T6_T7_T9_mT8_P12ihipStream_tbDpT10_ENKUlT_T0_E_clISt17integral_constantIbLb1EES16_EEDaS11_S12_EUlS11_E_NS1_11comp_targetILNS1_3genE9ELNS1_11target_archE1100ELNS1_3gpuE3ELNS1_3repE0EEENS1_30default_config_static_selectorELNS0_4arch9wavefront6targetE0EEEvT1_,"axG",@progbits,_ZN7rocprim17ROCPRIM_400000_NS6detail17trampoline_kernelINS0_14default_configENS1_25partition_config_selectorILNS1_17partition_subalgoE5ElNS0_10empty_typeEbEEZZNS1_14partition_implILS5_5ELb0ES3_mN6hipcub16HIPCUB_304000_NS21CountingInputIteratorIllEEPS6_NSA_22TransformInputIteratorIb7NonZeroIaEPalEENS0_5tupleIJPlS6_EEENSJ_IJSD_SD_EEES6_SK_JS6_EEE10hipError_tPvRmT3_T4_T5_T6_T7_T9_mT8_P12ihipStream_tbDpT10_ENKUlT_T0_E_clISt17integral_constantIbLb1EES16_EEDaS11_S12_EUlS11_E_NS1_11comp_targetILNS1_3genE9ELNS1_11target_archE1100ELNS1_3gpuE3ELNS1_3repE0EEENS1_30default_config_static_selectorELNS0_4arch9wavefront6targetE0EEEvT1_,comdat
	.protected	_ZN7rocprim17ROCPRIM_400000_NS6detail17trampoline_kernelINS0_14default_configENS1_25partition_config_selectorILNS1_17partition_subalgoE5ElNS0_10empty_typeEbEEZZNS1_14partition_implILS5_5ELb0ES3_mN6hipcub16HIPCUB_304000_NS21CountingInputIteratorIllEEPS6_NSA_22TransformInputIteratorIb7NonZeroIaEPalEENS0_5tupleIJPlS6_EEENSJ_IJSD_SD_EEES6_SK_JS6_EEE10hipError_tPvRmT3_T4_T5_T6_T7_T9_mT8_P12ihipStream_tbDpT10_ENKUlT_T0_E_clISt17integral_constantIbLb1EES16_EEDaS11_S12_EUlS11_E_NS1_11comp_targetILNS1_3genE9ELNS1_11target_archE1100ELNS1_3gpuE3ELNS1_3repE0EEENS1_30default_config_static_selectorELNS0_4arch9wavefront6targetE0EEEvT1_ ; -- Begin function _ZN7rocprim17ROCPRIM_400000_NS6detail17trampoline_kernelINS0_14default_configENS1_25partition_config_selectorILNS1_17partition_subalgoE5ElNS0_10empty_typeEbEEZZNS1_14partition_implILS5_5ELb0ES3_mN6hipcub16HIPCUB_304000_NS21CountingInputIteratorIllEEPS6_NSA_22TransformInputIteratorIb7NonZeroIaEPalEENS0_5tupleIJPlS6_EEENSJ_IJSD_SD_EEES6_SK_JS6_EEE10hipError_tPvRmT3_T4_T5_T6_T7_T9_mT8_P12ihipStream_tbDpT10_ENKUlT_T0_E_clISt17integral_constantIbLb1EES16_EEDaS11_S12_EUlS11_E_NS1_11comp_targetILNS1_3genE9ELNS1_11target_archE1100ELNS1_3gpuE3ELNS1_3repE0EEENS1_30default_config_static_selectorELNS0_4arch9wavefront6targetE0EEEvT1_
	.globl	_ZN7rocprim17ROCPRIM_400000_NS6detail17trampoline_kernelINS0_14default_configENS1_25partition_config_selectorILNS1_17partition_subalgoE5ElNS0_10empty_typeEbEEZZNS1_14partition_implILS5_5ELb0ES3_mN6hipcub16HIPCUB_304000_NS21CountingInputIteratorIllEEPS6_NSA_22TransformInputIteratorIb7NonZeroIaEPalEENS0_5tupleIJPlS6_EEENSJ_IJSD_SD_EEES6_SK_JS6_EEE10hipError_tPvRmT3_T4_T5_T6_T7_T9_mT8_P12ihipStream_tbDpT10_ENKUlT_T0_E_clISt17integral_constantIbLb1EES16_EEDaS11_S12_EUlS11_E_NS1_11comp_targetILNS1_3genE9ELNS1_11target_archE1100ELNS1_3gpuE3ELNS1_3repE0EEENS1_30default_config_static_selectorELNS0_4arch9wavefront6targetE0EEEvT1_
	.p2align	8
	.type	_ZN7rocprim17ROCPRIM_400000_NS6detail17trampoline_kernelINS0_14default_configENS1_25partition_config_selectorILNS1_17partition_subalgoE5ElNS0_10empty_typeEbEEZZNS1_14partition_implILS5_5ELb0ES3_mN6hipcub16HIPCUB_304000_NS21CountingInputIteratorIllEEPS6_NSA_22TransformInputIteratorIb7NonZeroIaEPalEENS0_5tupleIJPlS6_EEENSJ_IJSD_SD_EEES6_SK_JS6_EEE10hipError_tPvRmT3_T4_T5_T6_T7_T9_mT8_P12ihipStream_tbDpT10_ENKUlT_T0_E_clISt17integral_constantIbLb1EES16_EEDaS11_S12_EUlS11_E_NS1_11comp_targetILNS1_3genE9ELNS1_11target_archE1100ELNS1_3gpuE3ELNS1_3repE0EEENS1_30default_config_static_selectorELNS0_4arch9wavefront6targetE0EEEvT1_,@function
_ZN7rocprim17ROCPRIM_400000_NS6detail17trampoline_kernelINS0_14default_configENS1_25partition_config_selectorILNS1_17partition_subalgoE5ElNS0_10empty_typeEbEEZZNS1_14partition_implILS5_5ELb0ES3_mN6hipcub16HIPCUB_304000_NS21CountingInputIteratorIllEEPS6_NSA_22TransformInputIteratorIb7NonZeroIaEPalEENS0_5tupleIJPlS6_EEENSJ_IJSD_SD_EEES6_SK_JS6_EEE10hipError_tPvRmT3_T4_T5_T6_T7_T9_mT8_P12ihipStream_tbDpT10_ENKUlT_T0_E_clISt17integral_constantIbLb1EES16_EEDaS11_S12_EUlS11_E_NS1_11comp_targetILNS1_3genE9ELNS1_11target_archE1100ELNS1_3gpuE3ELNS1_3repE0EEENS1_30default_config_static_selectorELNS0_4arch9wavefront6targetE0EEEvT1_: ; @_ZN7rocprim17ROCPRIM_400000_NS6detail17trampoline_kernelINS0_14default_configENS1_25partition_config_selectorILNS1_17partition_subalgoE5ElNS0_10empty_typeEbEEZZNS1_14partition_implILS5_5ELb0ES3_mN6hipcub16HIPCUB_304000_NS21CountingInputIteratorIllEEPS6_NSA_22TransformInputIteratorIb7NonZeroIaEPalEENS0_5tupleIJPlS6_EEENSJ_IJSD_SD_EEES6_SK_JS6_EEE10hipError_tPvRmT3_T4_T5_T6_T7_T9_mT8_P12ihipStream_tbDpT10_ENKUlT_T0_E_clISt17integral_constantIbLb1EES16_EEDaS11_S12_EUlS11_E_NS1_11comp_targetILNS1_3genE9ELNS1_11target_archE1100ELNS1_3gpuE3ELNS1_3repE0EEENS1_30default_config_static_selectorELNS0_4arch9wavefront6targetE0EEEvT1_
; %bb.0:
	s_clause 0x4
	s_load_b64 s[18:19], s[0:1], 0x20
	s_load_b64 s[12:13], s[0:1], 0x30
	;; [unrolled: 1-line block ×3, first 2 shown]
	s_load_b128 s[4:7], s[0:1], 0x48
	s_load_b64 s[14:15], s[0:1], 0x68
	v_cmp_eq_u32_e64 s2, 0, v0
	s_delay_alu instid0(VALU_DEP_1)
	s_and_saveexec_b32 s3, s2
	s_cbranch_execz .LBB60_4
; %bb.1:
	s_mov_b32 s9, exec_lo
	s_mov_b32 s8, exec_lo
	v_mbcnt_lo_u32_b32 v1, s9, 0
                                        ; implicit-def: $vgpr2
	s_delay_alu instid0(VALU_DEP_1)
	v_cmpx_eq_u32_e32 0, v1
	s_cbranch_execz .LBB60_3
; %bb.2:
	s_load_b64 s[10:11], s[0:1], 0x78
	s_bcnt1_i32_b32 s9, s9
	s_delay_alu instid0(SALU_CYCLE_1)
	v_dual_mov_b32 v2, 0 :: v_dual_mov_b32 v3, s9
	s_waitcnt lgkmcnt(0)
	global_atomic_add_u32 v2, v2, v3, s[10:11] glc
.LBB60_3:
	s_or_b32 exec_lo, exec_lo, s8
	s_waitcnt vmcnt(0)
	v_readfirstlane_b32 s8, v2
	s_delay_alu instid0(VALU_DEP_1)
	v_dual_mov_b32 v2, 0 :: v_dual_add_nc_u32 v1, s8, v1
	ds_store_b32 v2, v1
.LBB60_4:
	s_or_b32 exec_lo, exec_lo, s3
	v_mov_b32_e32 v1, 0
	s_clause 0x1
	s_load_b128 s[8:11], s[0:1], 0x8
	s_load_b32 s0, s[0:1], 0x70
	s_waitcnt lgkmcnt(0)
	s_barrier
	buffer_gl0_inv
	ds_load_b32 v3, v1
	s_waitcnt lgkmcnt(0)
	s_barrier
	buffer_gl0_inv
	global_load_b64 v[1:2], v1, s[6:7]
	s_add_u32 s1, s10, s8
	s_mul_i32 s20, s0, 0x300
	s_addc_u32 s21, s11, s9
	s_add_i32 s0, s0, -1
	s_add_u32 s6, s10, s20
	v_readfirstlane_b32 s9, v3
	s_addc_u32 s7, s11, 0
	s_delay_alu instid0(SALU_CYCLE_1) | instskip(SKIP_1) | instid1(VALU_DEP_2)
	v_cmp_ge_u64_e64 s6, s[6:7], s[16:17]
	s_mov_b32 s17, -1
	s_cmp_eq_u32 s9, s0
	s_mul_i32 s0, s9, 0x300
	s_cselect_b32 s3, -1, 0
	s_delay_alu instid0(VALU_DEP_1) | instid1(SALU_CYCLE_1)
	s_and_b32 s6, s6, s3
	s_delay_alu instid0(SALU_CYCLE_1) | instskip(NEXT) | instid1(SALU_CYCLE_1)
	s_xor_b32 s8, s6, -1
	s_and_b32 vcc_lo, exec_lo, s8
	s_waitcnt vmcnt(0)
	v_readfirstlane_b32 s6, v1
	v_readfirstlane_b32 s7, v2
	s_cbranch_vccz .LBB60_6
; %bb.5:
	s_add_u32 s17, s0, s1
	s_addc_u32 s22, 0, s21
	v_add_co_u32 v1, s17, s17, v0
	s_delay_alu instid0(VALU_DEP_1) | instskip(SKIP_1) | instid1(VALU_DEP_3)
	v_add_co_ci_u32_e64 v2, null, s22, 0, s17
	v_lshlrev_b32_e32 v13, 3, v0
	v_add_co_u32 v3, vcc_lo, 0x80, v1
	s_delay_alu instid0(VALU_DEP_3)
	v_add_co_ci_u32_e32 v4, vcc_lo, 0, v2, vcc_lo
	v_add_co_u32 v5, vcc_lo, 0x100, v1
	v_add_co_ci_u32_e32 v6, vcc_lo, 0, v2, vcc_lo
	v_add_co_u32 v7, vcc_lo, 0x180, v1
	;; [unrolled: 2-line block ×4, first 2 shown]
	v_add_co_ci_u32_e32 v12, vcc_lo, 0, v2, vcc_lo
	ds_store_2addr_stride64_b64 v13, v[1:2], v[3:4] offset1:2
	ds_store_2addr_stride64_b64 v13, v[5:6], v[7:8] offset0:4 offset1:6
	ds_store_2addr_stride64_b64 v13, v[9:10], v[11:12] offset0:8 offset1:10
	s_waitcnt lgkmcnt(0)
	s_mov_b32 s17, 0
	s_barrier
.LBB60_6:
	v_or_b32_e32 v17, 0x100, v0
	v_or_b32_e32 v16, 0x180, v0
	;; [unrolled: 1-line block ×4, first 2 shown]
	s_and_not1_b32 vcc_lo, exec_lo, s17
	s_cbranch_vccnz .LBB60_8
; %bb.7:
	v_or_b32_e32 v3, 0x80, v0
	s_add_u32 s1, s1, s0
	s_addc_u32 s17, s21, 0
	v_add_co_u32 v1, s21, s1, v0
	s_delay_alu instid0(VALU_DEP_1) | instskip(SKIP_1) | instid1(VALU_DEP_1)
	v_add_co_ci_u32_e64 v2, null, s17, 0, s21
	v_add_co_u32 v3, s21, s1, v3
	v_add_co_ci_u32_e64 v4, null, s17, 0, s21
	v_add_co_u32 v5, s21, s1, v17
	s_delay_alu instid0(VALU_DEP_1) | instskip(SKIP_1) | instid1(VALU_DEP_1)
	v_add_co_ci_u32_e64 v6, null, s17, 0, s21
	v_add_co_u32 v7, s21, s1, v16
	v_add_co_ci_u32_e64 v8, null, s17, 0, s21
	v_add_co_u32 v9, s21, s1, v14
	v_lshlrev_b32_e32 v15, 3, v0
	v_add_co_u32 v11, s1, s1, v13
	v_add_co_ci_u32_e64 v10, null, s17, 0, s21
	v_add_co_ci_u32_e64 v12, null, s17, 0, s1
	ds_store_2addr_stride64_b64 v15, v[1:2], v[3:4] offset1:2
	ds_store_2addr_stride64_b64 v15, v[5:6], v[7:8] offset0:4 offset1:6
	ds_store_2addr_stride64_b64 v15, v[9:10], v[11:12] offset0:8 offset1:10
	s_waitcnt lgkmcnt(0)
	s_barrier
.LBB60_8:
	v_mul_u32_u24_e32 v1, 6, v0
	buffer_gl0_inv
	s_add_u32 s1, s18, s10
	s_addc_u32 s11, s19, s11
	s_add_u32 s0, s1, s0
	v_lshlrev_b32_e32 v15, 3, v1
	s_addc_u32 s1, s11, 0
	s_and_b32 vcc_lo, exec_lo, s8
	s_mov_b32 s11, -1
	ds_load_b128 v[9:12], v15
	ds_load_b128 v[5:8], v15 offset:16
	ds_load_b128 v[1:4], v15 offset:32
	s_waitcnt lgkmcnt(0)
	s_barrier
	buffer_gl0_inv
	s_cbranch_vccz .LBB60_10
; %bb.9:
	s_clause 0x5
	global_load_u8 v18, v0, s[0:1]
	global_load_u8 v19, v0, s[0:1] offset:128
	global_load_u8 v20, v0, s[0:1] offset:256
	;; [unrolled: 1-line block ×5, first 2 shown]
	s_mov_b32 s11, 0
	s_waitcnt vmcnt(5)
	v_cmp_ne_u16_e32 vcc_lo, 0, v18
	v_cndmask_b32_e64 v18, 0, 1, vcc_lo
	s_waitcnt vmcnt(4)
	v_cmp_ne_u16_e32 vcc_lo, 0, v19
	v_cndmask_b32_e64 v19, 0, 1, vcc_lo
	;; [unrolled: 3-line block ×6, first 2 shown]
	ds_store_b8 v0, v18
	ds_store_b8 v0, v19 offset:128
	ds_store_b8 v0, v20 offset:256
	ds_store_b8 v0, v21 offset:384
	ds_store_b8 v0, v22 offset:512
	ds_store_b8 v0, v23 offset:640
	s_waitcnt lgkmcnt(0)
	s_barrier
.LBB60_10:
	s_and_not1_b32 vcc_lo, exec_lo, s11
	s_cbranch_vccnz .LBB60_24
; %bb.11:
	s_add_i32 s20, s20, s10
	v_dual_mov_b32 v18, 0 :: v_dual_mov_b32 v19, 0
	s_sub_i32 s10, s16, s20
	s_mov_b32 s11, exec_lo
	s_addk_i32 s10, 0x300
	s_delay_alu instid0(SALU_CYCLE_1)
	v_cmpx_gt_u32_e64 s10, v0
	s_cbranch_execz .LBB60_13
; %bb.12:
	global_load_u8 v19, v0, s[0:1]
	s_waitcnt vmcnt(0)
	v_cmp_ne_u16_e32 vcc_lo, 0, v19
	v_cndmask_b32_e64 v19, 0, 1, vcc_lo
.LBB60_13:
	s_or_b32 exec_lo, exec_lo, s11
	v_or_b32_e32 v20, 0x80, v0
	s_mov_b32 s11, exec_lo
	s_delay_alu instid0(VALU_DEP_1)
	v_cmpx_gt_u32_e64 s10, v20
	s_cbranch_execz .LBB60_15
; %bb.14:
	global_load_u8 v18, v0, s[0:1] offset:128
	s_waitcnt vmcnt(0)
	v_cmp_ne_u16_e32 vcc_lo, 0, v18
	v_cndmask_b32_e64 v18, 0, 1, vcc_lo
.LBB60_15:
	s_or_b32 exec_lo, exec_lo, s11
	v_cmp_gt_u32_e32 vcc_lo, s10, v17
	v_dual_mov_b32 v17, 0 :: v_dual_mov_b32 v20, 0
	s_and_saveexec_b32 s11, vcc_lo
	s_cbranch_execz .LBB60_17
; %bb.16:
	global_load_u8 v20, v0, s[0:1] offset:256
	s_waitcnt vmcnt(0)
	v_cmp_ne_u16_e32 vcc_lo, 0, v20
	v_cndmask_b32_e64 v20, 0, 1, vcc_lo
.LBB60_17:
	s_or_b32 exec_lo, exec_lo, s11
	s_delay_alu instid0(SALU_CYCLE_1)
	s_mov_b32 s11, exec_lo
	v_cmpx_gt_u32_e64 s10, v16
	s_cbranch_execz .LBB60_19
; %bb.18:
	global_load_u8 v16, v0, s[0:1] offset:384
	s_waitcnt vmcnt(0)
	v_cmp_ne_u16_e32 vcc_lo, 0, v16
	v_cndmask_b32_e64 v17, 0, 1, vcc_lo
.LBB60_19:
	s_or_b32 exec_lo, exec_lo, s11
	v_cmp_gt_u32_e32 vcc_lo, s10, v14
	v_mov_b32_e32 v14, 0
	v_mov_b32_e32 v16, 0
	s_and_saveexec_b32 s11, vcc_lo
	s_cbranch_execz .LBB60_21
; %bb.20:
	global_load_u8 v16, v0, s[0:1] offset:512
	s_waitcnt vmcnt(0)
	v_cmp_ne_u16_e32 vcc_lo, 0, v16
	v_cndmask_b32_e64 v16, 0, 1, vcc_lo
.LBB60_21:
	s_or_b32 exec_lo, exec_lo, s11
	v_cmp_gt_u32_e32 vcc_lo, s10, v13
	s_and_saveexec_b32 s10, vcc_lo
	s_cbranch_execz .LBB60_23
; %bb.22:
	global_load_u8 v13, v0, s[0:1] offset:640
	s_waitcnt vmcnt(0)
	v_cmp_ne_u16_e32 vcc_lo, 0, v13
	v_cndmask_b32_e64 v14, 0, 1, vcc_lo
.LBB60_23:
	s_or_b32 exec_lo, exec_lo, s10
	ds_store_b8 v0, v19
	ds_store_b8 v0, v18 offset:128
	ds_store_b8 v0, v20 offset:256
	;; [unrolled: 1-line block ×5, first 2 shown]
	s_waitcnt lgkmcnt(0)
	s_barrier
.LBB60_24:
	v_mad_i32_i24 v43, 0xffffffd6, v0, v15
	buffer_gl0_inv
	v_mbcnt_lo_u32_b32 v42, -1, 0
	s_cmp_lg_u32 s9, 0
	s_mov_b32 s1, -1
	ds_load_u16 v36, v43
	ds_load_u16 v33, v43 offset:2
	ds_load_u16 v31, v43 offset:4
	v_mov_b32_e32 v14, 0
	v_and_b32_e32 v44, 15, v42
	s_waitcnt lgkmcnt(0)
	s_barrier
	buffer_gl0_inv
	v_and_b32_e32 v41, 0xff, v36
	v_lshrrev_b16 v34, 8, v36
	v_lshrrev_b16 v35, 8, v33
	v_and_b32_e32 v39, 0xff, v33
	v_lshrrev_b16 v32, 8, v31
	v_and_b32_e32 v37, 0xff, v31
	v_and_b32_e32 v40, 0xffff, v34
	;; [unrolled: 1-line block ×3, first 2 shown]
	s_delay_alu instid0(VALU_DEP_4) | instskip(NEXT) | instid1(VALU_DEP_3)
	v_and_b32_e32 v16, 0xffff, v32
	v_add_co_u32 v13, s0, v40, v41
	s_delay_alu instid0(VALU_DEP_1) | instskip(SKIP_1) | instid1(VALU_DEP_3)
	v_add_co_ci_u32_e64 v15, null, 0, 0, s0
	v_cmp_ne_u32_e64 s0, 0, v44
	v_add_co_u32 v13, vcc_lo, v13, v39
	s_delay_alu instid0(VALU_DEP_3) | instskip(NEXT) | instid1(VALU_DEP_2)
	v_add_co_ci_u32_e32 v15, vcc_lo, 0, v15, vcc_lo
	v_add_co_u32 v13, vcc_lo, v13, v38
	s_delay_alu instid0(VALU_DEP_2) | instskip(NEXT) | instid1(VALU_DEP_2)
	v_add_co_ci_u32_e32 v15, vcc_lo, 0, v15, vcc_lo
	v_add_co_u32 v13, vcc_lo, v13, v37
	s_delay_alu instid0(VALU_DEP_2) | instskip(NEXT) | instid1(VALU_DEP_2)
	v_add_co_ci_u32_e32 v15, vcc_lo, 0, v15, vcc_lo
	v_add_co_u32 v21, vcc_lo, v13, v16
	s_delay_alu instid0(VALU_DEP_2)
	v_add_co_ci_u32_e32 v22, vcc_lo, 0, v15, vcc_lo
	s_cbranch_scc0 .LBB60_93
; %bb.25:
	s_delay_alu instid0(VALU_DEP_2)
	v_mov_b32_e32 v15, v21
	v_mov_b32_dpp v13, v21 row_shr:1 row_mask:0xf bank_mask:0xf
	v_mov_b32_dpp v18, v14 row_shr:1 row_mask:0xf bank_mask:0xf
	v_dual_mov_b32 v17, v21 :: v_dual_mov_b32 v16, v22
	s_and_saveexec_b32 s1, s0
; %bb.26:
	s_delay_alu instid0(VALU_DEP_3) | instskip(SKIP_1) | instid1(VALU_DEP_2)
	v_add_co_u32 v17, vcc_lo, v21, v13
	v_add_co_ci_u32_e32 v14, vcc_lo, 0, v22, vcc_lo
	v_add_co_u32 v13, vcc_lo, 0, v17
	s_delay_alu instid0(VALU_DEP_2) | instskip(NEXT) | instid1(VALU_DEP_1)
	v_add_co_ci_u32_e32 v14, vcc_lo, v18, v14, vcc_lo
	v_dual_mov_b32 v16, v14 :: v_dual_mov_b32 v15, v13
; %bb.27:
	s_or_b32 exec_lo, exec_lo, s1
	v_mov_b32_dpp v13, v17 row_shr:2 row_mask:0xf bank_mask:0xf
	v_mov_b32_dpp v18, v14 row_shr:2 row_mask:0xf bank_mask:0xf
	s_mov_b32 s1, exec_lo
	v_cmpx_lt_u32_e32 1, v44
; %bb.28:
	s_delay_alu instid0(VALU_DEP_3) | instskip(SKIP_1) | instid1(VALU_DEP_2)
	v_add_co_u32 v17, vcc_lo, v15, v13
	v_add_co_ci_u32_e32 v14, vcc_lo, 0, v16, vcc_lo
	v_add_co_u32 v13, vcc_lo, 0, v17
	s_delay_alu instid0(VALU_DEP_2) | instskip(NEXT) | instid1(VALU_DEP_1)
	v_add_co_ci_u32_e32 v14, vcc_lo, v18, v14, vcc_lo
	v_dual_mov_b32 v16, v14 :: v_dual_mov_b32 v15, v13
; %bb.29:
	s_or_b32 exec_lo, exec_lo, s1
	v_mov_b32_dpp v13, v17 row_shr:4 row_mask:0xf bank_mask:0xf
	v_mov_b32_dpp v18, v14 row_shr:4 row_mask:0xf bank_mask:0xf
	s_mov_b32 s1, exec_lo
	v_cmpx_lt_u32_e32 3, v44
; %bb.30:
	s_delay_alu instid0(VALU_DEP_3) | instskip(SKIP_1) | instid1(VALU_DEP_2)
	v_add_co_u32 v17, vcc_lo, v15, v13
	v_add_co_ci_u32_e32 v14, vcc_lo, 0, v16, vcc_lo
	v_add_co_u32 v13, vcc_lo, 0, v17
	s_delay_alu instid0(VALU_DEP_2) | instskip(NEXT) | instid1(VALU_DEP_1)
	v_add_co_ci_u32_e32 v14, vcc_lo, v18, v14, vcc_lo
	v_dual_mov_b32 v16, v14 :: v_dual_mov_b32 v15, v13
; %bb.31:
	s_or_b32 exec_lo, exec_lo, s1
	v_mov_b32_dpp v18, v17 row_shr:8 row_mask:0xf bank_mask:0xf
	v_mov_b32_dpp v13, v14 row_shr:8 row_mask:0xf bank_mask:0xf
	s_mov_b32 s1, exec_lo
	v_cmpx_lt_u32_e32 7, v44
; %bb.32:
	s_delay_alu instid0(VALU_DEP_3) | instskip(SKIP_1) | instid1(VALU_DEP_2)
	v_add_co_u32 v17, vcc_lo, v15, v18
	v_add_co_ci_u32_e32 v14, vcc_lo, 0, v16, vcc_lo
	v_add_co_u32 v15, vcc_lo, 0, v17
	s_delay_alu instid0(VALU_DEP_2) | instskip(NEXT) | instid1(VALU_DEP_1)
	v_add_co_ci_u32_e32 v16, vcc_lo, v13, v14, vcc_lo
	v_mov_b32_e32 v14, v16
; %bb.33:
	s_or_b32 exec_lo, exec_lo, s1
	ds_swizzle_b32 v13, v17 offset:swizzle(BROADCAST,32,15)
	ds_swizzle_b32 v18, v14 offset:swizzle(BROADCAST,32,15)
	v_and_b32_e32 v19, 16, v42
	s_mov_b32 s1, exec_lo
	s_delay_alu instid0(VALU_DEP_1)
	v_cmpx_ne_u32_e32 0, v19
	s_cbranch_execz .LBB60_35
; %bb.34:
	s_waitcnt lgkmcnt(1)
	v_add_co_u32 v17, vcc_lo, v15, v13
	v_add_co_ci_u32_e32 v14, vcc_lo, 0, v16, vcc_lo
	s_delay_alu instid0(VALU_DEP_2) | instskip(SKIP_1) | instid1(VALU_DEP_2)
	v_add_co_u32 v13, vcc_lo, 0, v17
	s_waitcnt lgkmcnt(0)
	v_add_co_ci_u32_e32 v14, vcc_lo, v18, v14, vcc_lo
	s_delay_alu instid0(VALU_DEP_1)
	v_dual_mov_b32 v16, v14 :: v_dual_mov_b32 v15, v13
.LBB60_35:
	s_or_b32 exec_lo, exec_lo, s1
	s_waitcnt lgkmcnt(0)
	v_or_b32_e32 v18, 31, v0
	v_lshrrev_b32_e32 v13, 5, v0
	s_mov_b32 s1, exec_lo
	s_delay_alu instid0(VALU_DEP_2)
	v_cmpx_eq_u32_e64 v18, v0
	s_cbranch_execz .LBB60_37
; %bb.36:
	s_delay_alu instid0(VALU_DEP_2)
	v_lshlrev_b32_e32 v18, 3, v13
	ds_store_b64 v18, v[15:16]
.LBB60_37:
	s_or_b32 exec_lo, exec_lo, s1
	s_delay_alu instid0(SALU_CYCLE_1)
	s_mov_b32 s1, exec_lo
	s_waitcnt lgkmcnt(0)
	s_barrier
	buffer_gl0_inv
	v_cmpx_gt_u32_e32 4, v0
	s_cbranch_execz .LBB60_43
; %bb.38:
	v_lshlrev_b32_e32 v18, 3, v0
	s_mov_b32 s10, exec_lo
	ds_load_b64 v[15:16], v18
	s_waitcnt lgkmcnt(0)
	v_dual_mov_b32 v20, v15 :: v_dual_and_b32 v19, 3, v42
	v_mov_b32_dpp v24, v15 row_shr:1 row_mask:0xf bank_mask:0xf
	v_mov_b32_dpp v23, v16 row_shr:1 row_mask:0xf bank_mask:0xf
	s_delay_alu instid0(VALU_DEP_3)
	v_cmpx_ne_u32_e32 0, v19
; %bb.39:
	s_delay_alu instid0(VALU_DEP_3) | instskip(SKIP_1) | instid1(VALU_DEP_2)
	v_add_co_u32 v20, vcc_lo, v15, v24
	v_add_co_ci_u32_e32 v16, vcc_lo, 0, v16, vcc_lo
	v_add_co_u32 v15, vcc_lo, 0, v20
	s_delay_alu instid0(VALU_DEP_2)
	v_add_co_ci_u32_e32 v16, vcc_lo, v23, v16, vcc_lo
; %bb.40:
	s_or_b32 exec_lo, exec_lo, s10
	v_mov_b32_dpp v23, v20 row_shr:2 row_mask:0xf bank_mask:0xf
	s_delay_alu instid0(VALU_DEP_2)
	v_mov_b32_dpp v20, v16 row_shr:2 row_mask:0xf bank_mask:0xf
	s_mov_b32 s10, exec_lo
	v_cmpx_lt_u32_e32 1, v19
; %bb.41:
	s_delay_alu instid0(VALU_DEP_3) | instskip(SKIP_1) | instid1(VALU_DEP_2)
	v_add_co_u32 v15, vcc_lo, v15, v23
	v_add_co_ci_u32_e32 v16, vcc_lo, 0, v16, vcc_lo
	v_add_co_u32 v15, vcc_lo, v15, 0
	s_delay_alu instid0(VALU_DEP_2)
	v_add_co_ci_u32_e32 v16, vcc_lo, v16, v20, vcc_lo
; %bb.42:
	s_or_b32 exec_lo, exec_lo, s10
	ds_store_b64 v18, v[15:16]
.LBB60_43:
	s_or_b32 exec_lo, exec_lo, s1
	v_cmp_gt_u32_e32 vcc_lo, 32, v0
	s_mov_b32 s10, exec_lo
	s_waitcnt lgkmcnt(0)
	s_barrier
	buffer_gl0_inv
                                        ; implicit-def: $vgpr23_vgpr24
	v_cmpx_lt_u32_e32 31, v0
	s_cbranch_execz .LBB60_45
; %bb.44:
	v_lshl_add_u32 v13, v13, 3, -8
	ds_load_b64 v[23:24], v13
	s_waitcnt lgkmcnt(0)
	v_add_co_u32 v17, s1, v17, v23
	s_delay_alu instid0(VALU_DEP_1)
	v_add_co_ci_u32_e64 v14, s1, v14, v24, s1
.LBB60_45:
	s_or_b32 exec_lo, exec_lo, s10
	v_add_nc_u32_e32 v13, -1, v42
	s_delay_alu instid0(VALU_DEP_1) | instskip(NEXT) | instid1(VALU_DEP_1)
	v_cmp_gt_i32_e64 s1, 0, v13
	v_cndmask_b32_e64 v13, v13, v42, s1
	v_cmp_eq_u32_e64 s1, 0, v42
	s_delay_alu instid0(VALU_DEP_2)
	v_lshlrev_b32_e32 v13, 2, v13
	ds_bpermute_b32 v29, v13, v17
	ds_bpermute_b32 v30, v13, v14
	s_and_saveexec_b32 s10, vcc_lo
	s_cbranch_execz .LBB60_88
; %bb.46:
	v_mov_b32_e32 v16, 0
	ds_load_b64 v[13:14], v16 offset:24
	s_and_saveexec_b32 s11, s1
	s_cbranch_execz .LBB60_48
; %bb.47:
	s_add_i32 s16, s9, 32
	s_mov_b32 s17, 0
	s_delay_alu instid0(SALU_CYCLE_1) | instskip(NEXT) | instid1(SALU_CYCLE_1)
	s_lshl_b64 s[16:17], s[16:17], 4
	s_add_u32 s16, s14, s16
	s_addc_u32 s17, s15, s17
	s_delay_alu instid0(SALU_CYCLE_1)
	v_dual_mov_b32 v15, 1 :: v_dual_mov_b32 v18, s17
	v_mov_b32_e32 v17, s16
	s_waitcnt lgkmcnt(0)
	;;#ASMSTART
	global_store_dwordx4 v[17:18], v[13:16] off	
s_waitcnt vmcnt(0)
	;;#ASMEND
.LBB60_48:
	s_or_b32 exec_lo, exec_lo, s11
	v_xad_u32 v25, v42, -1, s9
	s_mov_b32 s16, 0
	s_mov_b32 s11, exec_lo
	s_delay_alu instid0(VALU_DEP_1) | instskip(NEXT) | instid1(VALU_DEP_1)
	v_add_nc_u32_e32 v15, 32, v25
	v_lshlrev_b64 v[15:16], 4, v[15:16]
	s_delay_alu instid0(VALU_DEP_1) | instskip(NEXT) | instid1(VALU_DEP_2)
	v_add_co_u32 v15, vcc_lo, s14, v15
	v_add_co_ci_u32_e32 v16, vcc_lo, s15, v16, vcc_lo
	;;#ASMSTART
	global_load_dwordx4 v[17:20], v[15:16] off glc	
s_waitcnt vmcnt(0)
	;;#ASMEND
	v_and_b32_e32 v20, 0xff, v18
	v_and_b32_e32 v26, 0xff00, v18
	;; [unrolled: 1-line block ×3, first 2 shown]
	v_or3_b32 v17, v17, 0, 0
	v_and_b32_e32 v18, 0xff000000, v18
	s_delay_alu instid0(VALU_DEP_4) | instskip(SKIP_1) | instid1(VALU_DEP_4)
	v_or3_b32 v20, 0, v20, v26
	v_and_b32_e32 v26, 0xff, v19
	v_or3_b32 v17, v17, 0, 0
	s_delay_alu instid0(VALU_DEP_3) | instskip(NEXT) | instid1(VALU_DEP_3)
	v_or3_b32 v18, v20, v27, v18
	v_cmpx_eq_u16_e32 0, v26
	s_cbranch_execz .LBB60_54
; %bb.49:
	s_mov_b32 s17, 1
	.p2align	6
.LBB60_50:                              ; =>This Loop Header: Depth=1
                                        ;     Child Loop BB60_51 Depth 2
	s_delay_alu instid0(SALU_CYCLE_1)
	s_max_u32 s18, s17, 1
.LBB60_51:                              ;   Parent Loop BB60_50 Depth=1
                                        ; =>  This Inner Loop Header: Depth=2
	s_delay_alu instid0(SALU_CYCLE_1)
	s_add_i32 s18, s18, -1
	s_sleep 1
	s_cmp_eq_u32 s18, 0
	s_cbranch_scc0 .LBB60_51
; %bb.52:                               ;   in Loop: Header=BB60_50 Depth=1
	;;#ASMSTART
	global_load_dwordx4 v[17:20], v[15:16] off glc	
s_waitcnt vmcnt(0)
	;;#ASMEND
	v_and_b32_e32 v20, 0xff, v19
	s_cmp_lt_u32 s17, 32
	s_cselect_b32 s18, -1, 0
	s_delay_alu instid0(SALU_CYCLE_1) | instskip(NEXT) | instid1(VALU_DEP_1)
	s_cmp_lg_u32 s18, 0
	v_cmp_ne_u16_e32 vcc_lo, 0, v20
	s_addc_u32 s17, s17, 0
	s_or_b32 s16, vcc_lo, s16
	s_delay_alu instid0(SALU_CYCLE_1)
	s_and_not1_b32 exec_lo, exec_lo, s16
	s_cbranch_execnz .LBB60_50
; %bb.53:
	s_or_b32 exec_lo, exec_lo, s16
.LBB60_54:
	s_delay_alu instid0(SALU_CYCLE_1)
	s_or_b32 exec_lo, exec_lo, s11
	v_cmp_ne_u32_e32 vcc_lo, 31, v42
	v_and_b32_e32 v16, 0xff, v19
	v_lshlrev_b32_e64 v46, v42, -1
	s_mov_b32 s11, exec_lo
	v_add_co_ci_u32_e32 v15, vcc_lo, 0, v42, vcc_lo
	s_delay_alu instid0(VALU_DEP_3) | instskip(NEXT) | instid1(VALU_DEP_2)
	v_cmp_eq_u16_e32 vcc_lo, 2, v16
	v_dual_mov_b32 v16, v17 :: v_dual_lshlrev_b32 v45, 2, v15
	v_and_or_b32 v15, vcc_lo, v46, 0x80000000
	ds_bpermute_b32 v26, v45, v17
	ds_bpermute_b32 v20, v45, v18
	v_ctz_i32_b32_e32 v15, v15
	s_delay_alu instid0(VALU_DEP_1)
	v_cmpx_lt_u32_e64 v42, v15
	s_cbranch_execz .LBB60_56
; %bb.55:
	s_waitcnt lgkmcnt(1)
	v_add_co_u32 v16, vcc_lo, v17, v26
	v_add_co_ci_u32_e32 v18, vcc_lo, 0, v18, vcc_lo
	s_delay_alu instid0(VALU_DEP_2) | instskip(SKIP_1) | instid1(VALU_DEP_2)
	v_add_co_u32 v17, vcc_lo, 0, v16
	s_waitcnt lgkmcnt(0)
	v_add_co_ci_u32_e32 v18, vcc_lo, v20, v18, vcc_lo
.LBB60_56:
	s_or_b32 exec_lo, exec_lo, s11
	v_cmp_gt_u32_e32 vcc_lo, 30, v42
	v_add_nc_u32_e32 v48, 2, v42
	s_mov_b32 s11, exec_lo
	s_waitcnt lgkmcnt(0)
	v_cndmask_b32_e64 v20, 0, 1, vcc_lo
	s_delay_alu instid0(VALU_DEP_1) | instskip(NEXT) | instid1(VALU_DEP_1)
	v_lshlrev_b32_e32 v20, 1, v20
	v_add_lshl_u32 v47, v20, v42, 2
	ds_bpermute_b32 v26, v47, v16
	ds_bpermute_b32 v20, v47, v18
	v_cmpx_le_u32_e64 v48, v15
	s_cbranch_execz .LBB60_58
; %bb.57:
	s_waitcnt lgkmcnt(1)
	v_add_co_u32 v16, vcc_lo, v17, v26
	v_add_co_ci_u32_e32 v18, vcc_lo, 0, v18, vcc_lo
	s_delay_alu instid0(VALU_DEP_2) | instskip(SKIP_1) | instid1(VALU_DEP_2)
	v_add_co_u32 v17, vcc_lo, 0, v16
	s_waitcnt lgkmcnt(0)
	v_add_co_ci_u32_e32 v18, vcc_lo, v20, v18, vcc_lo
.LBB60_58:
	s_or_b32 exec_lo, exec_lo, s11
	v_cmp_gt_u32_e32 vcc_lo, 28, v42
	v_add_nc_u32_e32 v50, 4, v42
	s_mov_b32 s11, exec_lo
	s_waitcnt lgkmcnt(0)
	v_cndmask_b32_e64 v20, 0, 1, vcc_lo
	s_delay_alu instid0(VALU_DEP_1) | instskip(NEXT) | instid1(VALU_DEP_1)
	v_lshlrev_b32_e32 v20, 2, v20
	v_add_lshl_u32 v49, v20, v42, 2
	ds_bpermute_b32 v26, v49, v16
	ds_bpermute_b32 v20, v49, v18
	v_cmpx_le_u32_e64 v50, v15
	;; [unrolled: 22-line block ×4, first 2 shown]
	s_cbranch_execz .LBB60_64
; %bb.63:
	s_waitcnt lgkmcnt(1)
	v_add_co_u32 v15, vcc_lo, v17, v20
	v_add_co_ci_u32_e32 v18, vcc_lo, 0, v18, vcc_lo
	s_delay_alu instid0(VALU_DEP_2) | instskip(SKIP_1) | instid1(VALU_DEP_2)
	v_add_co_u32 v17, vcc_lo, v15, 0
	s_waitcnt lgkmcnt(0)
	v_add_co_ci_u32_e32 v18, vcc_lo, v18, v16, vcc_lo
.LBB60_64:
	s_or_b32 exec_lo, exec_lo, s11
	v_mov_b32_e32 v26, 0
	s_branch .LBB60_66
.LBB60_65:                              ;   in Loop: Header=BB60_66 Depth=1
	s_or_b32 exec_lo, exec_lo, s11
	v_add_co_u32 v17, vcc_lo, v17, v15
	v_subrev_nc_u32_e32 v25, 32, v25
	v_add_co_ci_u32_e32 v18, vcc_lo, v18, v16, vcc_lo
.LBB60_66:                              ; =>This Loop Header: Depth=1
                                        ;     Child Loop BB60_69 Depth 2
                                        ;       Child Loop BB60_70 Depth 3
	v_and_b32_e32 v15, 0xff, v19
	s_delay_alu instid0(VALU_DEP_1) | instskip(SKIP_2) | instid1(VALU_DEP_1)
	v_cmp_ne_u16_e32 vcc_lo, 2, v15
	v_cndmask_b32_e64 v15, 0, 1, vcc_lo
	;;#ASMSTART
	;;#ASMEND
	v_cmp_ne_u32_e32 vcc_lo, 0, v15
	s_waitcnt lgkmcnt(0)
	v_dual_mov_b32 v15, v17 :: v_dual_mov_b32 v16, v18
	s_cmp_lg_u32 vcc_lo, exec_lo
	s_cbranch_scc1 .LBB60_83
; %bb.67:                               ;   in Loop: Header=BB60_66 Depth=1
	v_lshlrev_b64 v[17:18], 4, v[25:26]
	s_mov_b32 s11, exec_lo
	s_delay_alu instid0(VALU_DEP_1) | instskip(NEXT) | instid1(VALU_DEP_2)
	v_add_co_u32 v27, vcc_lo, s14, v17
	v_add_co_ci_u32_e32 v28, vcc_lo, s15, v18, vcc_lo
	;;#ASMSTART
	global_load_dwordx4 v[17:20], v[27:28] off glc	
s_waitcnt vmcnt(0)
	;;#ASMEND
	v_and_b32_e32 v20, 0xff, v18
	v_and_b32_e32 v55, 0xff00, v18
	;; [unrolled: 1-line block ×3, first 2 shown]
	v_or3_b32 v17, v17, 0, 0
	v_and_b32_e32 v18, 0xff000000, v18
	s_delay_alu instid0(VALU_DEP_4) | instskip(SKIP_1) | instid1(VALU_DEP_4)
	v_or3_b32 v20, 0, v20, v55
	v_and_b32_e32 v55, 0xff, v19
	v_or3_b32 v17, v17, 0, 0
	s_delay_alu instid0(VALU_DEP_3) | instskip(NEXT) | instid1(VALU_DEP_3)
	v_or3_b32 v18, v20, v56, v18
	v_cmpx_eq_u16_e32 0, v55
	s_cbranch_execz .LBB60_73
; %bb.68:                               ;   in Loop: Header=BB60_66 Depth=1
	s_mov_b32 s17, 1
	s_mov_b32 s16, 0
	.p2align	6
.LBB60_69:                              ;   Parent Loop BB60_66 Depth=1
                                        ; =>  This Loop Header: Depth=2
                                        ;       Child Loop BB60_70 Depth 3
	s_max_u32 s18, s17, 1
.LBB60_70:                              ;   Parent Loop BB60_66 Depth=1
                                        ;     Parent Loop BB60_69 Depth=2
                                        ; =>    This Inner Loop Header: Depth=3
	s_delay_alu instid0(SALU_CYCLE_1)
	s_add_i32 s18, s18, -1
	s_sleep 1
	s_cmp_eq_u32 s18, 0
	s_cbranch_scc0 .LBB60_70
; %bb.71:                               ;   in Loop: Header=BB60_69 Depth=2
	;;#ASMSTART
	global_load_dwordx4 v[17:20], v[27:28] off glc	
s_waitcnt vmcnt(0)
	;;#ASMEND
	v_and_b32_e32 v20, 0xff, v19
	s_cmp_lt_u32 s17, 32
	s_cselect_b32 s18, -1, 0
	s_delay_alu instid0(SALU_CYCLE_1) | instskip(NEXT) | instid1(VALU_DEP_1)
	s_cmp_lg_u32 s18, 0
	v_cmp_ne_u16_e32 vcc_lo, 0, v20
	s_addc_u32 s17, s17, 0
	s_or_b32 s16, vcc_lo, s16
	s_delay_alu instid0(SALU_CYCLE_1)
	s_and_not1_b32 exec_lo, exec_lo, s16
	s_cbranch_execnz .LBB60_69
; %bb.72:                               ;   in Loop: Header=BB60_66 Depth=1
	s_or_b32 exec_lo, exec_lo, s16
.LBB60_73:                              ;   in Loop: Header=BB60_66 Depth=1
	s_delay_alu instid0(SALU_CYCLE_1)
	s_or_b32 exec_lo, exec_lo, s11
	v_dual_mov_b32 v27, v17 :: v_dual_and_b32 v20, 0xff, v19
	ds_bpermute_b32 v55, v45, v17
	ds_bpermute_b32 v28, v45, v18
	s_mov_b32 s11, exec_lo
	v_cmp_eq_u16_e32 vcc_lo, 2, v20
	v_and_or_b32 v20, vcc_lo, v46, 0x80000000
	s_delay_alu instid0(VALU_DEP_1) | instskip(NEXT) | instid1(VALU_DEP_1)
	v_ctz_i32_b32_e32 v20, v20
	v_cmpx_lt_u32_e64 v42, v20
	s_cbranch_execz .LBB60_75
; %bb.74:                               ;   in Loop: Header=BB60_66 Depth=1
	s_waitcnt lgkmcnt(1)
	v_add_co_u32 v27, vcc_lo, v17, v55
	v_add_co_ci_u32_e32 v18, vcc_lo, 0, v18, vcc_lo
	s_delay_alu instid0(VALU_DEP_2) | instskip(SKIP_1) | instid1(VALU_DEP_2)
	v_add_co_u32 v17, vcc_lo, 0, v27
	s_waitcnt lgkmcnt(0)
	v_add_co_ci_u32_e32 v18, vcc_lo, v28, v18, vcc_lo
.LBB60_75:                              ;   in Loop: Header=BB60_66 Depth=1
	s_or_b32 exec_lo, exec_lo, s11
	s_waitcnt lgkmcnt(1)
	ds_bpermute_b32 v55, v47, v27
	s_waitcnt lgkmcnt(1)
	ds_bpermute_b32 v28, v47, v18
	s_mov_b32 s11, exec_lo
	v_cmpx_le_u32_e64 v48, v20
	s_cbranch_execz .LBB60_77
; %bb.76:                               ;   in Loop: Header=BB60_66 Depth=1
	s_waitcnt lgkmcnt(1)
	v_add_co_u32 v27, vcc_lo, v17, v55
	v_add_co_ci_u32_e32 v18, vcc_lo, 0, v18, vcc_lo
	s_delay_alu instid0(VALU_DEP_2) | instskip(SKIP_1) | instid1(VALU_DEP_2)
	v_add_co_u32 v17, vcc_lo, 0, v27
	s_waitcnt lgkmcnt(0)
	v_add_co_ci_u32_e32 v18, vcc_lo, v28, v18, vcc_lo
.LBB60_77:                              ;   in Loop: Header=BB60_66 Depth=1
	s_or_b32 exec_lo, exec_lo, s11
	s_waitcnt lgkmcnt(1)
	ds_bpermute_b32 v55, v49, v27
	s_waitcnt lgkmcnt(1)
	ds_bpermute_b32 v28, v49, v18
	s_mov_b32 s11, exec_lo
	v_cmpx_le_u32_e64 v50, v20
	;; [unrolled: 17-line block ×3, first 2 shown]
	s_cbranch_execz .LBB60_81
; %bb.80:                               ;   in Loop: Header=BB60_66 Depth=1
	s_waitcnt lgkmcnt(1)
	v_add_co_u32 v27, vcc_lo, v17, v55
	v_add_co_ci_u32_e32 v18, vcc_lo, 0, v18, vcc_lo
	s_delay_alu instid0(VALU_DEP_2) | instskip(SKIP_1) | instid1(VALU_DEP_2)
	v_add_co_u32 v17, vcc_lo, 0, v27
	s_waitcnt lgkmcnt(0)
	v_add_co_ci_u32_e32 v18, vcc_lo, v28, v18, vcc_lo
.LBB60_81:                              ;   in Loop: Header=BB60_66 Depth=1
	s_or_b32 exec_lo, exec_lo, s11
	s_waitcnt lgkmcnt(0)
	ds_bpermute_b32 v28, v53, v27
	ds_bpermute_b32 v27, v53, v18
	s_mov_b32 s11, exec_lo
	v_cmpx_le_u32_e64 v54, v20
	s_cbranch_execz .LBB60_65
; %bb.82:                               ;   in Loop: Header=BB60_66 Depth=1
	s_waitcnt lgkmcnt(1)
	v_add_co_u32 v17, vcc_lo, v17, v28
	v_add_co_ci_u32_e32 v18, vcc_lo, 0, v18, vcc_lo
	s_delay_alu instid0(VALU_DEP_2) | instskip(SKIP_1) | instid1(VALU_DEP_2)
	v_add_co_u32 v17, vcc_lo, v17, 0
	s_waitcnt lgkmcnt(0)
	v_add_co_ci_u32_e32 v18, vcc_lo, v18, v27, vcc_lo
	s_branch .LBB60_65
.LBB60_83:                              ;   in Loop: Header=BB60_66 Depth=1
                                        ; implicit-def: $vgpr17_vgpr18
	s_cbranch_execz .LBB60_66
; %bb.84:
	s_and_saveexec_b32 s11, s1
	s_cbranch_execz .LBB60_86
; %bb.85:
	s_add_i32 s16, s9, 32
	s_mov_b32 s17, 0
	v_add_co_u32 v17, vcc_lo, v15, v13
	s_lshl_b64 s[16:17], s[16:17], 4
	v_dual_mov_b32 v19, 2 :: v_dual_mov_b32 v20, 0
	s_add_u32 s16, s14, s16
	s_addc_u32 s17, s15, s17
	v_add_co_ci_u32_e32 v18, vcc_lo, v16, v14, vcc_lo
	v_dual_mov_b32 v26, s17 :: v_dual_mov_b32 v25, s16
	;;#ASMSTART
	global_store_dwordx4 v[25:26], v[17:20] off	
s_waitcnt vmcnt(0)
	;;#ASMEND
	ds_store_b128 v20, v[13:16] offset:6144
.LBB60_86:
	s_or_b32 exec_lo, exec_lo, s11
	s_delay_alu instid0(SALU_CYCLE_1)
	s_and_b32 exec_lo, exec_lo, s2
	s_cbranch_execz .LBB60_88
; %bb.87:
	v_mov_b32_e32 v13, 0
	ds_store_b64 v13, v[15:16] offset:24
.LBB60_88:
	s_or_b32 exec_lo, exec_lo, s10
	v_mov_b32_e32 v15, 0
	s_waitcnt lgkmcnt(0)
	s_barrier
	buffer_gl0_inv
	v_cndmask_b32_e64 v16, v29, v23, s1
	ds_load_b64 v[13:14], v15 offset:24
	v_cndmask_b32_e64 v17, v30, v24, s1
	s_waitcnt lgkmcnt(0)
	s_barrier
	v_cndmask_b32_e64 v16, v16, 0, s2
	buffer_gl0_inv
	v_cndmask_b32_e64 v17, v17, 0, s2
	v_add_co_u32 v29, vcc_lo, v13, v16
	s_delay_alu instid0(VALU_DEP_2) | instskip(SKIP_3) | instid1(VALU_DEP_2)
	v_add_co_ci_u32_e32 v30, vcc_lo, v14, v17, vcc_lo
	ds_load_b128 v[13:16], v15 offset:6144
	v_add_co_u32 v27, vcc_lo, v29, v41
	v_add_co_ci_u32_e32 v28, vcc_lo, 0, v30, vcc_lo
	v_add_co_u32 v25, vcc_lo, v27, v40
	s_delay_alu instid0(VALU_DEP_2) | instskip(NEXT) | instid1(VALU_DEP_2)
	v_add_co_ci_u32_e32 v26, vcc_lo, 0, v28, vcc_lo
	v_add_co_u32 v23, vcc_lo, v25, v39
	s_delay_alu instid0(VALU_DEP_2) | instskip(NEXT) | instid1(VALU_DEP_2)
	;; [unrolled: 3-line block ×3, first 2 shown]
	v_add_co_ci_u32_e32 v20, vcc_lo, 0, v24, vcc_lo
	v_add_co_u32 v17, vcc_lo, v19, v37
	s_delay_alu instid0(VALU_DEP_2)
	v_add_co_ci_u32_e32 v18, vcc_lo, 0, v20, vcc_lo
.LBB60_89:
	s_waitcnt lgkmcnt(0)
	v_cmp_gt_u64_e32 vcc_lo, 0x81, v[13:14]
	s_mov_b32 s0, -1
	s_cbranch_vccnz .LBB60_117
.LBB60_90:
	s_and_b32 vcc_lo, exec_lo, s0
	s_cbranch_vccnz .LBB60_136
.LBB60_91:
	s_and_b32 s0, s2, s3
	s_delay_alu instid0(SALU_CYCLE_1)
	s_and_saveexec_b32 s1, s0
	s_cbranch_execnz .LBB60_152
.LBB60_92:
	s_nop 0
	s_sendmsg sendmsg(MSG_DEALLOC_VGPRS)
	s_endpgm
.LBB60_93:
                                        ; kill: def $vgpr13_vgpr14 killed $sgpr0_sgpr1 killed $exec
                                        ; implicit-def: $vgpr17_vgpr18
                                        ; implicit-def: $vgpr19_vgpr20
                                        ; implicit-def: $vgpr23_vgpr24
                                        ; implicit-def: $vgpr25_vgpr26
                                        ; implicit-def: $vgpr27_vgpr28
                                        ; implicit-def: $vgpr29_vgpr30
                                        ; implicit-def: $vgpr15_vgpr16
	s_and_b32 vcc_lo, exec_lo, s1
	s_cbranch_vccz .LBB60_89
; %bb.94:
	s_waitcnt lgkmcnt(0)
	v_dual_mov_b32 v14, 0 :: v_dual_mov_b32 v15, v21
	v_mov_b32_dpp v16, v21 row_shr:1 row_mask:0xf bank_mask:0xf
	s_delay_alu instid0(VALU_DEP_2)
	v_mov_b32_dpp v13, v14 row_shr:1 row_mask:0xf bank_mask:0xf
	s_and_saveexec_b32 s1, s0
; %bb.95:
	s_delay_alu instid0(VALU_DEP_2) | instskip(SKIP_1) | instid1(VALU_DEP_2)
	v_add_co_u32 v15, vcc_lo, v21, v16
	v_add_co_ci_u32_e32 v14, vcc_lo, 0, v22, vcc_lo
	v_add_co_u32 v21, vcc_lo, 0, v15
	s_delay_alu instid0(VALU_DEP_2) | instskip(NEXT) | instid1(VALU_DEP_1)
	v_add_co_ci_u32_e32 v22, vcc_lo, v13, v14, vcc_lo
	v_mov_b32_e32 v14, v22
; %bb.96:
	s_or_b32 exec_lo, exec_lo, s1
	v_mov_b32_dpp v13, v15 row_shr:2 row_mask:0xf bank_mask:0xf
	s_delay_alu instid0(VALU_DEP_2)
	v_mov_b32_dpp v16, v14 row_shr:2 row_mask:0xf bank_mask:0xf
	s_mov_b32 s0, exec_lo
	v_cmpx_lt_u32_e32 1, v44
; %bb.97:
	s_delay_alu instid0(VALU_DEP_3) | instskip(SKIP_1) | instid1(VALU_DEP_2)
	v_add_co_u32 v15, vcc_lo, v21, v13
	v_add_co_ci_u32_e32 v14, vcc_lo, 0, v22, vcc_lo
	v_add_co_u32 v13, vcc_lo, 0, v15
	s_delay_alu instid0(VALU_DEP_2) | instskip(NEXT) | instid1(VALU_DEP_1)
	v_add_co_ci_u32_e32 v14, vcc_lo, v16, v14, vcc_lo
	v_dual_mov_b32 v22, v14 :: v_dual_mov_b32 v21, v13
; %bb.98:
	s_or_b32 exec_lo, exec_lo, s0
	v_mov_b32_dpp v13, v15 row_shr:4 row_mask:0xf bank_mask:0xf
	v_mov_b32_dpp v16, v14 row_shr:4 row_mask:0xf bank_mask:0xf
	s_mov_b32 s0, exec_lo
	v_cmpx_lt_u32_e32 3, v44
; %bb.99:
	s_delay_alu instid0(VALU_DEP_3) | instskip(SKIP_1) | instid1(VALU_DEP_2)
	v_add_co_u32 v15, vcc_lo, v21, v13
	v_add_co_ci_u32_e32 v14, vcc_lo, 0, v22, vcc_lo
	v_add_co_u32 v13, vcc_lo, 0, v15
	s_delay_alu instid0(VALU_DEP_2) | instskip(NEXT) | instid1(VALU_DEP_1)
	v_add_co_ci_u32_e32 v14, vcc_lo, v16, v14, vcc_lo
	v_dual_mov_b32 v22, v14 :: v_dual_mov_b32 v21, v13
; %bb.100:
	s_or_b32 exec_lo, exec_lo, s0
	v_mov_b32_dpp v16, v15 row_shr:8 row_mask:0xf bank_mask:0xf
	v_mov_b32_dpp v13, v14 row_shr:8 row_mask:0xf bank_mask:0xf
	s_mov_b32 s0, exec_lo
	v_cmpx_lt_u32_e32 7, v44
; %bb.101:
	s_delay_alu instid0(VALU_DEP_3) | instskip(SKIP_1) | instid1(VALU_DEP_2)
	v_add_co_u32 v15, vcc_lo, v21, v16
	v_add_co_ci_u32_e32 v14, vcc_lo, 0, v22, vcc_lo
	v_add_co_u32 v21, vcc_lo, 0, v15
	s_delay_alu instid0(VALU_DEP_2) | instskip(NEXT) | instid1(VALU_DEP_1)
	v_add_co_ci_u32_e32 v22, vcc_lo, v13, v14, vcc_lo
	v_mov_b32_e32 v14, v22
; %bb.102:
	s_or_b32 exec_lo, exec_lo, s0
	ds_swizzle_b32 v15, v15 offset:swizzle(BROADCAST,32,15)
	ds_swizzle_b32 v13, v14 offset:swizzle(BROADCAST,32,15)
	v_and_b32_e32 v14, 16, v42
	s_mov_b32 s0, exec_lo
	s_delay_alu instid0(VALU_DEP_1)
	v_cmpx_ne_u32_e32 0, v14
	s_cbranch_execz .LBB60_104
; %bb.103:
	s_waitcnt lgkmcnt(1)
	v_add_co_u32 v14, vcc_lo, v21, v15
	v_add_co_ci_u32_e32 v15, vcc_lo, 0, v22, vcc_lo
	s_delay_alu instid0(VALU_DEP_2) | instskip(SKIP_1) | instid1(VALU_DEP_2)
	v_add_co_u32 v21, vcc_lo, v14, 0
	s_waitcnt lgkmcnt(0)
	v_add_co_ci_u32_e32 v22, vcc_lo, v15, v13, vcc_lo
.LBB60_104:
	s_or_b32 exec_lo, exec_lo, s0
	s_waitcnt lgkmcnt(0)
	v_or_b32_e32 v13, 31, v0
	v_lshrrev_b32_e32 v15, 5, v0
	s_mov_b32 s0, exec_lo
	s_delay_alu instid0(VALU_DEP_2)
	v_cmpx_eq_u32_e64 v13, v0
	s_cbranch_execz .LBB60_106
; %bb.105:
	s_delay_alu instid0(VALU_DEP_2)
	v_lshlrev_b32_e32 v13, 3, v15
	ds_store_b64 v13, v[21:22]
.LBB60_106:
	s_or_b32 exec_lo, exec_lo, s0
	s_delay_alu instid0(SALU_CYCLE_1)
	s_mov_b32 s0, exec_lo
	s_waitcnt lgkmcnt(0)
	s_barrier
	buffer_gl0_inv
	v_cmpx_gt_u32_e32 4, v0
	s_cbranch_execz .LBB60_112
; %bb.107:
	v_lshlrev_b32_e32 v13, 1, v0
	s_mov_b32 s1, exec_lo
	s_delay_alu instid0(VALU_DEP_1)
	v_add_nc_u32_e32 v16, v43, v13
	ds_load_b64 v[13:14], v16
	s_waitcnt lgkmcnt(0)
	v_dual_mov_b32 v18, v13 :: v_dual_and_b32 v17, 3, v42
	v_mov_b32_dpp v20, v13 row_shr:1 row_mask:0xf bank_mask:0xf
	v_mov_b32_dpp v19, v14 row_shr:1 row_mask:0xf bank_mask:0xf
	s_delay_alu instid0(VALU_DEP_3)
	v_cmpx_ne_u32_e32 0, v17
; %bb.108:
	s_delay_alu instid0(VALU_DEP_3) | instskip(SKIP_1) | instid1(VALU_DEP_2)
	v_add_co_u32 v18, vcc_lo, v13, v20
	v_add_co_ci_u32_e32 v14, vcc_lo, 0, v14, vcc_lo
	v_add_co_u32 v13, vcc_lo, 0, v18
	s_delay_alu instid0(VALU_DEP_2)
	v_add_co_ci_u32_e32 v14, vcc_lo, v19, v14, vcc_lo
; %bb.109:
	s_or_b32 exec_lo, exec_lo, s1
	v_mov_b32_dpp v19, v18 row_shr:2 row_mask:0xf bank_mask:0xf
	s_delay_alu instid0(VALU_DEP_2)
	v_mov_b32_dpp v18, v14 row_shr:2 row_mask:0xf bank_mask:0xf
	s_mov_b32 s1, exec_lo
	v_cmpx_lt_u32_e32 1, v17
; %bb.110:
	s_delay_alu instid0(VALU_DEP_3) | instskip(SKIP_1) | instid1(VALU_DEP_2)
	v_add_co_u32 v13, vcc_lo, v13, v19
	v_add_co_ci_u32_e32 v14, vcc_lo, 0, v14, vcc_lo
	v_add_co_u32 v13, vcc_lo, v13, 0
	s_delay_alu instid0(VALU_DEP_2)
	v_add_co_ci_u32_e32 v14, vcc_lo, v14, v18, vcc_lo
; %bb.111:
	s_or_b32 exec_lo, exec_lo, s1
	ds_store_b64 v16, v[13:14]
.LBB60_112:
	s_or_b32 exec_lo, exec_lo, s0
	v_mov_b32_e32 v17, 0
	v_mov_b32_e32 v18, 0
	s_mov_b32 s0, exec_lo
	s_waitcnt lgkmcnt(0)
	s_barrier
	buffer_gl0_inv
	v_cmpx_lt_u32_e32 31, v0
	s_cbranch_execz .LBB60_114
; %bb.113:
	v_lshl_add_u32 v13, v15, 3, -8
	ds_load_b64 v[17:18], v13
.LBB60_114:
	s_or_b32 exec_lo, exec_lo, s0
	v_dual_mov_b32 v16, 0 :: v_dual_add_nc_u32 v13, -1, v42
	s_delay_alu instid0(VALU_DEP_1) | instskip(SKIP_4) | instid1(VALU_DEP_3)
	v_cmp_gt_i32_e32 vcc_lo, 0, v13
	v_cndmask_b32_e32 v13, v13, v42, vcc_lo
	s_waitcnt lgkmcnt(0)
	v_add_co_u32 v14, vcc_lo, v17, v21
	v_add_co_ci_u32_e32 v15, vcc_lo, v18, v22, vcc_lo
	v_lshlrev_b32_e32 v13, 2, v13
	ds_bpermute_b32 v19, v13, v14
	ds_bpermute_b32 v20, v13, v15
	ds_load_b64 v[13:14], v16 offset:24
	s_and_saveexec_b32 s0, s2
	s_cbranch_execz .LBB60_116
; %bb.115:
	s_add_u32 s10, s14, 0x200
	s_addc_u32 s11, s15, 0
	s_delay_alu instid0(SALU_CYCLE_1)
	v_dual_mov_b32 v15, 2 :: v_dual_mov_b32 v22, s11
	v_mov_b32_e32 v21, s10
	s_waitcnt lgkmcnt(0)
	;;#ASMSTART
	global_store_dwordx4 v[21:22], v[13:16] off	
s_waitcnt vmcnt(0)
	;;#ASMEND
.LBB60_116:
	s_or_b32 exec_lo, exec_lo, s0
	v_cmp_eq_u32_e32 vcc_lo, 0, v42
	s_waitcnt lgkmcnt(0)
	s_barrier
	buffer_gl0_inv
	v_dual_cndmask_b32 v15, v19, v17 :: v_dual_cndmask_b32 v16, v20, v18
	s_delay_alu instid0(VALU_DEP_1) | instskip(NEXT) | instid1(VALU_DEP_2)
	v_cndmask_b32_e64 v29, v15, 0, s2
	v_cndmask_b32_e64 v30, v16, 0, s2
	v_mov_b32_e32 v15, 0
	v_mov_b32_e32 v16, 0
	s_delay_alu instid0(VALU_DEP_4) | instskip(NEXT) | instid1(VALU_DEP_4)
	v_add_co_u32 v27, vcc_lo, v29, v41
	v_add_co_ci_u32_e32 v28, vcc_lo, 0, v30, vcc_lo
	s_delay_alu instid0(VALU_DEP_2) | instskip(NEXT) | instid1(VALU_DEP_2)
	v_add_co_u32 v25, vcc_lo, v27, v40
	v_add_co_ci_u32_e32 v26, vcc_lo, 0, v28, vcc_lo
	s_delay_alu instid0(VALU_DEP_2) | instskip(NEXT) | instid1(VALU_DEP_2)
	;; [unrolled: 3-line block ×4, first 2 shown]
	v_add_co_u32 v17, vcc_lo, v19, v37
	v_add_co_ci_u32_e32 v18, vcc_lo, 0, v20, vcc_lo
	v_cmp_gt_u64_e32 vcc_lo, 0x81, v[13:14]
	s_mov_b32 s0, -1
	s_cbranch_vccz .LBB60_90
.LBB60_117:
	v_add_co_u32 v21, vcc_lo, v15, v13
	v_add_co_ci_u32_e32 v22, vcc_lo, v16, v14, vcc_lo
	s_delay_alu instid0(VALU_DEP_1) | instskip(SKIP_1) | instid1(SALU_CYCLE_1)
	v_cmp_lt_u64_e32 vcc_lo, v[29:30], v[21:22]
	s_or_b32 s1, s8, vcc_lo
	s_and_saveexec_b32 s0, s1
	s_cbranch_execz .LBB60_120
; %bb.118:
	v_and_b32_e32 v37, 1, v36
	s_delay_alu instid0(VALU_DEP_1)
	v_cmp_eq_u32_e32 vcc_lo, 1, v37
	s_and_b32 exec_lo, exec_lo, vcc_lo
	s_cbranch_execz .LBB60_120
; %bb.119:
	v_lshlrev_b64 v[37:38], 3, v[29:30]
	s_lshl_b64 s[10:11], s[6:7], 3
	s_delay_alu instid0(SALU_CYCLE_1) | instskip(SKIP_1) | instid1(VALU_DEP_1)
	s_add_u32 s1, s12, s10
	s_addc_u32 s9, s13, s11
	v_add_co_u32 v37, vcc_lo, s1, v37
	s_delay_alu instid0(VALU_DEP_2)
	v_add_co_ci_u32_e32 v38, vcc_lo, s9, v38, vcc_lo
	global_store_b64 v[37:38], v[9:10], off
.LBB60_120:
	s_or_b32 exec_lo, exec_lo, s0
	v_cmp_lt_u64_e32 vcc_lo, v[27:28], v[21:22]
	s_or_b32 s1, s8, vcc_lo
	s_delay_alu instid0(SALU_CYCLE_1)
	s_and_saveexec_b32 s0, s1
	s_cbranch_execz .LBB60_123
; %bb.121:
	v_and_b32_e32 v30, 1, v34
	s_delay_alu instid0(VALU_DEP_1)
	v_cmp_eq_u32_e32 vcc_lo, 1, v30
	s_and_b32 exec_lo, exec_lo, vcc_lo
	s_cbranch_execz .LBB60_123
; %bb.122:
	v_lshlrev_b64 v[37:38], 3, v[27:28]
	s_lshl_b64 s[10:11], s[6:7], 3
	s_delay_alu instid0(SALU_CYCLE_1) | instskip(SKIP_1) | instid1(VALU_DEP_1)
	s_add_u32 s1, s12, s10
	s_addc_u32 s9, s13, s11
	v_add_co_u32 v37, vcc_lo, s1, v37
	s_delay_alu instid0(VALU_DEP_2)
	v_add_co_ci_u32_e32 v38, vcc_lo, s9, v38, vcc_lo
	global_store_b64 v[37:38], v[11:12], off
.LBB60_123:
	s_or_b32 exec_lo, exec_lo, s0
	v_cmp_lt_u64_e32 vcc_lo, v[25:26], v[21:22]
	s_or_b32 s1, s8, vcc_lo
	s_delay_alu instid0(SALU_CYCLE_1)
	;; [unrolled: 23-line block ×5, first 2 shown]
	s_and_saveexec_b32 s0, s1
	s_cbranch_execz .LBB60_135
; %bb.133:
	v_and_b32_e32 v20, 1, v32
	s_delay_alu instid0(VALU_DEP_1)
	v_cmp_eq_u32_e32 vcc_lo, 1, v20
	s_and_b32 exec_lo, exec_lo, vcc_lo
	s_cbranch_execz .LBB60_135
; %bb.134:
	v_lshlrev_b64 v[20:21], 3, v[17:18]
	s_lshl_b64 s[8:9], s[6:7], 3
	s_delay_alu instid0(SALU_CYCLE_1) | instskip(SKIP_1) | instid1(VALU_DEP_1)
	s_add_u32 s1, s12, s8
	s_addc_u32 s8, s13, s9
	v_add_co_u32 v20, vcc_lo, s1, v20
	s_delay_alu instid0(VALU_DEP_2)
	v_add_co_ci_u32_e32 v21, vcc_lo, s8, v21, vcc_lo
	global_store_b64 v[20:21], v[3:4], off
.LBB60_135:
	s_or_b32 exec_lo, exec_lo, s0
	s_branch .LBB60_91
.LBB60_136:
	v_and_b32_e32 v18, 1, v36
	s_mov_b32 s0, exec_lo
	s_delay_alu instid0(VALU_DEP_1)
	v_cmpx_eq_u32_e32 1, v18
	s_cbranch_execz .LBB60_138
; %bb.137:
	v_sub_nc_u32_e32 v18, v29, v15
	s_delay_alu instid0(VALU_DEP_1)
	v_lshlrev_b32_e32 v18, 3, v18
	ds_store_b64 v18, v[9:10]
.LBB60_138:
	s_or_b32 exec_lo, exec_lo, s0
	v_and_b32_e32 v9, 1, v34
	s_mov_b32 s0, exec_lo
	s_delay_alu instid0(VALU_DEP_1)
	v_cmpx_eq_u32_e32 1, v9
	s_cbranch_execz .LBB60_140
; %bb.139:
	v_sub_nc_u32_e32 v9, v27, v15
	s_delay_alu instid0(VALU_DEP_1)
	v_lshlrev_b32_e32 v9, 3, v9
	ds_store_b64 v9, v[11:12]
.LBB60_140:
	s_or_b32 exec_lo, exec_lo, s0
	;; [unrolled: 12-line block ×6, first 2 shown]
	v_mov_b32_e32 v1, 0
	s_mov_b32 s1, exec_lo
	s_waitcnt lgkmcnt(0)
	s_waitcnt_vscnt null, 0x0
	s_barrier
	buffer_gl0_inv
	v_cmpx_gt_u64_e64 v[13:14], v[0:1]
	s_cbranch_execz .LBB60_151
; %bb.149:
	v_lshlrev_b64 v[4:5], 3, v[15:16]
	s_lshl_b64 s[8:9], s[6:7], 3
	v_dual_mov_b32 v3, v1 :: v_dual_mov_b32 v2, v0
	v_or_b32_e32 v0, 0x80, v0
	s_delay_alu instid0(VALU_DEP_3) | instskip(NEXT) | instid1(VALU_DEP_4)
	v_add_co_u32 v4, vcc_lo, s12, v4
	v_add_co_ci_u32_e32 v5, vcc_lo, s13, v5, vcc_lo
	s_delay_alu instid0(VALU_DEP_2) | instskip(NEXT) | instid1(VALU_DEP_2)
	v_add_co_u32 v4, vcc_lo, v4, s8
	v_add_co_ci_u32_e32 v5, vcc_lo, s9, v5, vcc_lo
	s_mov_b32 s8, 0
	.p2align	6
.LBB60_150:                             ; =>This Inner Loop Header: Depth=1
	v_lshlrev_b32_e32 v6, 3, v2
	v_lshlrev_b64 v[8:9], 3, v[2:3]
	v_mov_b32_e32 v3, v1
	v_cmp_le_u64_e32 vcc_lo, v[13:14], v[0:1]
	v_mov_b32_e32 v2, v0
	ds_load_b64 v[6:7], v6
	v_add_nc_u32_e32 v0, 0x80, v0
	v_add_co_u32 v8, s0, v4, v8
	s_delay_alu instid0(VALU_DEP_1)
	v_add_co_ci_u32_e64 v9, s0, v5, v9, s0
	s_or_b32 s8, vcc_lo, s8
	s_waitcnt lgkmcnt(0)
	global_store_b64 v[8:9], v[6:7], off
	s_and_not1_b32 exec_lo, exec_lo, s8
	s_cbranch_execnz .LBB60_150
.LBB60_151:
	s_or_b32 exec_lo, exec_lo, s1
	s_and_b32 s0, s2, s3
	s_delay_alu instid0(SALU_CYCLE_1)
	s_and_saveexec_b32 s1, s0
	s_cbranch_execz .LBB60_92
.LBB60_152:
	v_add_co_u32 v0, vcc_lo, v15, v13
	v_add_co_ci_u32_e32 v1, vcc_lo, v16, v14, vcc_lo
	v_mov_b32_e32 v2, 0
	s_delay_alu instid0(VALU_DEP_3) | instskip(NEXT) | instid1(VALU_DEP_3)
	v_add_co_u32 v0, vcc_lo, v0, s6
	v_add_co_ci_u32_e32 v1, vcc_lo, s7, v1, vcc_lo
	global_store_b64 v2, v[0:1], s[4:5]
	s_nop 0
	s_sendmsg sendmsg(MSG_DEALLOC_VGPRS)
	s_endpgm
	.section	.rodata,"a",@progbits
	.p2align	6, 0x0
	.amdhsa_kernel _ZN7rocprim17ROCPRIM_400000_NS6detail17trampoline_kernelINS0_14default_configENS1_25partition_config_selectorILNS1_17partition_subalgoE5ElNS0_10empty_typeEbEEZZNS1_14partition_implILS5_5ELb0ES3_mN6hipcub16HIPCUB_304000_NS21CountingInputIteratorIllEEPS6_NSA_22TransformInputIteratorIb7NonZeroIaEPalEENS0_5tupleIJPlS6_EEENSJ_IJSD_SD_EEES6_SK_JS6_EEE10hipError_tPvRmT3_T4_T5_T6_T7_T9_mT8_P12ihipStream_tbDpT10_ENKUlT_T0_E_clISt17integral_constantIbLb1EES16_EEDaS11_S12_EUlS11_E_NS1_11comp_targetILNS1_3genE9ELNS1_11target_archE1100ELNS1_3gpuE3ELNS1_3repE0EEENS1_30default_config_static_selectorELNS0_4arch9wavefront6targetE0EEEvT1_
		.amdhsa_group_segment_fixed_size 6160
		.amdhsa_private_segment_fixed_size 0
		.amdhsa_kernarg_size 136
		.amdhsa_user_sgpr_count 15
		.amdhsa_user_sgpr_dispatch_ptr 0
		.amdhsa_user_sgpr_queue_ptr 0
		.amdhsa_user_sgpr_kernarg_segment_ptr 1
		.amdhsa_user_sgpr_dispatch_id 0
		.amdhsa_user_sgpr_private_segment_size 0
		.amdhsa_wavefront_size32 1
		.amdhsa_uses_dynamic_stack 0
		.amdhsa_enable_private_segment 0
		.amdhsa_system_sgpr_workgroup_id_x 1
		.amdhsa_system_sgpr_workgroup_id_y 0
		.amdhsa_system_sgpr_workgroup_id_z 0
		.amdhsa_system_sgpr_workgroup_info 0
		.amdhsa_system_vgpr_workitem_id 0
		.amdhsa_next_free_vgpr 57
		.amdhsa_next_free_sgpr 23
		.amdhsa_reserve_vcc 1
		.amdhsa_float_round_mode_32 0
		.amdhsa_float_round_mode_16_64 0
		.amdhsa_float_denorm_mode_32 3
		.amdhsa_float_denorm_mode_16_64 3
		.amdhsa_dx10_clamp 1
		.amdhsa_ieee_mode 1
		.amdhsa_fp16_overflow 0
		.amdhsa_workgroup_processor_mode 1
		.amdhsa_memory_ordered 1
		.amdhsa_forward_progress 0
		.amdhsa_shared_vgpr_count 0
		.amdhsa_exception_fp_ieee_invalid_op 0
		.amdhsa_exception_fp_denorm_src 0
		.amdhsa_exception_fp_ieee_div_zero 0
		.amdhsa_exception_fp_ieee_overflow 0
		.amdhsa_exception_fp_ieee_underflow 0
		.amdhsa_exception_fp_ieee_inexact 0
		.amdhsa_exception_int_div_zero 0
	.end_amdhsa_kernel
	.section	.text._ZN7rocprim17ROCPRIM_400000_NS6detail17trampoline_kernelINS0_14default_configENS1_25partition_config_selectorILNS1_17partition_subalgoE5ElNS0_10empty_typeEbEEZZNS1_14partition_implILS5_5ELb0ES3_mN6hipcub16HIPCUB_304000_NS21CountingInputIteratorIllEEPS6_NSA_22TransformInputIteratorIb7NonZeroIaEPalEENS0_5tupleIJPlS6_EEENSJ_IJSD_SD_EEES6_SK_JS6_EEE10hipError_tPvRmT3_T4_T5_T6_T7_T9_mT8_P12ihipStream_tbDpT10_ENKUlT_T0_E_clISt17integral_constantIbLb1EES16_EEDaS11_S12_EUlS11_E_NS1_11comp_targetILNS1_3genE9ELNS1_11target_archE1100ELNS1_3gpuE3ELNS1_3repE0EEENS1_30default_config_static_selectorELNS0_4arch9wavefront6targetE0EEEvT1_,"axG",@progbits,_ZN7rocprim17ROCPRIM_400000_NS6detail17trampoline_kernelINS0_14default_configENS1_25partition_config_selectorILNS1_17partition_subalgoE5ElNS0_10empty_typeEbEEZZNS1_14partition_implILS5_5ELb0ES3_mN6hipcub16HIPCUB_304000_NS21CountingInputIteratorIllEEPS6_NSA_22TransformInputIteratorIb7NonZeroIaEPalEENS0_5tupleIJPlS6_EEENSJ_IJSD_SD_EEES6_SK_JS6_EEE10hipError_tPvRmT3_T4_T5_T6_T7_T9_mT8_P12ihipStream_tbDpT10_ENKUlT_T0_E_clISt17integral_constantIbLb1EES16_EEDaS11_S12_EUlS11_E_NS1_11comp_targetILNS1_3genE9ELNS1_11target_archE1100ELNS1_3gpuE3ELNS1_3repE0EEENS1_30default_config_static_selectorELNS0_4arch9wavefront6targetE0EEEvT1_,comdat
.Lfunc_end60:
	.size	_ZN7rocprim17ROCPRIM_400000_NS6detail17trampoline_kernelINS0_14default_configENS1_25partition_config_selectorILNS1_17partition_subalgoE5ElNS0_10empty_typeEbEEZZNS1_14partition_implILS5_5ELb0ES3_mN6hipcub16HIPCUB_304000_NS21CountingInputIteratorIllEEPS6_NSA_22TransformInputIteratorIb7NonZeroIaEPalEENS0_5tupleIJPlS6_EEENSJ_IJSD_SD_EEES6_SK_JS6_EEE10hipError_tPvRmT3_T4_T5_T6_T7_T9_mT8_P12ihipStream_tbDpT10_ENKUlT_T0_E_clISt17integral_constantIbLb1EES16_EEDaS11_S12_EUlS11_E_NS1_11comp_targetILNS1_3genE9ELNS1_11target_archE1100ELNS1_3gpuE3ELNS1_3repE0EEENS1_30default_config_static_selectorELNS0_4arch9wavefront6targetE0EEEvT1_, .Lfunc_end60-_ZN7rocprim17ROCPRIM_400000_NS6detail17trampoline_kernelINS0_14default_configENS1_25partition_config_selectorILNS1_17partition_subalgoE5ElNS0_10empty_typeEbEEZZNS1_14partition_implILS5_5ELb0ES3_mN6hipcub16HIPCUB_304000_NS21CountingInputIteratorIllEEPS6_NSA_22TransformInputIteratorIb7NonZeroIaEPalEENS0_5tupleIJPlS6_EEENSJ_IJSD_SD_EEES6_SK_JS6_EEE10hipError_tPvRmT3_T4_T5_T6_T7_T9_mT8_P12ihipStream_tbDpT10_ENKUlT_T0_E_clISt17integral_constantIbLb1EES16_EEDaS11_S12_EUlS11_E_NS1_11comp_targetILNS1_3genE9ELNS1_11target_archE1100ELNS1_3gpuE3ELNS1_3repE0EEENS1_30default_config_static_selectorELNS0_4arch9wavefront6targetE0EEEvT1_
                                        ; -- End function
	.section	.AMDGPU.csdata,"",@progbits
; Kernel info:
; codeLenInByte = 6568
; NumSgprs: 25
; NumVgprs: 57
; ScratchSize: 0
; MemoryBound: 0
; FloatMode: 240
; IeeeMode: 1
; LDSByteSize: 6160 bytes/workgroup (compile time only)
; SGPRBlocks: 3
; VGPRBlocks: 7
; NumSGPRsForWavesPerEU: 25
; NumVGPRsForWavesPerEU: 57
; Occupancy: 16
; WaveLimiterHint : 1
; COMPUTE_PGM_RSRC2:SCRATCH_EN: 0
; COMPUTE_PGM_RSRC2:USER_SGPR: 15
; COMPUTE_PGM_RSRC2:TRAP_HANDLER: 0
; COMPUTE_PGM_RSRC2:TGID_X_EN: 1
; COMPUTE_PGM_RSRC2:TGID_Y_EN: 0
; COMPUTE_PGM_RSRC2:TGID_Z_EN: 0
; COMPUTE_PGM_RSRC2:TIDIG_COMP_CNT: 0
	.section	.text._ZN7rocprim17ROCPRIM_400000_NS6detail17trampoline_kernelINS0_14default_configENS1_25partition_config_selectorILNS1_17partition_subalgoE5ElNS0_10empty_typeEbEEZZNS1_14partition_implILS5_5ELb0ES3_mN6hipcub16HIPCUB_304000_NS21CountingInputIteratorIllEEPS6_NSA_22TransformInputIteratorIb7NonZeroIaEPalEENS0_5tupleIJPlS6_EEENSJ_IJSD_SD_EEES6_SK_JS6_EEE10hipError_tPvRmT3_T4_T5_T6_T7_T9_mT8_P12ihipStream_tbDpT10_ENKUlT_T0_E_clISt17integral_constantIbLb1EES16_EEDaS11_S12_EUlS11_E_NS1_11comp_targetILNS1_3genE8ELNS1_11target_archE1030ELNS1_3gpuE2ELNS1_3repE0EEENS1_30default_config_static_selectorELNS0_4arch9wavefront6targetE0EEEvT1_,"axG",@progbits,_ZN7rocprim17ROCPRIM_400000_NS6detail17trampoline_kernelINS0_14default_configENS1_25partition_config_selectorILNS1_17partition_subalgoE5ElNS0_10empty_typeEbEEZZNS1_14partition_implILS5_5ELb0ES3_mN6hipcub16HIPCUB_304000_NS21CountingInputIteratorIllEEPS6_NSA_22TransformInputIteratorIb7NonZeroIaEPalEENS0_5tupleIJPlS6_EEENSJ_IJSD_SD_EEES6_SK_JS6_EEE10hipError_tPvRmT3_T4_T5_T6_T7_T9_mT8_P12ihipStream_tbDpT10_ENKUlT_T0_E_clISt17integral_constantIbLb1EES16_EEDaS11_S12_EUlS11_E_NS1_11comp_targetILNS1_3genE8ELNS1_11target_archE1030ELNS1_3gpuE2ELNS1_3repE0EEENS1_30default_config_static_selectorELNS0_4arch9wavefront6targetE0EEEvT1_,comdat
	.protected	_ZN7rocprim17ROCPRIM_400000_NS6detail17trampoline_kernelINS0_14default_configENS1_25partition_config_selectorILNS1_17partition_subalgoE5ElNS0_10empty_typeEbEEZZNS1_14partition_implILS5_5ELb0ES3_mN6hipcub16HIPCUB_304000_NS21CountingInputIteratorIllEEPS6_NSA_22TransformInputIteratorIb7NonZeroIaEPalEENS0_5tupleIJPlS6_EEENSJ_IJSD_SD_EEES6_SK_JS6_EEE10hipError_tPvRmT3_T4_T5_T6_T7_T9_mT8_P12ihipStream_tbDpT10_ENKUlT_T0_E_clISt17integral_constantIbLb1EES16_EEDaS11_S12_EUlS11_E_NS1_11comp_targetILNS1_3genE8ELNS1_11target_archE1030ELNS1_3gpuE2ELNS1_3repE0EEENS1_30default_config_static_selectorELNS0_4arch9wavefront6targetE0EEEvT1_ ; -- Begin function _ZN7rocprim17ROCPRIM_400000_NS6detail17trampoline_kernelINS0_14default_configENS1_25partition_config_selectorILNS1_17partition_subalgoE5ElNS0_10empty_typeEbEEZZNS1_14partition_implILS5_5ELb0ES3_mN6hipcub16HIPCUB_304000_NS21CountingInputIteratorIllEEPS6_NSA_22TransformInputIteratorIb7NonZeroIaEPalEENS0_5tupleIJPlS6_EEENSJ_IJSD_SD_EEES6_SK_JS6_EEE10hipError_tPvRmT3_T4_T5_T6_T7_T9_mT8_P12ihipStream_tbDpT10_ENKUlT_T0_E_clISt17integral_constantIbLb1EES16_EEDaS11_S12_EUlS11_E_NS1_11comp_targetILNS1_3genE8ELNS1_11target_archE1030ELNS1_3gpuE2ELNS1_3repE0EEENS1_30default_config_static_selectorELNS0_4arch9wavefront6targetE0EEEvT1_
	.globl	_ZN7rocprim17ROCPRIM_400000_NS6detail17trampoline_kernelINS0_14default_configENS1_25partition_config_selectorILNS1_17partition_subalgoE5ElNS0_10empty_typeEbEEZZNS1_14partition_implILS5_5ELb0ES3_mN6hipcub16HIPCUB_304000_NS21CountingInputIteratorIllEEPS6_NSA_22TransformInputIteratorIb7NonZeroIaEPalEENS0_5tupleIJPlS6_EEENSJ_IJSD_SD_EEES6_SK_JS6_EEE10hipError_tPvRmT3_T4_T5_T6_T7_T9_mT8_P12ihipStream_tbDpT10_ENKUlT_T0_E_clISt17integral_constantIbLb1EES16_EEDaS11_S12_EUlS11_E_NS1_11comp_targetILNS1_3genE8ELNS1_11target_archE1030ELNS1_3gpuE2ELNS1_3repE0EEENS1_30default_config_static_selectorELNS0_4arch9wavefront6targetE0EEEvT1_
	.p2align	8
	.type	_ZN7rocprim17ROCPRIM_400000_NS6detail17trampoline_kernelINS0_14default_configENS1_25partition_config_selectorILNS1_17partition_subalgoE5ElNS0_10empty_typeEbEEZZNS1_14partition_implILS5_5ELb0ES3_mN6hipcub16HIPCUB_304000_NS21CountingInputIteratorIllEEPS6_NSA_22TransformInputIteratorIb7NonZeroIaEPalEENS0_5tupleIJPlS6_EEENSJ_IJSD_SD_EEES6_SK_JS6_EEE10hipError_tPvRmT3_T4_T5_T6_T7_T9_mT8_P12ihipStream_tbDpT10_ENKUlT_T0_E_clISt17integral_constantIbLb1EES16_EEDaS11_S12_EUlS11_E_NS1_11comp_targetILNS1_3genE8ELNS1_11target_archE1030ELNS1_3gpuE2ELNS1_3repE0EEENS1_30default_config_static_selectorELNS0_4arch9wavefront6targetE0EEEvT1_,@function
_ZN7rocprim17ROCPRIM_400000_NS6detail17trampoline_kernelINS0_14default_configENS1_25partition_config_selectorILNS1_17partition_subalgoE5ElNS0_10empty_typeEbEEZZNS1_14partition_implILS5_5ELb0ES3_mN6hipcub16HIPCUB_304000_NS21CountingInputIteratorIllEEPS6_NSA_22TransformInputIteratorIb7NonZeroIaEPalEENS0_5tupleIJPlS6_EEENSJ_IJSD_SD_EEES6_SK_JS6_EEE10hipError_tPvRmT3_T4_T5_T6_T7_T9_mT8_P12ihipStream_tbDpT10_ENKUlT_T0_E_clISt17integral_constantIbLb1EES16_EEDaS11_S12_EUlS11_E_NS1_11comp_targetILNS1_3genE8ELNS1_11target_archE1030ELNS1_3gpuE2ELNS1_3repE0EEENS1_30default_config_static_selectorELNS0_4arch9wavefront6targetE0EEEvT1_: ; @_ZN7rocprim17ROCPRIM_400000_NS6detail17trampoline_kernelINS0_14default_configENS1_25partition_config_selectorILNS1_17partition_subalgoE5ElNS0_10empty_typeEbEEZZNS1_14partition_implILS5_5ELb0ES3_mN6hipcub16HIPCUB_304000_NS21CountingInputIteratorIllEEPS6_NSA_22TransformInputIteratorIb7NonZeroIaEPalEENS0_5tupleIJPlS6_EEENSJ_IJSD_SD_EEES6_SK_JS6_EEE10hipError_tPvRmT3_T4_T5_T6_T7_T9_mT8_P12ihipStream_tbDpT10_ENKUlT_T0_E_clISt17integral_constantIbLb1EES16_EEDaS11_S12_EUlS11_E_NS1_11comp_targetILNS1_3genE8ELNS1_11target_archE1030ELNS1_3gpuE2ELNS1_3repE0EEENS1_30default_config_static_selectorELNS0_4arch9wavefront6targetE0EEEvT1_
; %bb.0:
	.section	.rodata,"a",@progbits
	.p2align	6, 0x0
	.amdhsa_kernel _ZN7rocprim17ROCPRIM_400000_NS6detail17trampoline_kernelINS0_14default_configENS1_25partition_config_selectorILNS1_17partition_subalgoE5ElNS0_10empty_typeEbEEZZNS1_14partition_implILS5_5ELb0ES3_mN6hipcub16HIPCUB_304000_NS21CountingInputIteratorIllEEPS6_NSA_22TransformInputIteratorIb7NonZeroIaEPalEENS0_5tupleIJPlS6_EEENSJ_IJSD_SD_EEES6_SK_JS6_EEE10hipError_tPvRmT3_T4_T5_T6_T7_T9_mT8_P12ihipStream_tbDpT10_ENKUlT_T0_E_clISt17integral_constantIbLb1EES16_EEDaS11_S12_EUlS11_E_NS1_11comp_targetILNS1_3genE8ELNS1_11target_archE1030ELNS1_3gpuE2ELNS1_3repE0EEENS1_30default_config_static_selectorELNS0_4arch9wavefront6targetE0EEEvT1_
		.amdhsa_group_segment_fixed_size 0
		.amdhsa_private_segment_fixed_size 0
		.amdhsa_kernarg_size 136
		.amdhsa_user_sgpr_count 15
		.amdhsa_user_sgpr_dispatch_ptr 0
		.amdhsa_user_sgpr_queue_ptr 0
		.amdhsa_user_sgpr_kernarg_segment_ptr 1
		.amdhsa_user_sgpr_dispatch_id 0
		.amdhsa_user_sgpr_private_segment_size 0
		.amdhsa_wavefront_size32 1
		.amdhsa_uses_dynamic_stack 0
		.amdhsa_enable_private_segment 0
		.amdhsa_system_sgpr_workgroup_id_x 1
		.amdhsa_system_sgpr_workgroup_id_y 0
		.amdhsa_system_sgpr_workgroup_id_z 0
		.amdhsa_system_sgpr_workgroup_info 0
		.amdhsa_system_vgpr_workitem_id 0
		.amdhsa_next_free_vgpr 1
		.amdhsa_next_free_sgpr 1
		.amdhsa_reserve_vcc 0
		.amdhsa_float_round_mode_32 0
		.amdhsa_float_round_mode_16_64 0
		.amdhsa_float_denorm_mode_32 3
		.amdhsa_float_denorm_mode_16_64 3
		.amdhsa_dx10_clamp 1
		.amdhsa_ieee_mode 1
		.amdhsa_fp16_overflow 0
		.amdhsa_workgroup_processor_mode 1
		.amdhsa_memory_ordered 1
		.amdhsa_forward_progress 0
		.amdhsa_shared_vgpr_count 0
		.amdhsa_exception_fp_ieee_invalid_op 0
		.amdhsa_exception_fp_denorm_src 0
		.amdhsa_exception_fp_ieee_div_zero 0
		.amdhsa_exception_fp_ieee_overflow 0
		.amdhsa_exception_fp_ieee_underflow 0
		.amdhsa_exception_fp_ieee_inexact 0
		.amdhsa_exception_int_div_zero 0
	.end_amdhsa_kernel
	.section	.text._ZN7rocprim17ROCPRIM_400000_NS6detail17trampoline_kernelINS0_14default_configENS1_25partition_config_selectorILNS1_17partition_subalgoE5ElNS0_10empty_typeEbEEZZNS1_14partition_implILS5_5ELb0ES3_mN6hipcub16HIPCUB_304000_NS21CountingInputIteratorIllEEPS6_NSA_22TransformInputIteratorIb7NonZeroIaEPalEENS0_5tupleIJPlS6_EEENSJ_IJSD_SD_EEES6_SK_JS6_EEE10hipError_tPvRmT3_T4_T5_T6_T7_T9_mT8_P12ihipStream_tbDpT10_ENKUlT_T0_E_clISt17integral_constantIbLb1EES16_EEDaS11_S12_EUlS11_E_NS1_11comp_targetILNS1_3genE8ELNS1_11target_archE1030ELNS1_3gpuE2ELNS1_3repE0EEENS1_30default_config_static_selectorELNS0_4arch9wavefront6targetE0EEEvT1_,"axG",@progbits,_ZN7rocprim17ROCPRIM_400000_NS6detail17trampoline_kernelINS0_14default_configENS1_25partition_config_selectorILNS1_17partition_subalgoE5ElNS0_10empty_typeEbEEZZNS1_14partition_implILS5_5ELb0ES3_mN6hipcub16HIPCUB_304000_NS21CountingInputIteratorIllEEPS6_NSA_22TransformInputIteratorIb7NonZeroIaEPalEENS0_5tupleIJPlS6_EEENSJ_IJSD_SD_EEES6_SK_JS6_EEE10hipError_tPvRmT3_T4_T5_T6_T7_T9_mT8_P12ihipStream_tbDpT10_ENKUlT_T0_E_clISt17integral_constantIbLb1EES16_EEDaS11_S12_EUlS11_E_NS1_11comp_targetILNS1_3genE8ELNS1_11target_archE1030ELNS1_3gpuE2ELNS1_3repE0EEENS1_30default_config_static_selectorELNS0_4arch9wavefront6targetE0EEEvT1_,comdat
.Lfunc_end61:
	.size	_ZN7rocprim17ROCPRIM_400000_NS6detail17trampoline_kernelINS0_14default_configENS1_25partition_config_selectorILNS1_17partition_subalgoE5ElNS0_10empty_typeEbEEZZNS1_14partition_implILS5_5ELb0ES3_mN6hipcub16HIPCUB_304000_NS21CountingInputIteratorIllEEPS6_NSA_22TransformInputIteratorIb7NonZeroIaEPalEENS0_5tupleIJPlS6_EEENSJ_IJSD_SD_EEES6_SK_JS6_EEE10hipError_tPvRmT3_T4_T5_T6_T7_T9_mT8_P12ihipStream_tbDpT10_ENKUlT_T0_E_clISt17integral_constantIbLb1EES16_EEDaS11_S12_EUlS11_E_NS1_11comp_targetILNS1_3genE8ELNS1_11target_archE1030ELNS1_3gpuE2ELNS1_3repE0EEENS1_30default_config_static_selectorELNS0_4arch9wavefront6targetE0EEEvT1_, .Lfunc_end61-_ZN7rocprim17ROCPRIM_400000_NS6detail17trampoline_kernelINS0_14default_configENS1_25partition_config_selectorILNS1_17partition_subalgoE5ElNS0_10empty_typeEbEEZZNS1_14partition_implILS5_5ELb0ES3_mN6hipcub16HIPCUB_304000_NS21CountingInputIteratorIllEEPS6_NSA_22TransformInputIteratorIb7NonZeroIaEPalEENS0_5tupleIJPlS6_EEENSJ_IJSD_SD_EEES6_SK_JS6_EEE10hipError_tPvRmT3_T4_T5_T6_T7_T9_mT8_P12ihipStream_tbDpT10_ENKUlT_T0_E_clISt17integral_constantIbLb1EES16_EEDaS11_S12_EUlS11_E_NS1_11comp_targetILNS1_3genE8ELNS1_11target_archE1030ELNS1_3gpuE2ELNS1_3repE0EEENS1_30default_config_static_selectorELNS0_4arch9wavefront6targetE0EEEvT1_
                                        ; -- End function
	.section	.AMDGPU.csdata,"",@progbits
; Kernel info:
; codeLenInByte = 0
; NumSgprs: 0
; NumVgprs: 0
; ScratchSize: 0
; MemoryBound: 0
; FloatMode: 240
; IeeeMode: 1
; LDSByteSize: 0 bytes/workgroup (compile time only)
; SGPRBlocks: 0
; VGPRBlocks: 0
; NumSGPRsForWavesPerEU: 1
; NumVGPRsForWavesPerEU: 1
; Occupancy: 16
; WaveLimiterHint : 0
; COMPUTE_PGM_RSRC2:SCRATCH_EN: 0
; COMPUTE_PGM_RSRC2:USER_SGPR: 15
; COMPUTE_PGM_RSRC2:TRAP_HANDLER: 0
; COMPUTE_PGM_RSRC2:TGID_X_EN: 1
; COMPUTE_PGM_RSRC2:TGID_Y_EN: 0
; COMPUTE_PGM_RSRC2:TGID_Z_EN: 0
; COMPUTE_PGM_RSRC2:TIDIG_COMP_CNT: 0
	.section	.text._ZN7rocprim17ROCPRIM_400000_NS6detail31init_lookback_scan_state_kernelINS1_19lookback_scan_stateImLb1ELb1EEENS1_16block_id_wrapperIjLb0EEEEEvT_jT0_jPNS7_10value_typeE,"axG",@progbits,_ZN7rocprim17ROCPRIM_400000_NS6detail31init_lookback_scan_state_kernelINS1_19lookback_scan_stateImLb1ELb1EEENS1_16block_id_wrapperIjLb0EEEEEvT_jT0_jPNS7_10value_typeE,comdat
	.protected	_ZN7rocprim17ROCPRIM_400000_NS6detail31init_lookback_scan_state_kernelINS1_19lookback_scan_stateImLb1ELb1EEENS1_16block_id_wrapperIjLb0EEEEEvT_jT0_jPNS7_10value_typeE ; -- Begin function _ZN7rocprim17ROCPRIM_400000_NS6detail31init_lookback_scan_state_kernelINS1_19lookback_scan_stateImLb1ELb1EEENS1_16block_id_wrapperIjLb0EEEEEvT_jT0_jPNS7_10value_typeE
	.globl	_ZN7rocprim17ROCPRIM_400000_NS6detail31init_lookback_scan_state_kernelINS1_19lookback_scan_stateImLb1ELb1EEENS1_16block_id_wrapperIjLb0EEEEEvT_jT0_jPNS7_10value_typeE
	.p2align	8
	.type	_ZN7rocprim17ROCPRIM_400000_NS6detail31init_lookback_scan_state_kernelINS1_19lookback_scan_stateImLb1ELb1EEENS1_16block_id_wrapperIjLb0EEEEEvT_jT0_jPNS7_10value_typeE,@function
_ZN7rocprim17ROCPRIM_400000_NS6detail31init_lookback_scan_state_kernelINS1_19lookback_scan_stateImLb1ELb1EEENS1_16block_id_wrapperIjLb0EEEEEvT_jT0_jPNS7_10value_typeE: ; @_ZN7rocprim17ROCPRIM_400000_NS6detail31init_lookback_scan_state_kernelINS1_19lookback_scan_stateImLb1ELb1EEENS1_16block_id_wrapperIjLb0EEEEEvT_jT0_jPNS7_10value_typeE
; %bb.0:
	s_clause 0x3
	s_load_b32 s7, s[0:1], 0x2c
	s_load_b64 s[4:5], s[0:1], 0x18
	s_load_b64 s[2:3], s[0:1], 0x0
	s_load_b32 s6, s[0:1], 0x8
	s_waitcnt lgkmcnt(0)
	s_and_b32 s7, s7, 0xffff
	s_cmp_eq_u64 s[4:5], 0
	v_mad_u64_u32 v[1:2], null, s15, s7, v[0:1]
	s_cbranch_scc1 .LBB62_10
; %bb.1:
	s_load_b32 s0, s[0:1], 0x10
	s_waitcnt lgkmcnt(0)
	s_cmp_lt_u32 s0, s6
	s_cselect_b32 s1, s0, 0
	s_delay_alu instid0(VALU_DEP_1) | instid1(SALU_CYCLE_1)
	v_cmp_eq_u32_e32 vcc_lo, s1, v1
	s_mov_b32 s1, 0
	s_and_saveexec_b32 s7, vcc_lo
	s_cbranch_execz .LBB62_9
; %bb.2:
	s_add_i32 s0, s0, 32
	s_mov_b32 s8, exec_lo
	s_lshl_b64 s[0:1], s[0:1], 4
	v_mov_b32_e32 v6, 0
	s_add_u32 s0, s2, s0
	s_addc_u32 s1, s3, s1
	s_delay_alu instid0(SALU_CYCLE_1) | instskip(SKIP_2) | instid1(VALU_DEP_1)
	v_dual_mov_b32 v3, s1 :: v_dual_mov_b32 v2, s0
	;;#ASMSTART
	global_load_dwordx4 v[2:5], v[2:3] off glc	
s_waitcnt vmcnt(0)
	;;#ASMEND
	v_and_b32_e32 v5, 0xff, v4
	v_cmpx_eq_u64_e32 0, v[5:6]
	s_cbranch_execz .LBB62_8
; %bb.3:
	v_dual_mov_b32 v8, s1 :: v_dual_mov_b32 v7, s0
	s_mov_b32 s1, 1
	s_mov_b32 s0, 0
	.p2align	6
.LBB62_4:                               ; =>This Loop Header: Depth=1
                                        ;     Child Loop BB62_5 Depth 2
	s_max_u32 s9, s1, 1
.LBB62_5:                               ;   Parent Loop BB62_4 Depth=1
                                        ; =>  This Inner Loop Header: Depth=2
	s_delay_alu instid0(SALU_CYCLE_1)
	s_add_i32 s9, s9, -1
	s_sleep 1
	s_cmp_eq_u32 s9, 0
	s_cbranch_scc0 .LBB62_5
; %bb.6:                                ;   in Loop: Header=BB62_4 Depth=1
	;;#ASMSTART
	global_load_dwordx4 v[2:5], v[7:8] off glc	
s_waitcnt vmcnt(0)
	;;#ASMEND
	v_and_b32_e32 v5, 0xff, v4
	s_cmp_lt_u32 s1, 32
	s_cselect_b32 s9, -1, 0
	s_delay_alu instid0(SALU_CYCLE_1) | instskip(NEXT) | instid1(VALU_DEP_1)
	s_cmp_lg_u32 s9, 0
	v_cmp_ne_u64_e32 vcc_lo, 0, v[5:6]
	s_addc_u32 s1, s1, 0
	s_or_b32 s0, vcc_lo, s0
	s_delay_alu instid0(SALU_CYCLE_1)
	s_and_not1_b32 exec_lo, exec_lo, s0
	s_cbranch_execnz .LBB62_4
; %bb.7:
	s_or_b32 exec_lo, exec_lo, s0
.LBB62_8:
	s_delay_alu instid0(SALU_CYCLE_1)
	s_or_b32 exec_lo, exec_lo, s8
	v_mov_b32_e32 v0, 0
	global_store_b64 v0, v[2:3], s[4:5]
.LBB62_9:
	s_or_b32 exec_lo, exec_lo, s7
.LBB62_10:
	s_delay_alu instid0(SALU_CYCLE_1) | instskip(NEXT) | instid1(VALU_DEP_1)
	s_mov_b32 s0, exec_lo
	v_cmpx_gt_u32_e64 s6, v1
	s_cbranch_execz .LBB62_12
; %bb.11:
	v_dual_mov_b32 v3, 0 :: v_dual_add_nc_u32 v2, 32, v1
	s_delay_alu instid0(VALU_DEP_1) | instskip(SKIP_2) | instid1(VALU_DEP_3)
	v_lshlrev_b64 v[5:6], 4, v[2:3]
	v_mov_b32_e32 v2, v3
	v_mov_b32_e32 v4, v3
	v_add_co_u32 v7, vcc_lo, s2, v5
	s_delay_alu instid0(VALU_DEP_4)
	v_add_co_ci_u32_e32 v8, vcc_lo, s3, v6, vcc_lo
	v_mov_b32_e32 v5, v3
	global_store_b128 v[7:8], v[2:5], off
.LBB62_12:
	s_or_b32 exec_lo, exec_lo, s0
	s_delay_alu instid0(SALU_CYCLE_1)
	s_mov_b32 s0, exec_lo
	v_cmpx_gt_u32_e32 32, v1
	s_cbranch_execz .LBB62_14
; %bb.13:
	v_dual_mov_b32 v2, 0 :: v_dual_mov_b32 v3, 0xff
	s_delay_alu instid0(VALU_DEP_1) | instskip(SKIP_1) | instid1(VALU_DEP_2)
	v_lshlrev_b64 v[4:5], 4, v[1:2]
	v_mov_b32_e32 v1, v2
	v_add_co_u32 v6, vcc_lo, s2, v4
	s_delay_alu instid0(VALU_DEP_3)
	v_add_co_ci_u32_e32 v7, vcc_lo, s3, v5, vcc_lo
	v_mov_b32_e32 v4, v2
	global_store_b128 v[6:7], v[1:4], off
.LBB62_14:
	s_nop 0
	s_sendmsg sendmsg(MSG_DEALLOC_VGPRS)
	s_endpgm
	.section	.rodata,"a",@progbits
	.p2align	6, 0x0
	.amdhsa_kernel _ZN7rocprim17ROCPRIM_400000_NS6detail31init_lookback_scan_state_kernelINS1_19lookback_scan_stateImLb1ELb1EEENS1_16block_id_wrapperIjLb0EEEEEvT_jT0_jPNS7_10value_typeE
		.amdhsa_group_segment_fixed_size 0
		.amdhsa_private_segment_fixed_size 0
		.amdhsa_kernarg_size 288
		.amdhsa_user_sgpr_count 15
		.amdhsa_user_sgpr_dispatch_ptr 0
		.amdhsa_user_sgpr_queue_ptr 0
		.amdhsa_user_sgpr_kernarg_segment_ptr 1
		.amdhsa_user_sgpr_dispatch_id 0
		.amdhsa_user_sgpr_private_segment_size 0
		.amdhsa_wavefront_size32 1
		.amdhsa_uses_dynamic_stack 0
		.amdhsa_enable_private_segment 0
		.amdhsa_system_sgpr_workgroup_id_x 1
		.amdhsa_system_sgpr_workgroup_id_y 0
		.amdhsa_system_sgpr_workgroup_id_z 0
		.amdhsa_system_sgpr_workgroup_info 0
		.amdhsa_system_vgpr_workitem_id 0
		.amdhsa_next_free_vgpr 9
		.amdhsa_next_free_sgpr 16
		.amdhsa_reserve_vcc 1
		.amdhsa_float_round_mode_32 0
		.amdhsa_float_round_mode_16_64 0
		.amdhsa_float_denorm_mode_32 3
		.amdhsa_float_denorm_mode_16_64 3
		.amdhsa_dx10_clamp 1
		.amdhsa_ieee_mode 1
		.amdhsa_fp16_overflow 0
		.amdhsa_workgroup_processor_mode 1
		.amdhsa_memory_ordered 1
		.amdhsa_forward_progress 0
		.amdhsa_shared_vgpr_count 0
		.amdhsa_exception_fp_ieee_invalid_op 0
		.amdhsa_exception_fp_denorm_src 0
		.amdhsa_exception_fp_ieee_div_zero 0
		.amdhsa_exception_fp_ieee_overflow 0
		.amdhsa_exception_fp_ieee_underflow 0
		.amdhsa_exception_fp_ieee_inexact 0
		.amdhsa_exception_int_div_zero 0
	.end_amdhsa_kernel
	.section	.text._ZN7rocprim17ROCPRIM_400000_NS6detail31init_lookback_scan_state_kernelINS1_19lookback_scan_stateImLb1ELb1EEENS1_16block_id_wrapperIjLb0EEEEEvT_jT0_jPNS7_10value_typeE,"axG",@progbits,_ZN7rocprim17ROCPRIM_400000_NS6detail31init_lookback_scan_state_kernelINS1_19lookback_scan_stateImLb1ELb1EEENS1_16block_id_wrapperIjLb0EEEEEvT_jT0_jPNS7_10value_typeE,comdat
.Lfunc_end62:
	.size	_ZN7rocprim17ROCPRIM_400000_NS6detail31init_lookback_scan_state_kernelINS1_19lookback_scan_stateImLb1ELb1EEENS1_16block_id_wrapperIjLb0EEEEEvT_jT0_jPNS7_10value_typeE, .Lfunc_end62-_ZN7rocprim17ROCPRIM_400000_NS6detail31init_lookback_scan_state_kernelINS1_19lookback_scan_stateImLb1ELb1EEENS1_16block_id_wrapperIjLb0EEEEEvT_jT0_jPNS7_10value_typeE
                                        ; -- End function
	.section	.AMDGPU.csdata,"",@progbits
; Kernel info:
; codeLenInByte = 516
; NumSgprs: 18
; NumVgprs: 9
; ScratchSize: 0
; MemoryBound: 0
; FloatMode: 240
; IeeeMode: 1
; LDSByteSize: 0 bytes/workgroup (compile time only)
; SGPRBlocks: 2
; VGPRBlocks: 1
; NumSGPRsForWavesPerEU: 18
; NumVGPRsForWavesPerEU: 9
; Occupancy: 16
; WaveLimiterHint : 0
; COMPUTE_PGM_RSRC2:SCRATCH_EN: 0
; COMPUTE_PGM_RSRC2:USER_SGPR: 15
; COMPUTE_PGM_RSRC2:TRAP_HANDLER: 0
; COMPUTE_PGM_RSRC2:TGID_X_EN: 1
; COMPUTE_PGM_RSRC2:TGID_Y_EN: 0
; COMPUTE_PGM_RSRC2:TGID_Z_EN: 0
; COMPUTE_PGM_RSRC2:TIDIG_COMP_CNT: 0
	.section	.text._ZN7rocprim17ROCPRIM_400000_NS6detail17trampoline_kernelINS0_14default_configENS1_25partition_config_selectorILNS1_17partition_subalgoE5ElNS0_10empty_typeEbEEZZNS1_14partition_implILS5_5ELb0ES3_mN6hipcub16HIPCUB_304000_NS21CountingInputIteratorIllEEPS6_NSA_22TransformInputIteratorIb7NonZeroIaEPalEENS0_5tupleIJPlS6_EEENSJ_IJSD_SD_EEES6_SK_JS6_EEE10hipError_tPvRmT3_T4_T5_T6_T7_T9_mT8_P12ihipStream_tbDpT10_ENKUlT_T0_E_clISt17integral_constantIbLb1EES15_IbLb0EEEEDaS11_S12_EUlS11_E_NS1_11comp_targetILNS1_3genE0ELNS1_11target_archE4294967295ELNS1_3gpuE0ELNS1_3repE0EEENS1_30default_config_static_selectorELNS0_4arch9wavefront6targetE0EEEvT1_,"axG",@progbits,_ZN7rocprim17ROCPRIM_400000_NS6detail17trampoline_kernelINS0_14default_configENS1_25partition_config_selectorILNS1_17partition_subalgoE5ElNS0_10empty_typeEbEEZZNS1_14partition_implILS5_5ELb0ES3_mN6hipcub16HIPCUB_304000_NS21CountingInputIteratorIllEEPS6_NSA_22TransformInputIteratorIb7NonZeroIaEPalEENS0_5tupleIJPlS6_EEENSJ_IJSD_SD_EEES6_SK_JS6_EEE10hipError_tPvRmT3_T4_T5_T6_T7_T9_mT8_P12ihipStream_tbDpT10_ENKUlT_T0_E_clISt17integral_constantIbLb1EES15_IbLb0EEEEDaS11_S12_EUlS11_E_NS1_11comp_targetILNS1_3genE0ELNS1_11target_archE4294967295ELNS1_3gpuE0ELNS1_3repE0EEENS1_30default_config_static_selectorELNS0_4arch9wavefront6targetE0EEEvT1_,comdat
	.protected	_ZN7rocprim17ROCPRIM_400000_NS6detail17trampoline_kernelINS0_14default_configENS1_25partition_config_selectorILNS1_17partition_subalgoE5ElNS0_10empty_typeEbEEZZNS1_14partition_implILS5_5ELb0ES3_mN6hipcub16HIPCUB_304000_NS21CountingInputIteratorIllEEPS6_NSA_22TransformInputIteratorIb7NonZeroIaEPalEENS0_5tupleIJPlS6_EEENSJ_IJSD_SD_EEES6_SK_JS6_EEE10hipError_tPvRmT3_T4_T5_T6_T7_T9_mT8_P12ihipStream_tbDpT10_ENKUlT_T0_E_clISt17integral_constantIbLb1EES15_IbLb0EEEEDaS11_S12_EUlS11_E_NS1_11comp_targetILNS1_3genE0ELNS1_11target_archE4294967295ELNS1_3gpuE0ELNS1_3repE0EEENS1_30default_config_static_selectorELNS0_4arch9wavefront6targetE0EEEvT1_ ; -- Begin function _ZN7rocprim17ROCPRIM_400000_NS6detail17trampoline_kernelINS0_14default_configENS1_25partition_config_selectorILNS1_17partition_subalgoE5ElNS0_10empty_typeEbEEZZNS1_14partition_implILS5_5ELb0ES3_mN6hipcub16HIPCUB_304000_NS21CountingInputIteratorIllEEPS6_NSA_22TransformInputIteratorIb7NonZeroIaEPalEENS0_5tupleIJPlS6_EEENSJ_IJSD_SD_EEES6_SK_JS6_EEE10hipError_tPvRmT3_T4_T5_T6_T7_T9_mT8_P12ihipStream_tbDpT10_ENKUlT_T0_E_clISt17integral_constantIbLb1EES15_IbLb0EEEEDaS11_S12_EUlS11_E_NS1_11comp_targetILNS1_3genE0ELNS1_11target_archE4294967295ELNS1_3gpuE0ELNS1_3repE0EEENS1_30default_config_static_selectorELNS0_4arch9wavefront6targetE0EEEvT1_
	.globl	_ZN7rocprim17ROCPRIM_400000_NS6detail17trampoline_kernelINS0_14default_configENS1_25partition_config_selectorILNS1_17partition_subalgoE5ElNS0_10empty_typeEbEEZZNS1_14partition_implILS5_5ELb0ES3_mN6hipcub16HIPCUB_304000_NS21CountingInputIteratorIllEEPS6_NSA_22TransformInputIteratorIb7NonZeroIaEPalEENS0_5tupleIJPlS6_EEENSJ_IJSD_SD_EEES6_SK_JS6_EEE10hipError_tPvRmT3_T4_T5_T6_T7_T9_mT8_P12ihipStream_tbDpT10_ENKUlT_T0_E_clISt17integral_constantIbLb1EES15_IbLb0EEEEDaS11_S12_EUlS11_E_NS1_11comp_targetILNS1_3genE0ELNS1_11target_archE4294967295ELNS1_3gpuE0ELNS1_3repE0EEENS1_30default_config_static_selectorELNS0_4arch9wavefront6targetE0EEEvT1_
	.p2align	8
	.type	_ZN7rocprim17ROCPRIM_400000_NS6detail17trampoline_kernelINS0_14default_configENS1_25partition_config_selectorILNS1_17partition_subalgoE5ElNS0_10empty_typeEbEEZZNS1_14partition_implILS5_5ELb0ES3_mN6hipcub16HIPCUB_304000_NS21CountingInputIteratorIllEEPS6_NSA_22TransformInputIteratorIb7NonZeroIaEPalEENS0_5tupleIJPlS6_EEENSJ_IJSD_SD_EEES6_SK_JS6_EEE10hipError_tPvRmT3_T4_T5_T6_T7_T9_mT8_P12ihipStream_tbDpT10_ENKUlT_T0_E_clISt17integral_constantIbLb1EES15_IbLb0EEEEDaS11_S12_EUlS11_E_NS1_11comp_targetILNS1_3genE0ELNS1_11target_archE4294967295ELNS1_3gpuE0ELNS1_3repE0EEENS1_30default_config_static_selectorELNS0_4arch9wavefront6targetE0EEEvT1_,@function
_ZN7rocprim17ROCPRIM_400000_NS6detail17trampoline_kernelINS0_14default_configENS1_25partition_config_selectorILNS1_17partition_subalgoE5ElNS0_10empty_typeEbEEZZNS1_14partition_implILS5_5ELb0ES3_mN6hipcub16HIPCUB_304000_NS21CountingInputIteratorIllEEPS6_NSA_22TransformInputIteratorIb7NonZeroIaEPalEENS0_5tupleIJPlS6_EEENSJ_IJSD_SD_EEES6_SK_JS6_EEE10hipError_tPvRmT3_T4_T5_T6_T7_T9_mT8_P12ihipStream_tbDpT10_ENKUlT_T0_E_clISt17integral_constantIbLb1EES15_IbLb0EEEEDaS11_S12_EUlS11_E_NS1_11comp_targetILNS1_3genE0ELNS1_11target_archE4294967295ELNS1_3gpuE0ELNS1_3repE0EEENS1_30default_config_static_selectorELNS0_4arch9wavefront6targetE0EEEvT1_: ; @_ZN7rocprim17ROCPRIM_400000_NS6detail17trampoline_kernelINS0_14default_configENS1_25partition_config_selectorILNS1_17partition_subalgoE5ElNS0_10empty_typeEbEEZZNS1_14partition_implILS5_5ELb0ES3_mN6hipcub16HIPCUB_304000_NS21CountingInputIteratorIllEEPS6_NSA_22TransformInputIteratorIb7NonZeroIaEPalEENS0_5tupleIJPlS6_EEENSJ_IJSD_SD_EEES6_SK_JS6_EEE10hipError_tPvRmT3_T4_T5_T6_T7_T9_mT8_P12ihipStream_tbDpT10_ENKUlT_T0_E_clISt17integral_constantIbLb1EES15_IbLb0EEEEDaS11_S12_EUlS11_E_NS1_11comp_targetILNS1_3genE0ELNS1_11target_archE4294967295ELNS1_3gpuE0ELNS1_3repE0EEENS1_30default_config_static_selectorELNS0_4arch9wavefront6targetE0EEEvT1_
; %bb.0:
	.section	.rodata,"a",@progbits
	.p2align	6, 0x0
	.amdhsa_kernel _ZN7rocprim17ROCPRIM_400000_NS6detail17trampoline_kernelINS0_14default_configENS1_25partition_config_selectorILNS1_17partition_subalgoE5ElNS0_10empty_typeEbEEZZNS1_14partition_implILS5_5ELb0ES3_mN6hipcub16HIPCUB_304000_NS21CountingInputIteratorIllEEPS6_NSA_22TransformInputIteratorIb7NonZeroIaEPalEENS0_5tupleIJPlS6_EEENSJ_IJSD_SD_EEES6_SK_JS6_EEE10hipError_tPvRmT3_T4_T5_T6_T7_T9_mT8_P12ihipStream_tbDpT10_ENKUlT_T0_E_clISt17integral_constantIbLb1EES15_IbLb0EEEEDaS11_S12_EUlS11_E_NS1_11comp_targetILNS1_3genE0ELNS1_11target_archE4294967295ELNS1_3gpuE0ELNS1_3repE0EEENS1_30default_config_static_selectorELNS0_4arch9wavefront6targetE0EEEvT1_
		.amdhsa_group_segment_fixed_size 0
		.amdhsa_private_segment_fixed_size 0
		.amdhsa_kernarg_size 120
		.amdhsa_user_sgpr_count 15
		.amdhsa_user_sgpr_dispatch_ptr 0
		.amdhsa_user_sgpr_queue_ptr 0
		.amdhsa_user_sgpr_kernarg_segment_ptr 1
		.amdhsa_user_sgpr_dispatch_id 0
		.amdhsa_user_sgpr_private_segment_size 0
		.amdhsa_wavefront_size32 1
		.amdhsa_uses_dynamic_stack 0
		.amdhsa_enable_private_segment 0
		.amdhsa_system_sgpr_workgroup_id_x 1
		.amdhsa_system_sgpr_workgroup_id_y 0
		.amdhsa_system_sgpr_workgroup_id_z 0
		.amdhsa_system_sgpr_workgroup_info 0
		.amdhsa_system_vgpr_workitem_id 0
		.amdhsa_next_free_vgpr 1
		.amdhsa_next_free_sgpr 1
		.amdhsa_reserve_vcc 0
		.amdhsa_float_round_mode_32 0
		.amdhsa_float_round_mode_16_64 0
		.amdhsa_float_denorm_mode_32 3
		.amdhsa_float_denorm_mode_16_64 3
		.amdhsa_dx10_clamp 1
		.amdhsa_ieee_mode 1
		.amdhsa_fp16_overflow 0
		.amdhsa_workgroup_processor_mode 1
		.amdhsa_memory_ordered 1
		.amdhsa_forward_progress 0
		.amdhsa_shared_vgpr_count 0
		.amdhsa_exception_fp_ieee_invalid_op 0
		.amdhsa_exception_fp_denorm_src 0
		.amdhsa_exception_fp_ieee_div_zero 0
		.amdhsa_exception_fp_ieee_overflow 0
		.amdhsa_exception_fp_ieee_underflow 0
		.amdhsa_exception_fp_ieee_inexact 0
		.amdhsa_exception_int_div_zero 0
	.end_amdhsa_kernel
	.section	.text._ZN7rocprim17ROCPRIM_400000_NS6detail17trampoline_kernelINS0_14default_configENS1_25partition_config_selectorILNS1_17partition_subalgoE5ElNS0_10empty_typeEbEEZZNS1_14partition_implILS5_5ELb0ES3_mN6hipcub16HIPCUB_304000_NS21CountingInputIteratorIllEEPS6_NSA_22TransformInputIteratorIb7NonZeroIaEPalEENS0_5tupleIJPlS6_EEENSJ_IJSD_SD_EEES6_SK_JS6_EEE10hipError_tPvRmT3_T4_T5_T6_T7_T9_mT8_P12ihipStream_tbDpT10_ENKUlT_T0_E_clISt17integral_constantIbLb1EES15_IbLb0EEEEDaS11_S12_EUlS11_E_NS1_11comp_targetILNS1_3genE0ELNS1_11target_archE4294967295ELNS1_3gpuE0ELNS1_3repE0EEENS1_30default_config_static_selectorELNS0_4arch9wavefront6targetE0EEEvT1_,"axG",@progbits,_ZN7rocprim17ROCPRIM_400000_NS6detail17trampoline_kernelINS0_14default_configENS1_25partition_config_selectorILNS1_17partition_subalgoE5ElNS0_10empty_typeEbEEZZNS1_14partition_implILS5_5ELb0ES3_mN6hipcub16HIPCUB_304000_NS21CountingInputIteratorIllEEPS6_NSA_22TransformInputIteratorIb7NonZeroIaEPalEENS0_5tupleIJPlS6_EEENSJ_IJSD_SD_EEES6_SK_JS6_EEE10hipError_tPvRmT3_T4_T5_T6_T7_T9_mT8_P12ihipStream_tbDpT10_ENKUlT_T0_E_clISt17integral_constantIbLb1EES15_IbLb0EEEEDaS11_S12_EUlS11_E_NS1_11comp_targetILNS1_3genE0ELNS1_11target_archE4294967295ELNS1_3gpuE0ELNS1_3repE0EEENS1_30default_config_static_selectorELNS0_4arch9wavefront6targetE0EEEvT1_,comdat
.Lfunc_end63:
	.size	_ZN7rocprim17ROCPRIM_400000_NS6detail17trampoline_kernelINS0_14default_configENS1_25partition_config_selectorILNS1_17partition_subalgoE5ElNS0_10empty_typeEbEEZZNS1_14partition_implILS5_5ELb0ES3_mN6hipcub16HIPCUB_304000_NS21CountingInputIteratorIllEEPS6_NSA_22TransformInputIteratorIb7NonZeroIaEPalEENS0_5tupleIJPlS6_EEENSJ_IJSD_SD_EEES6_SK_JS6_EEE10hipError_tPvRmT3_T4_T5_T6_T7_T9_mT8_P12ihipStream_tbDpT10_ENKUlT_T0_E_clISt17integral_constantIbLb1EES15_IbLb0EEEEDaS11_S12_EUlS11_E_NS1_11comp_targetILNS1_3genE0ELNS1_11target_archE4294967295ELNS1_3gpuE0ELNS1_3repE0EEENS1_30default_config_static_selectorELNS0_4arch9wavefront6targetE0EEEvT1_, .Lfunc_end63-_ZN7rocprim17ROCPRIM_400000_NS6detail17trampoline_kernelINS0_14default_configENS1_25partition_config_selectorILNS1_17partition_subalgoE5ElNS0_10empty_typeEbEEZZNS1_14partition_implILS5_5ELb0ES3_mN6hipcub16HIPCUB_304000_NS21CountingInputIteratorIllEEPS6_NSA_22TransformInputIteratorIb7NonZeroIaEPalEENS0_5tupleIJPlS6_EEENSJ_IJSD_SD_EEES6_SK_JS6_EEE10hipError_tPvRmT3_T4_T5_T6_T7_T9_mT8_P12ihipStream_tbDpT10_ENKUlT_T0_E_clISt17integral_constantIbLb1EES15_IbLb0EEEEDaS11_S12_EUlS11_E_NS1_11comp_targetILNS1_3genE0ELNS1_11target_archE4294967295ELNS1_3gpuE0ELNS1_3repE0EEENS1_30default_config_static_selectorELNS0_4arch9wavefront6targetE0EEEvT1_
                                        ; -- End function
	.section	.AMDGPU.csdata,"",@progbits
; Kernel info:
; codeLenInByte = 0
; NumSgprs: 0
; NumVgprs: 0
; ScratchSize: 0
; MemoryBound: 0
; FloatMode: 240
; IeeeMode: 1
; LDSByteSize: 0 bytes/workgroup (compile time only)
; SGPRBlocks: 0
; VGPRBlocks: 0
; NumSGPRsForWavesPerEU: 1
; NumVGPRsForWavesPerEU: 1
; Occupancy: 16
; WaveLimiterHint : 0
; COMPUTE_PGM_RSRC2:SCRATCH_EN: 0
; COMPUTE_PGM_RSRC2:USER_SGPR: 15
; COMPUTE_PGM_RSRC2:TRAP_HANDLER: 0
; COMPUTE_PGM_RSRC2:TGID_X_EN: 1
; COMPUTE_PGM_RSRC2:TGID_Y_EN: 0
; COMPUTE_PGM_RSRC2:TGID_Z_EN: 0
; COMPUTE_PGM_RSRC2:TIDIG_COMP_CNT: 0
	.section	.text._ZN7rocprim17ROCPRIM_400000_NS6detail17trampoline_kernelINS0_14default_configENS1_25partition_config_selectorILNS1_17partition_subalgoE5ElNS0_10empty_typeEbEEZZNS1_14partition_implILS5_5ELb0ES3_mN6hipcub16HIPCUB_304000_NS21CountingInputIteratorIllEEPS6_NSA_22TransformInputIteratorIb7NonZeroIaEPalEENS0_5tupleIJPlS6_EEENSJ_IJSD_SD_EEES6_SK_JS6_EEE10hipError_tPvRmT3_T4_T5_T6_T7_T9_mT8_P12ihipStream_tbDpT10_ENKUlT_T0_E_clISt17integral_constantIbLb1EES15_IbLb0EEEEDaS11_S12_EUlS11_E_NS1_11comp_targetILNS1_3genE5ELNS1_11target_archE942ELNS1_3gpuE9ELNS1_3repE0EEENS1_30default_config_static_selectorELNS0_4arch9wavefront6targetE0EEEvT1_,"axG",@progbits,_ZN7rocprim17ROCPRIM_400000_NS6detail17trampoline_kernelINS0_14default_configENS1_25partition_config_selectorILNS1_17partition_subalgoE5ElNS0_10empty_typeEbEEZZNS1_14partition_implILS5_5ELb0ES3_mN6hipcub16HIPCUB_304000_NS21CountingInputIteratorIllEEPS6_NSA_22TransformInputIteratorIb7NonZeroIaEPalEENS0_5tupleIJPlS6_EEENSJ_IJSD_SD_EEES6_SK_JS6_EEE10hipError_tPvRmT3_T4_T5_T6_T7_T9_mT8_P12ihipStream_tbDpT10_ENKUlT_T0_E_clISt17integral_constantIbLb1EES15_IbLb0EEEEDaS11_S12_EUlS11_E_NS1_11comp_targetILNS1_3genE5ELNS1_11target_archE942ELNS1_3gpuE9ELNS1_3repE0EEENS1_30default_config_static_selectorELNS0_4arch9wavefront6targetE0EEEvT1_,comdat
	.protected	_ZN7rocprim17ROCPRIM_400000_NS6detail17trampoline_kernelINS0_14default_configENS1_25partition_config_selectorILNS1_17partition_subalgoE5ElNS0_10empty_typeEbEEZZNS1_14partition_implILS5_5ELb0ES3_mN6hipcub16HIPCUB_304000_NS21CountingInputIteratorIllEEPS6_NSA_22TransformInputIteratorIb7NonZeroIaEPalEENS0_5tupleIJPlS6_EEENSJ_IJSD_SD_EEES6_SK_JS6_EEE10hipError_tPvRmT3_T4_T5_T6_T7_T9_mT8_P12ihipStream_tbDpT10_ENKUlT_T0_E_clISt17integral_constantIbLb1EES15_IbLb0EEEEDaS11_S12_EUlS11_E_NS1_11comp_targetILNS1_3genE5ELNS1_11target_archE942ELNS1_3gpuE9ELNS1_3repE0EEENS1_30default_config_static_selectorELNS0_4arch9wavefront6targetE0EEEvT1_ ; -- Begin function _ZN7rocprim17ROCPRIM_400000_NS6detail17trampoline_kernelINS0_14default_configENS1_25partition_config_selectorILNS1_17partition_subalgoE5ElNS0_10empty_typeEbEEZZNS1_14partition_implILS5_5ELb0ES3_mN6hipcub16HIPCUB_304000_NS21CountingInputIteratorIllEEPS6_NSA_22TransformInputIteratorIb7NonZeroIaEPalEENS0_5tupleIJPlS6_EEENSJ_IJSD_SD_EEES6_SK_JS6_EEE10hipError_tPvRmT3_T4_T5_T6_T7_T9_mT8_P12ihipStream_tbDpT10_ENKUlT_T0_E_clISt17integral_constantIbLb1EES15_IbLb0EEEEDaS11_S12_EUlS11_E_NS1_11comp_targetILNS1_3genE5ELNS1_11target_archE942ELNS1_3gpuE9ELNS1_3repE0EEENS1_30default_config_static_selectorELNS0_4arch9wavefront6targetE0EEEvT1_
	.globl	_ZN7rocprim17ROCPRIM_400000_NS6detail17trampoline_kernelINS0_14default_configENS1_25partition_config_selectorILNS1_17partition_subalgoE5ElNS0_10empty_typeEbEEZZNS1_14partition_implILS5_5ELb0ES3_mN6hipcub16HIPCUB_304000_NS21CountingInputIteratorIllEEPS6_NSA_22TransformInputIteratorIb7NonZeroIaEPalEENS0_5tupleIJPlS6_EEENSJ_IJSD_SD_EEES6_SK_JS6_EEE10hipError_tPvRmT3_T4_T5_T6_T7_T9_mT8_P12ihipStream_tbDpT10_ENKUlT_T0_E_clISt17integral_constantIbLb1EES15_IbLb0EEEEDaS11_S12_EUlS11_E_NS1_11comp_targetILNS1_3genE5ELNS1_11target_archE942ELNS1_3gpuE9ELNS1_3repE0EEENS1_30default_config_static_selectorELNS0_4arch9wavefront6targetE0EEEvT1_
	.p2align	8
	.type	_ZN7rocprim17ROCPRIM_400000_NS6detail17trampoline_kernelINS0_14default_configENS1_25partition_config_selectorILNS1_17partition_subalgoE5ElNS0_10empty_typeEbEEZZNS1_14partition_implILS5_5ELb0ES3_mN6hipcub16HIPCUB_304000_NS21CountingInputIteratorIllEEPS6_NSA_22TransformInputIteratorIb7NonZeroIaEPalEENS0_5tupleIJPlS6_EEENSJ_IJSD_SD_EEES6_SK_JS6_EEE10hipError_tPvRmT3_T4_T5_T6_T7_T9_mT8_P12ihipStream_tbDpT10_ENKUlT_T0_E_clISt17integral_constantIbLb1EES15_IbLb0EEEEDaS11_S12_EUlS11_E_NS1_11comp_targetILNS1_3genE5ELNS1_11target_archE942ELNS1_3gpuE9ELNS1_3repE0EEENS1_30default_config_static_selectorELNS0_4arch9wavefront6targetE0EEEvT1_,@function
_ZN7rocprim17ROCPRIM_400000_NS6detail17trampoline_kernelINS0_14default_configENS1_25partition_config_selectorILNS1_17partition_subalgoE5ElNS0_10empty_typeEbEEZZNS1_14partition_implILS5_5ELb0ES3_mN6hipcub16HIPCUB_304000_NS21CountingInputIteratorIllEEPS6_NSA_22TransformInputIteratorIb7NonZeroIaEPalEENS0_5tupleIJPlS6_EEENSJ_IJSD_SD_EEES6_SK_JS6_EEE10hipError_tPvRmT3_T4_T5_T6_T7_T9_mT8_P12ihipStream_tbDpT10_ENKUlT_T0_E_clISt17integral_constantIbLb1EES15_IbLb0EEEEDaS11_S12_EUlS11_E_NS1_11comp_targetILNS1_3genE5ELNS1_11target_archE942ELNS1_3gpuE9ELNS1_3repE0EEENS1_30default_config_static_selectorELNS0_4arch9wavefront6targetE0EEEvT1_: ; @_ZN7rocprim17ROCPRIM_400000_NS6detail17trampoline_kernelINS0_14default_configENS1_25partition_config_selectorILNS1_17partition_subalgoE5ElNS0_10empty_typeEbEEZZNS1_14partition_implILS5_5ELb0ES3_mN6hipcub16HIPCUB_304000_NS21CountingInputIteratorIllEEPS6_NSA_22TransformInputIteratorIb7NonZeroIaEPalEENS0_5tupleIJPlS6_EEENSJ_IJSD_SD_EEES6_SK_JS6_EEE10hipError_tPvRmT3_T4_T5_T6_T7_T9_mT8_P12ihipStream_tbDpT10_ENKUlT_T0_E_clISt17integral_constantIbLb1EES15_IbLb0EEEEDaS11_S12_EUlS11_E_NS1_11comp_targetILNS1_3genE5ELNS1_11target_archE942ELNS1_3gpuE9ELNS1_3repE0EEENS1_30default_config_static_selectorELNS0_4arch9wavefront6targetE0EEEvT1_
; %bb.0:
	.section	.rodata,"a",@progbits
	.p2align	6, 0x0
	.amdhsa_kernel _ZN7rocprim17ROCPRIM_400000_NS6detail17trampoline_kernelINS0_14default_configENS1_25partition_config_selectorILNS1_17partition_subalgoE5ElNS0_10empty_typeEbEEZZNS1_14partition_implILS5_5ELb0ES3_mN6hipcub16HIPCUB_304000_NS21CountingInputIteratorIllEEPS6_NSA_22TransformInputIteratorIb7NonZeroIaEPalEENS0_5tupleIJPlS6_EEENSJ_IJSD_SD_EEES6_SK_JS6_EEE10hipError_tPvRmT3_T4_T5_T6_T7_T9_mT8_P12ihipStream_tbDpT10_ENKUlT_T0_E_clISt17integral_constantIbLb1EES15_IbLb0EEEEDaS11_S12_EUlS11_E_NS1_11comp_targetILNS1_3genE5ELNS1_11target_archE942ELNS1_3gpuE9ELNS1_3repE0EEENS1_30default_config_static_selectorELNS0_4arch9wavefront6targetE0EEEvT1_
		.amdhsa_group_segment_fixed_size 0
		.amdhsa_private_segment_fixed_size 0
		.amdhsa_kernarg_size 120
		.amdhsa_user_sgpr_count 15
		.amdhsa_user_sgpr_dispatch_ptr 0
		.amdhsa_user_sgpr_queue_ptr 0
		.amdhsa_user_sgpr_kernarg_segment_ptr 1
		.amdhsa_user_sgpr_dispatch_id 0
		.amdhsa_user_sgpr_private_segment_size 0
		.amdhsa_wavefront_size32 1
		.amdhsa_uses_dynamic_stack 0
		.amdhsa_enable_private_segment 0
		.amdhsa_system_sgpr_workgroup_id_x 1
		.amdhsa_system_sgpr_workgroup_id_y 0
		.amdhsa_system_sgpr_workgroup_id_z 0
		.amdhsa_system_sgpr_workgroup_info 0
		.amdhsa_system_vgpr_workitem_id 0
		.amdhsa_next_free_vgpr 1
		.amdhsa_next_free_sgpr 1
		.amdhsa_reserve_vcc 0
		.amdhsa_float_round_mode_32 0
		.amdhsa_float_round_mode_16_64 0
		.amdhsa_float_denorm_mode_32 3
		.amdhsa_float_denorm_mode_16_64 3
		.amdhsa_dx10_clamp 1
		.amdhsa_ieee_mode 1
		.amdhsa_fp16_overflow 0
		.amdhsa_workgroup_processor_mode 1
		.amdhsa_memory_ordered 1
		.amdhsa_forward_progress 0
		.amdhsa_shared_vgpr_count 0
		.amdhsa_exception_fp_ieee_invalid_op 0
		.amdhsa_exception_fp_denorm_src 0
		.amdhsa_exception_fp_ieee_div_zero 0
		.amdhsa_exception_fp_ieee_overflow 0
		.amdhsa_exception_fp_ieee_underflow 0
		.amdhsa_exception_fp_ieee_inexact 0
		.amdhsa_exception_int_div_zero 0
	.end_amdhsa_kernel
	.section	.text._ZN7rocprim17ROCPRIM_400000_NS6detail17trampoline_kernelINS0_14default_configENS1_25partition_config_selectorILNS1_17partition_subalgoE5ElNS0_10empty_typeEbEEZZNS1_14partition_implILS5_5ELb0ES3_mN6hipcub16HIPCUB_304000_NS21CountingInputIteratorIllEEPS6_NSA_22TransformInputIteratorIb7NonZeroIaEPalEENS0_5tupleIJPlS6_EEENSJ_IJSD_SD_EEES6_SK_JS6_EEE10hipError_tPvRmT3_T4_T5_T6_T7_T9_mT8_P12ihipStream_tbDpT10_ENKUlT_T0_E_clISt17integral_constantIbLb1EES15_IbLb0EEEEDaS11_S12_EUlS11_E_NS1_11comp_targetILNS1_3genE5ELNS1_11target_archE942ELNS1_3gpuE9ELNS1_3repE0EEENS1_30default_config_static_selectorELNS0_4arch9wavefront6targetE0EEEvT1_,"axG",@progbits,_ZN7rocprim17ROCPRIM_400000_NS6detail17trampoline_kernelINS0_14default_configENS1_25partition_config_selectorILNS1_17partition_subalgoE5ElNS0_10empty_typeEbEEZZNS1_14partition_implILS5_5ELb0ES3_mN6hipcub16HIPCUB_304000_NS21CountingInputIteratorIllEEPS6_NSA_22TransformInputIteratorIb7NonZeroIaEPalEENS0_5tupleIJPlS6_EEENSJ_IJSD_SD_EEES6_SK_JS6_EEE10hipError_tPvRmT3_T4_T5_T6_T7_T9_mT8_P12ihipStream_tbDpT10_ENKUlT_T0_E_clISt17integral_constantIbLb1EES15_IbLb0EEEEDaS11_S12_EUlS11_E_NS1_11comp_targetILNS1_3genE5ELNS1_11target_archE942ELNS1_3gpuE9ELNS1_3repE0EEENS1_30default_config_static_selectorELNS0_4arch9wavefront6targetE0EEEvT1_,comdat
.Lfunc_end64:
	.size	_ZN7rocprim17ROCPRIM_400000_NS6detail17trampoline_kernelINS0_14default_configENS1_25partition_config_selectorILNS1_17partition_subalgoE5ElNS0_10empty_typeEbEEZZNS1_14partition_implILS5_5ELb0ES3_mN6hipcub16HIPCUB_304000_NS21CountingInputIteratorIllEEPS6_NSA_22TransformInputIteratorIb7NonZeroIaEPalEENS0_5tupleIJPlS6_EEENSJ_IJSD_SD_EEES6_SK_JS6_EEE10hipError_tPvRmT3_T4_T5_T6_T7_T9_mT8_P12ihipStream_tbDpT10_ENKUlT_T0_E_clISt17integral_constantIbLb1EES15_IbLb0EEEEDaS11_S12_EUlS11_E_NS1_11comp_targetILNS1_3genE5ELNS1_11target_archE942ELNS1_3gpuE9ELNS1_3repE0EEENS1_30default_config_static_selectorELNS0_4arch9wavefront6targetE0EEEvT1_, .Lfunc_end64-_ZN7rocprim17ROCPRIM_400000_NS6detail17trampoline_kernelINS0_14default_configENS1_25partition_config_selectorILNS1_17partition_subalgoE5ElNS0_10empty_typeEbEEZZNS1_14partition_implILS5_5ELb0ES3_mN6hipcub16HIPCUB_304000_NS21CountingInputIteratorIllEEPS6_NSA_22TransformInputIteratorIb7NonZeroIaEPalEENS0_5tupleIJPlS6_EEENSJ_IJSD_SD_EEES6_SK_JS6_EEE10hipError_tPvRmT3_T4_T5_T6_T7_T9_mT8_P12ihipStream_tbDpT10_ENKUlT_T0_E_clISt17integral_constantIbLb1EES15_IbLb0EEEEDaS11_S12_EUlS11_E_NS1_11comp_targetILNS1_3genE5ELNS1_11target_archE942ELNS1_3gpuE9ELNS1_3repE0EEENS1_30default_config_static_selectorELNS0_4arch9wavefront6targetE0EEEvT1_
                                        ; -- End function
	.section	.AMDGPU.csdata,"",@progbits
; Kernel info:
; codeLenInByte = 0
; NumSgprs: 0
; NumVgprs: 0
; ScratchSize: 0
; MemoryBound: 0
; FloatMode: 240
; IeeeMode: 1
; LDSByteSize: 0 bytes/workgroup (compile time only)
; SGPRBlocks: 0
; VGPRBlocks: 0
; NumSGPRsForWavesPerEU: 1
; NumVGPRsForWavesPerEU: 1
; Occupancy: 16
; WaveLimiterHint : 0
; COMPUTE_PGM_RSRC2:SCRATCH_EN: 0
; COMPUTE_PGM_RSRC2:USER_SGPR: 15
; COMPUTE_PGM_RSRC2:TRAP_HANDLER: 0
; COMPUTE_PGM_RSRC2:TGID_X_EN: 1
; COMPUTE_PGM_RSRC2:TGID_Y_EN: 0
; COMPUTE_PGM_RSRC2:TGID_Z_EN: 0
; COMPUTE_PGM_RSRC2:TIDIG_COMP_CNT: 0
	.section	.text._ZN7rocprim17ROCPRIM_400000_NS6detail17trampoline_kernelINS0_14default_configENS1_25partition_config_selectorILNS1_17partition_subalgoE5ElNS0_10empty_typeEbEEZZNS1_14partition_implILS5_5ELb0ES3_mN6hipcub16HIPCUB_304000_NS21CountingInputIteratorIllEEPS6_NSA_22TransformInputIteratorIb7NonZeroIaEPalEENS0_5tupleIJPlS6_EEENSJ_IJSD_SD_EEES6_SK_JS6_EEE10hipError_tPvRmT3_T4_T5_T6_T7_T9_mT8_P12ihipStream_tbDpT10_ENKUlT_T0_E_clISt17integral_constantIbLb1EES15_IbLb0EEEEDaS11_S12_EUlS11_E_NS1_11comp_targetILNS1_3genE4ELNS1_11target_archE910ELNS1_3gpuE8ELNS1_3repE0EEENS1_30default_config_static_selectorELNS0_4arch9wavefront6targetE0EEEvT1_,"axG",@progbits,_ZN7rocprim17ROCPRIM_400000_NS6detail17trampoline_kernelINS0_14default_configENS1_25partition_config_selectorILNS1_17partition_subalgoE5ElNS0_10empty_typeEbEEZZNS1_14partition_implILS5_5ELb0ES3_mN6hipcub16HIPCUB_304000_NS21CountingInputIteratorIllEEPS6_NSA_22TransformInputIteratorIb7NonZeroIaEPalEENS0_5tupleIJPlS6_EEENSJ_IJSD_SD_EEES6_SK_JS6_EEE10hipError_tPvRmT3_T4_T5_T6_T7_T9_mT8_P12ihipStream_tbDpT10_ENKUlT_T0_E_clISt17integral_constantIbLb1EES15_IbLb0EEEEDaS11_S12_EUlS11_E_NS1_11comp_targetILNS1_3genE4ELNS1_11target_archE910ELNS1_3gpuE8ELNS1_3repE0EEENS1_30default_config_static_selectorELNS0_4arch9wavefront6targetE0EEEvT1_,comdat
	.protected	_ZN7rocprim17ROCPRIM_400000_NS6detail17trampoline_kernelINS0_14default_configENS1_25partition_config_selectorILNS1_17partition_subalgoE5ElNS0_10empty_typeEbEEZZNS1_14partition_implILS5_5ELb0ES3_mN6hipcub16HIPCUB_304000_NS21CountingInputIteratorIllEEPS6_NSA_22TransformInputIteratorIb7NonZeroIaEPalEENS0_5tupleIJPlS6_EEENSJ_IJSD_SD_EEES6_SK_JS6_EEE10hipError_tPvRmT3_T4_T5_T6_T7_T9_mT8_P12ihipStream_tbDpT10_ENKUlT_T0_E_clISt17integral_constantIbLb1EES15_IbLb0EEEEDaS11_S12_EUlS11_E_NS1_11comp_targetILNS1_3genE4ELNS1_11target_archE910ELNS1_3gpuE8ELNS1_3repE0EEENS1_30default_config_static_selectorELNS0_4arch9wavefront6targetE0EEEvT1_ ; -- Begin function _ZN7rocprim17ROCPRIM_400000_NS6detail17trampoline_kernelINS0_14default_configENS1_25partition_config_selectorILNS1_17partition_subalgoE5ElNS0_10empty_typeEbEEZZNS1_14partition_implILS5_5ELb0ES3_mN6hipcub16HIPCUB_304000_NS21CountingInputIteratorIllEEPS6_NSA_22TransformInputIteratorIb7NonZeroIaEPalEENS0_5tupleIJPlS6_EEENSJ_IJSD_SD_EEES6_SK_JS6_EEE10hipError_tPvRmT3_T4_T5_T6_T7_T9_mT8_P12ihipStream_tbDpT10_ENKUlT_T0_E_clISt17integral_constantIbLb1EES15_IbLb0EEEEDaS11_S12_EUlS11_E_NS1_11comp_targetILNS1_3genE4ELNS1_11target_archE910ELNS1_3gpuE8ELNS1_3repE0EEENS1_30default_config_static_selectorELNS0_4arch9wavefront6targetE0EEEvT1_
	.globl	_ZN7rocprim17ROCPRIM_400000_NS6detail17trampoline_kernelINS0_14default_configENS1_25partition_config_selectorILNS1_17partition_subalgoE5ElNS0_10empty_typeEbEEZZNS1_14partition_implILS5_5ELb0ES3_mN6hipcub16HIPCUB_304000_NS21CountingInputIteratorIllEEPS6_NSA_22TransformInputIteratorIb7NonZeroIaEPalEENS0_5tupleIJPlS6_EEENSJ_IJSD_SD_EEES6_SK_JS6_EEE10hipError_tPvRmT3_T4_T5_T6_T7_T9_mT8_P12ihipStream_tbDpT10_ENKUlT_T0_E_clISt17integral_constantIbLb1EES15_IbLb0EEEEDaS11_S12_EUlS11_E_NS1_11comp_targetILNS1_3genE4ELNS1_11target_archE910ELNS1_3gpuE8ELNS1_3repE0EEENS1_30default_config_static_selectorELNS0_4arch9wavefront6targetE0EEEvT1_
	.p2align	8
	.type	_ZN7rocprim17ROCPRIM_400000_NS6detail17trampoline_kernelINS0_14default_configENS1_25partition_config_selectorILNS1_17partition_subalgoE5ElNS0_10empty_typeEbEEZZNS1_14partition_implILS5_5ELb0ES3_mN6hipcub16HIPCUB_304000_NS21CountingInputIteratorIllEEPS6_NSA_22TransformInputIteratorIb7NonZeroIaEPalEENS0_5tupleIJPlS6_EEENSJ_IJSD_SD_EEES6_SK_JS6_EEE10hipError_tPvRmT3_T4_T5_T6_T7_T9_mT8_P12ihipStream_tbDpT10_ENKUlT_T0_E_clISt17integral_constantIbLb1EES15_IbLb0EEEEDaS11_S12_EUlS11_E_NS1_11comp_targetILNS1_3genE4ELNS1_11target_archE910ELNS1_3gpuE8ELNS1_3repE0EEENS1_30default_config_static_selectorELNS0_4arch9wavefront6targetE0EEEvT1_,@function
_ZN7rocprim17ROCPRIM_400000_NS6detail17trampoline_kernelINS0_14default_configENS1_25partition_config_selectorILNS1_17partition_subalgoE5ElNS0_10empty_typeEbEEZZNS1_14partition_implILS5_5ELb0ES3_mN6hipcub16HIPCUB_304000_NS21CountingInputIteratorIllEEPS6_NSA_22TransformInputIteratorIb7NonZeroIaEPalEENS0_5tupleIJPlS6_EEENSJ_IJSD_SD_EEES6_SK_JS6_EEE10hipError_tPvRmT3_T4_T5_T6_T7_T9_mT8_P12ihipStream_tbDpT10_ENKUlT_T0_E_clISt17integral_constantIbLb1EES15_IbLb0EEEEDaS11_S12_EUlS11_E_NS1_11comp_targetILNS1_3genE4ELNS1_11target_archE910ELNS1_3gpuE8ELNS1_3repE0EEENS1_30default_config_static_selectorELNS0_4arch9wavefront6targetE0EEEvT1_: ; @_ZN7rocprim17ROCPRIM_400000_NS6detail17trampoline_kernelINS0_14default_configENS1_25partition_config_selectorILNS1_17partition_subalgoE5ElNS0_10empty_typeEbEEZZNS1_14partition_implILS5_5ELb0ES3_mN6hipcub16HIPCUB_304000_NS21CountingInputIteratorIllEEPS6_NSA_22TransformInputIteratorIb7NonZeroIaEPalEENS0_5tupleIJPlS6_EEENSJ_IJSD_SD_EEES6_SK_JS6_EEE10hipError_tPvRmT3_T4_T5_T6_T7_T9_mT8_P12ihipStream_tbDpT10_ENKUlT_T0_E_clISt17integral_constantIbLb1EES15_IbLb0EEEEDaS11_S12_EUlS11_E_NS1_11comp_targetILNS1_3genE4ELNS1_11target_archE910ELNS1_3gpuE8ELNS1_3repE0EEENS1_30default_config_static_selectorELNS0_4arch9wavefront6targetE0EEEvT1_
; %bb.0:
	.section	.rodata,"a",@progbits
	.p2align	6, 0x0
	.amdhsa_kernel _ZN7rocprim17ROCPRIM_400000_NS6detail17trampoline_kernelINS0_14default_configENS1_25partition_config_selectorILNS1_17partition_subalgoE5ElNS0_10empty_typeEbEEZZNS1_14partition_implILS5_5ELb0ES3_mN6hipcub16HIPCUB_304000_NS21CountingInputIteratorIllEEPS6_NSA_22TransformInputIteratorIb7NonZeroIaEPalEENS0_5tupleIJPlS6_EEENSJ_IJSD_SD_EEES6_SK_JS6_EEE10hipError_tPvRmT3_T4_T5_T6_T7_T9_mT8_P12ihipStream_tbDpT10_ENKUlT_T0_E_clISt17integral_constantIbLb1EES15_IbLb0EEEEDaS11_S12_EUlS11_E_NS1_11comp_targetILNS1_3genE4ELNS1_11target_archE910ELNS1_3gpuE8ELNS1_3repE0EEENS1_30default_config_static_selectorELNS0_4arch9wavefront6targetE0EEEvT1_
		.amdhsa_group_segment_fixed_size 0
		.amdhsa_private_segment_fixed_size 0
		.amdhsa_kernarg_size 120
		.amdhsa_user_sgpr_count 15
		.amdhsa_user_sgpr_dispatch_ptr 0
		.amdhsa_user_sgpr_queue_ptr 0
		.amdhsa_user_sgpr_kernarg_segment_ptr 1
		.amdhsa_user_sgpr_dispatch_id 0
		.amdhsa_user_sgpr_private_segment_size 0
		.amdhsa_wavefront_size32 1
		.amdhsa_uses_dynamic_stack 0
		.amdhsa_enable_private_segment 0
		.amdhsa_system_sgpr_workgroup_id_x 1
		.amdhsa_system_sgpr_workgroup_id_y 0
		.amdhsa_system_sgpr_workgroup_id_z 0
		.amdhsa_system_sgpr_workgroup_info 0
		.amdhsa_system_vgpr_workitem_id 0
		.amdhsa_next_free_vgpr 1
		.amdhsa_next_free_sgpr 1
		.amdhsa_reserve_vcc 0
		.amdhsa_float_round_mode_32 0
		.amdhsa_float_round_mode_16_64 0
		.amdhsa_float_denorm_mode_32 3
		.amdhsa_float_denorm_mode_16_64 3
		.amdhsa_dx10_clamp 1
		.amdhsa_ieee_mode 1
		.amdhsa_fp16_overflow 0
		.amdhsa_workgroup_processor_mode 1
		.amdhsa_memory_ordered 1
		.amdhsa_forward_progress 0
		.amdhsa_shared_vgpr_count 0
		.amdhsa_exception_fp_ieee_invalid_op 0
		.amdhsa_exception_fp_denorm_src 0
		.amdhsa_exception_fp_ieee_div_zero 0
		.amdhsa_exception_fp_ieee_overflow 0
		.amdhsa_exception_fp_ieee_underflow 0
		.amdhsa_exception_fp_ieee_inexact 0
		.amdhsa_exception_int_div_zero 0
	.end_amdhsa_kernel
	.section	.text._ZN7rocprim17ROCPRIM_400000_NS6detail17trampoline_kernelINS0_14default_configENS1_25partition_config_selectorILNS1_17partition_subalgoE5ElNS0_10empty_typeEbEEZZNS1_14partition_implILS5_5ELb0ES3_mN6hipcub16HIPCUB_304000_NS21CountingInputIteratorIllEEPS6_NSA_22TransformInputIteratorIb7NonZeroIaEPalEENS0_5tupleIJPlS6_EEENSJ_IJSD_SD_EEES6_SK_JS6_EEE10hipError_tPvRmT3_T4_T5_T6_T7_T9_mT8_P12ihipStream_tbDpT10_ENKUlT_T0_E_clISt17integral_constantIbLb1EES15_IbLb0EEEEDaS11_S12_EUlS11_E_NS1_11comp_targetILNS1_3genE4ELNS1_11target_archE910ELNS1_3gpuE8ELNS1_3repE0EEENS1_30default_config_static_selectorELNS0_4arch9wavefront6targetE0EEEvT1_,"axG",@progbits,_ZN7rocprim17ROCPRIM_400000_NS6detail17trampoline_kernelINS0_14default_configENS1_25partition_config_selectorILNS1_17partition_subalgoE5ElNS0_10empty_typeEbEEZZNS1_14partition_implILS5_5ELb0ES3_mN6hipcub16HIPCUB_304000_NS21CountingInputIteratorIllEEPS6_NSA_22TransformInputIteratorIb7NonZeroIaEPalEENS0_5tupleIJPlS6_EEENSJ_IJSD_SD_EEES6_SK_JS6_EEE10hipError_tPvRmT3_T4_T5_T6_T7_T9_mT8_P12ihipStream_tbDpT10_ENKUlT_T0_E_clISt17integral_constantIbLb1EES15_IbLb0EEEEDaS11_S12_EUlS11_E_NS1_11comp_targetILNS1_3genE4ELNS1_11target_archE910ELNS1_3gpuE8ELNS1_3repE0EEENS1_30default_config_static_selectorELNS0_4arch9wavefront6targetE0EEEvT1_,comdat
.Lfunc_end65:
	.size	_ZN7rocprim17ROCPRIM_400000_NS6detail17trampoline_kernelINS0_14default_configENS1_25partition_config_selectorILNS1_17partition_subalgoE5ElNS0_10empty_typeEbEEZZNS1_14partition_implILS5_5ELb0ES3_mN6hipcub16HIPCUB_304000_NS21CountingInputIteratorIllEEPS6_NSA_22TransformInputIteratorIb7NonZeroIaEPalEENS0_5tupleIJPlS6_EEENSJ_IJSD_SD_EEES6_SK_JS6_EEE10hipError_tPvRmT3_T4_T5_T6_T7_T9_mT8_P12ihipStream_tbDpT10_ENKUlT_T0_E_clISt17integral_constantIbLb1EES15_IbLb0EEEEDaS11_S12_EUlS11_E_NS1_11comp_targetILNS1_3genE4ELNS1_11target_archE910ELNS1_3gpuE8ELNS1_3repE0EEENS1_30default_config_static_selectorELNS0_4arch9wavefront6targetE0EEEvT1_, .Lfunc_end65-_ZN7rocprim17ROCPRIM_400000_NS6detail17trampoline_kernelINS0_14default_configENS1_25partition_config_selectorILNS1_17partition_subalgoE5ElNS0_10empty_typeEbEEZZNS1_14partition_implILS5_5ELb0ES3_mN6hipcub16HIPCUB_304000_NS21CountingInputIteratorIllEEPS6_NSA_22TransformInputIteratorIb7NonZeroIaEPalEENS0_5tupleIJPlS6_EEENSJ_IJSD_SD_EEES6_SK_JS6_EEE10hipError_tPvRmT3_T4_T5_T6_T7_T9_mT8_P12ihipStream_tbDpT10_ENKUlT_T0_E_clISt17integral_constantIbLb1EES15_IbLb0EEEEDaS11_S12_EUlS11_E_NS1_11comp_targetILNS1_3genE4ELNS1_11target_archE910ELNS1_3gpuE8ELNS1_3repE0EEENS1_30default_config_static_selectorELNS0_4arch9wavefront6targetE0EEEvT1_
                                        ; -- End function
	.section	.AMDGPU.csdata,"",@progbits
; Kernel info:
; codeLenInByte = 0
; NumSgprs: 0
; NumVgprs: 0
; ScratchSize: 0
; MemoryBound: 0
; FloatMode: 240
; IeeeMode: 1
; LDSByteSize: 0 bytes/workgroup (compile time only)
; SGPRBlocks: 0
; VGPRBlocks: 0
; NumSGPRsForWavesPerEU: 1
; NumVGPRsForWavesPerEU: 1
; Occupancy: 15
; WaveLimiterHint : 0
; COMPUTE_PGM_RSRC2:SCRATCH_EN: 0
; COMPUTE_PGM_RSRC2:USER_SGPR: 15
; COMPUTE_PGM_RSRC2:TRAP_HANDLER: 0
; COMPUTE_PGM_RSRC2:TGID_X_EN: 1
; COMPUTE_PGM_RSRC2:TGID_Y_EN: 0
; COMPUTE_PGM_RSRC2:TGID_Z_EN: 0
; COMPUTE_PGM_RSRC2:TIDIG_COMP_CNT: 0
	.section	.text._ZN7rocprim17ROCPRIM_400000_NS6detail17trampoline_kernelINS0_14default_configENS1_25partition_config_selectorILNS1_17partition_subalgoE5ElNS0_10empty_typeEbEEZZNS1_14partition_implILS5_5ELb0ES3_mN6hipcub16HIPCUB_304000_NS21CountingInputIteratorIllEEPS6_NSA_22TransformInputIteratorIb7NonZeroIaEPalEENS0_5tupleIJPlS6_EEENSJ_IJSD_SD_EEES6_SK_JS6_EEE10hipError_tPvRmT3_T4_T5_T6_T7_T9_mT8_P12ihipStream_tbDpT10_ENKUlT_T0_E_clISt17integral_constantIbLb1EES15_IbLb0EEEEDaS11_S12_EUlS11_E_NS1_11comp_targetILNS1_3genE3ELNS1_11target_archE908ELNS1_3gpuE7ELNS1_3repE0EEENS1_30default_config_static_selectorELNS0_4arch9wavefront6targetE0EEEvT1_,"axG",@progbits,_ZN7rocprim17ROCPRIM_400000_NS6detail17trampoline_kernelINS0_14default_configENS1_25partition_config_selectorILNS1_17partition_subalgoE5ElNS0_10empty_typeEbEEZZNS1_14partition_implILS5_5ELb0ES3_mN6hipcub16HIPCUB_304000_NS21CountingInputIteratorIllEEPS6_NSA_22TransformInputIteratorIb7NonZeroIaEPalEENS0_5tupleIJPlS6_EEENSJ_IJSD_SD_EEES6_SK_JS6_EEE10hipError_tPvRmT3_T4_T5_T6_T7_T9_mT8_P12ihipStream_tbDpT10_ENKUlT_T0_E_clISt17integral_constantIbLb1EES15_IbLb0EEEEDaS11_S12_EUlS11_E_NS1_11comp_targetILNS1_3genE3ELNS1_11target_archE908ELNS1_3gpuE7ELNS1_3repE0EEENS1_30default_config_static_selectorELNS0_4arch9wavefront6targetE0EEEvT1_,comdat
	.protected	_ZN7rocprim17ROCPRIM_400000_NS6detail17trampoline_kernelINS0_14default_configENS1_25partition_config_selectorILNS1_17partition_subalgoE5ElNS0_10empty_typeEbEEZZNS1_14partition_implILS5_5ELb0ES3_mN6hipcub16HIPCUB_304000_NS21CountingInputIteratorIllEEPS6_NSA_22TransformInputIteratorIb7NonZeroIaEPalEENS0_5tupleIJPlS6_EEENSJ_IJSD_SD_EEES6_SK_JS6_EEE10hipError_tPvRmT3_T4_T5_T6_T7_T9_mT8_P12ihipStream_tbDpT10_ENKUlT_T0_E_clISt17integral_constantIbLb1EES15_IbLb0EEEEDaS11_S12_EUlS11_E_NS1_11comp_targetILNS1_3genE3ELNS1_11target_archE908ELNS1_3gpuE7ELNS1_3repE0EEENS1_30default_config_static_selectorELNS0_4arch9wavefront6targetE0EEEvT1_ ; -- Begin function _ZN7rocprim17ROCPRIM_400000_NS6detail17trampoline_kernelINS0_14default_configENS1_25partition_config_selectorILNS1_17partition_subalgoE5ElNS0_10empty_typeEbEEZZNS1_14partition_implILS5_5ELb0ES3_mN6hipcub16HIPCUB_304000_NS21CountingInputIteratorIllEEPS6_NSA_22TransformInputIteratorIb7NonZeroIaEPalEENS0_5tupleIJPlS6_EEENSJ_IJSD_SD_EEES6_SK_JS6_EEE10hipError_tPvRmT3_T4_T5_T6_T7_T9_mT8_P12ihipStream_tbDpT10_ENKUlT_T0_E_clISt17integral_constantIbLb1EES15_IbLb0EEEEDaS11_S12_EUlS11_E_NS1_11comp_targetILNS1_3genE3ELNS1_11target_archE908ELNS1_3gpuE7ELNS1_3repE0EEENS1_30default_config_static_selectorELNS0_4arch9wavefront6targetE0EEEvT1_
	.globl	_ZN7rocprim17ROCPRIM_400000_NS6detail17trampoline_kernelINS0_14default_configENS1_25partition_config_selectorILNS1_17partition_subalgoE5ElNS0_10empty_typeEbEEZZNS1_14partition_implILS5_5ELb0ES3_mN6hipcub16HIPCUB_304000_NS21CountingInputIteratorIllEEPS6_NSA_22TransformInputIteratorIb7NonZeroIaEPalEENS0_5tupleIJPlS6_EEENSJ_IJSD_SD_EEES6_SK_JS6_EEE10hipError_tPvRmT3_T4_T5_T6_T7_T9_mT8_P12ihipStream_tbDpT10_ENKUlT_T0_E_clISt17integral_constantIbLb1EES15_IbLb0EEEEDaS11_S12_EUlS11_E_NS1_11comp_targetILNS1_3genE3ELNS1_11target_archE908ELNS1_3gpuE7ELNS1_3repE0EEENS1_30default_config_static_selectorELNS0_4arch9wavefront6targetE0EEEvT1_
	.p2align	8
	.type	_ZN7rocprim17ROCPRIM_400000_NS6detail17trampoline_kernelINS0_14default_configENS1_25partition_config_selectorILNS1_17partition_subalgoE5ElNS0_10empty_typeEbEEZZNS1_14partition_implILS5_5ELb0ES3_mN6hipcub16HIPCUB_304000_NS21CountingInputIteratorIllEEPS6_NSA_22TransformInputIteratorIb7NonZeroIaEPalEENS0_5tupleIJPlS6_EEENSJ_IJSD_SD_EEES6_SK_JS6_EEE10hipError_tPvRmT3_T4_T5_T6_T7_T9_mT8_P12ihipStream_tbDpT10_ENKUlT_T0_E_clISt17integral_constantIbLb1EES15_IbLb0EEEEDaS11_S12_EUlS11_E_NS1_11comp_targetILNS1_3genE3ELNS1_11target_archE908ELNS1_3gpuE7ELNS1_3repE0EEENS1_30default_config_static_selectorELNS0_4arch9wavefront6targetE0EEEvT1_,@function
_ZN7rocprim17ROCPRIM_400000_NS6detail17trampoline_kernelINS0_14default_configENS1_25partition_config_selectorILNS1_17partition_subalgoE5ElNS0_10empty_typeEbEEZZNS1_14partition_implILS5_5ELb0ES3_mN6hipcub16HIPCUB_304000_NS21CountingInputIteratorIllEEPS6_NSA_22TransformInputIteratorIb7NonZeroIaEPalEENS0_5tupleIJPlS6_EEENSJ_IJSD_SD_EEES6_SK_JS6_EEE10hipError_tPvRmT3_T4_T5_T6_T7_T9_mT8_P12ihipStream_tbDpT10_ENKUlT_T0_E_clISt17integral_constantIbLb1EES15_IbLb0EEEEDaS11_S12_EUlS11_E_NS1_11comp_targetILNS1_3genE3ELNS1_11target_archE908ELNS1_3gpuE7ELNS1_3repE0EEENS1_30default_config_static_selectorELNS0_4arch9wavefront6targetE0EEEvT1_: ; @_ZN7rocprim17ROCPRIM_400000_NS6detail17trampoline_kernelINS0_14default_configENS1_25partition_config_selectorILNS1_17partition_subalgoE5ElNS0_10empty_typeEbEEZZNS1_14partition_implILS5_5ELb0ES3_mN6hipcub16HIPCUB_304000_NS21CountingInputIteratorIllEEPS6_NSA_22TransformInputIteratorIb7NonZeroIaEPalEENS0_5tupleIJPlS6_EEENSJ_IJSD_SD_EEES6_SK_JS6_EEE10hipError_tPvRmT3_T4_T5_T6_T7_T9_mT8_P12ihipStream_tbDpT10_ENKUlT_T0_E_clISt17integral_constantIbLb1EES15_IbLb0EEEEDaS11_S12_EUlS11_E_NS1_11comp_targetILNS1_3genE3ELNS1_11target_archE908ELNS1_3gpuE7ELNS1_3repE0EEENS1_30default_config_static_selectorELNS0_4arch9wavefront6targetE0EEEvT1_
; %bb.0:
	.section	.rodata,"a",@progbits
	.p2align	6, 0x0
	.amdhsa_kernel _ZN7rocprim17ROCPRIM_400000_NS6detail17trampoline_kernelINS0_14default_configENS1_25partition_config_selectorILNS1_17partition_subalgoE5ElNS0_10empty_typeEbEEZZNS1_14partition_implILS5_5ELb0ES3_mN6hipcub16HIPCUB_304000_NS21CountingInputIteratorIllEEPS6_NSA_22TransformInputIteratorIb7NonZeroIaEPalEENS0_5tupleIJPlS6_EEENSJ_IJSD_SD_EEES6_SK_JS6_EEE10hipError_tPvRmT3_T4_T5_T6_T7_T9_mT8_P12ihipStream_tbDpT10_ENKUlT_T0_E_clISt17integral_constantIbLb1EES15_IbLb0EEEEDaS11_S12_EUlS11_E_NS1_11comp_targetILNS1_3genE3ELNS1_11target_archE908ELNS1_3gpuE7ELNS1_3repE0EEENS1_30default_config_static_selectorELNS0_4arch9wavefront6targetE0EEEvT1_
		.amdhsa_group_segment_fixed_size 0
		.amdhsa_private_segment_fixed_size 0
		.amdhsa_kernarg_size 120
		.amdhsa_user_sgpr_count 15
		.amdhsa_user_sgpr_dispatch_ptr 0
		.amdhsa_user_sgpr_queue_ptr 0
		.amdhsa_user_sgpr_kernarg_segment_ptr 1
		.amdhsa_user_sgpr_dispatch_id 0
		.amdhsa_user_sgpr_private_segment_size 0
		.amdhsa_wavefront_size32 1
		.amdhsa_uses_dynamic_stack 0
		.amdhsa_enable_private_segment 0
		.amdhsa_system_sgpr_workgroup_id_x 1
		.amdhsa_system_sgpr_workgroup_id_y 0
		.amdhsa_system_sgpr_workgroup_id_z 0
		.amdhsa_system_sgpr_workgroup_info 0
		.amdhsa_system_vgpr_workitem_id 0
		.amdhsa_next_free_vgpr 1
		.amdhsa_next_free_sgpr 1
		.amdhsa_reserve_vcc 0
		.amdhsa_float_round_mode_32 0
		.amdhsa_float_round_mode_16_64 0
		.amdhsa_float_denorm_mode_32 3
		.amdhsa_float_denorm_mode_16_64 3
		.amdhsa_dx10_clamp 1
		.amdhsa_ieee_mode 1
		.amdhsa_fp16_overflow 0
		.amdhsa_workgroup_processor_mode 1
		.amdhsa_memory_ordered 1
		.amdhsa_forward_progress 0
		.amdhsa_shared_vgpr_count 0
		.amdhsa_exception_fp_ieee_invalid_op 0
		.amdhsa_exception_fp_denorm_src 0
		.amdhsa_exception_fp_ieee_div_zero 0
		.amdhsa_exception_fp_ieee_overflow 0
		.amdhsa_exception_fp_ieee_underflow 0
		.amdhsa_exception_fp_ieee_inexact 0
		.amdhsa_exception_int_div_zero 0
	.end_amdhsa_kernel
	.section	.text._ZN7rocprim17ROCPRIM_400000_NS6detail17trampoline_kernelINS0_14default_configENS1_25partition_config_selectorILNS1_17partition_subalgoE5ElNS0_10empty_typeEbEEZZNS1_14partition_implILS5_5ELb0ES3_mN6hipcub16HIPCUB_304000_NS21CountingInputIteratorIllEEPS6_NSA_22TransformInputIteratorIb7NonZeroIaEPalEENS0_5tupleIJPlS6_EEENSJ_IJSD_SD_EEES6_SK_JS6_EEE10hipError_tPvRmT3_T4_T5_T6_T7_T9_mT8_P12ihipStream_tbDpT10_ENKUlT_T0_E_clISt17integral_constantIbLb1EES15_IbLb0EEEEDaS11_S12_EUlS11_E_NS1_11comp_targetILNS1_3genE3ELNS1_11target_archE908ELNS1_3gpuE7ELNS1_3repE0EEENS1_30default_config_static_selectorELNS0_4arch9wavefront6targetE0EEEvT1_,"axG",@progbits,_ZN7rocprim17ROCPRIM_400000_NS6detail17trampoline_kernelINS0_14default_configENS1_25partition_config_selectorILNS1_17partition_subalgoE5ElNS0_10empty_typeEbEEZZNS1_14partition_implILS5_5ELb0ES3_mN6hipcub16HIPCUB_304000_NS21CountingInputIteratorIllEEPS6_NSA_22TransformInputIteratorIb7NonZeroIaEPalEENS0_5tupleIJPlS6_EEENSJ_IJSD_SD_EEES6_SK_JS6_EEE10hipError_tPvRmT3_T4_T5_T6_T7_T9_mT8_P12ihipStream_tbDpT10_ENKUlT_T0_E_clISt17integral_constantIbLb1EES15_IbLb0EEEEDaS11_S12_EUlS11_E_NS1_11comp_targetILNS1_3genE3ELNS1_11target_archE908ELNS1_3gpuE7ELNS1_3repE0EEENS1_30default_config_static_selectorELNS0_4arch9wavefront6targetE0EEEvT1_,comdat
.Lfunc_end66:
	.size	_ZN7rocprim17ROCPRIM_400000_NS6detail17trampoline_kernelINS0_14default_configENS1_25partition_config_selectorILNS1_17partition_subalgoE5ElNS0_10empty_typeEbEEZZNS1_14partition_implILS5_5ELb0ES3_mN6hipcub16HIPCUB_304000_NS21CountingInputIteratorIllEEPS6_NSA_22TransformInputIteratorIb7NonZeroIaEPalEENS0_5tupleIJPlS6_EEENSJ_IJSD_SD_EEES6_SK_JS6_EEE10hipError_tPvRmT3_T4_T5_T6_T7_T9_mT8_P12ihipStream_tbDpT10_ENKUlT_T0_E_clISt17integral_constantIbLb1EES15_IbLb0EEEEDaS11_S12_EUlS11_E_NS1_11comp_targetILNS1_3genE3ELNS1_11target_archE908ELNS1_3gpuE7ELNS1_3repE0EEENS1_30default_config_static_selectorELNS0_4arch9wavefront6targetE0EEEvT1_, .Lfunc_end66-_ZN7rocprim17ROCPRIM_400000_NS6detail17trampoline_kernelINS0_14default_configENS1_25partition_config_selectorILNS1_17partition_subalgoE5ElNS0_10empty_typeEbEEZZNS1_14partition_implILS5_5ELb0ES3_mN6hipcub16HIPCUB_304000_NS21CountingInputIteratorIllEEPS6_NSA_22TransformInputIteratorIb7NonZeroIaEPalEENS0_5tupleIJPlS6_EEENSJ_IJSD_SD_EEES6_SK_JS6_EEE10hipError_tPvRmT3_T4_T5_T6_T7_T9_mT8_P12ihipStream_tbDpT10_ENKUlT_T0_E_clISt17integral_constantIbLb1EES15_IbLb0EEEEDaS11_S12_EUlS11_E_NS1_11comp_targetILNS1_3genE3ELNS1_11target_archE908ELNS1_3gpuE7ELNS1_3repE0EEENS1_30default_config_static_selectorELNS0_4arch9wavefront6targetE0EEEvT1_
                                        ; -- End function
	.section	.AMDGPU.csdata,"",@progbits
; Kernel info:
; codeLenInByte = 0
; NumSgprs: 0
; NumVgprs: 0
; ScratchSize: 0
; MemoryBound: 0
; FloatMode: 240
; IeeeMode: 1
; LDSByteSize: 0 bytes/workgroup (compile time only)
; SGPRBlocks: 0
; VGPRBlocks: 0
; NumSGPRsForWavesPerEU: 1
; NumVGPRsForWavesPerEU: 1
; Occupancy: 16
; WaveLimiterHint : 0
; COMPUTE_PGM_RSRC2:SCRATCH_EN: 0
; COMPUTE_PGM_RSRC2:USER_SGPR: 15
; COMPUTE_PGM_RSRC2:TRAP_HANDLER: 0
; COMPUTE_PGM_RSRC2:TGID_X_EN: 1
; COMPUTE_PGM_RSRC2:TGID_Y_EN: 0
; COMPUTE_PGM_RSRC2:TGID_Z_EN: 0
; COMPUTE_PGM_RSRC2:TIDIG_COMP_CNT: 0
	.section	.text._ZN7rocprim17ROCPRIM_400000_NS6detail17trampoline_kernelINS0_14default_configENS1_25partition_config_selectorILNS1_17partition_subalgoE5ElNS0_10empty_typeEbEEZZNS1_14partition_implILS5_5ELb0ES3_mN6hipcub16HIPCUB_304000_NS21CountingInputIteratorIllEEPS6_NSA_22TransformInputIteratorIb7NonZeroIaEPalEENS0_5tupleIJPlS6_EEENSJ_IJSD_SD_EEES6_SK_JS6_EEE10hipError_tPvRmT3_T4_T5_T6_T7_T9_mT8_P12ihipStream_tbDpT10_ENKUlT_T0_E_clISt17integral_constantIbLb1EES15_IbLb0EEEEDaS11_S12_EUlS11_E_NS1_11comp_targetILNS1_3genE2ELNS1_11target_archE906ELNS1_3gpuE6ELNS1_3repE0EEENS1_30default_config_static_selectorELNS0_4arch9wavefront6targetE0EEEvT1_,"axG",@progbits,_ZN7rocprim17ROCPRIM_400000_NS6detail17trampoline_kernelINS0_14default_configENS1_25partition_config_selectorILNS1_17partition_subalgoE5ElNS0_10empty_typeEbEEZZNS1_14partition_implILS5_5ELb0ES3_mN6hipcub16HIPCUB_304000_NS21CountingInputIteratorIllEEPS6_NSA_22TransformInputIteratorIb7NonZeroIaEPalEENS0_5tupleIJPlS6_EEENSJ_IJSD_SD_EEES6_SK_JS6_EEE10hipError_tPvRmT3_T4_T5_T6_T7_T9_mT8_P12ihipStream_tbDpT10_ENKUlT_T0_E_clISt17integral_constantIbLb1EES15_IbLb0EEEEDaS11_S12_EUlS11_E_NS1_11comp_targetILNS1_3genE2ELNS1_11target_archE906ELNS1_3gpuE6ELNS1_3repE0EEENS1_30default_config_static_selectorELNS0_4arch9wavefront6targetE0EEEvT1_,comdat
	.protected	_ZN7rocprim17ROCPRIM_400000_NS6detail17trampoline_kernelINS0_14default_configENS1_25partition_config_selectorILNS1_17partition_subalgoE5ElNS0_10empty_typeEbEEZZNS1_14partition_implILS5_5ELb0ES3_mN6hipcub16HIPCUB_304000_NS21CountingInputIteratorIllEEPS6_NSA_22TransformInputIteratorIb7NonZeroIaEPalEENS0_5tupleIJPlS6_EEENSJ_IJSD_SD_EEES6_SK_JS6_EEE10hipError_tPvRmT3_T4_T5_T6_T7_T9_mT8_P12ihipStream_tbDpT10_ENKUlT_T0_E_clISt17integral_constantIbLb1EES15_IbLb0EEEEDaS11_S12_EUlS11_E_NS1_11comp_targetILNS1_3genE2ELNS1_11target_archE906ELNS1_3gpuE6ELNS1_3repE0EEENS1_30default_config_static_selectorELNS0_4arch9wavefront6targetE0EEEvT1_ ; -- Begin function _ZN7rocprim17ROCPRIM_400000_NS6detail17trampoline_kernelINS0_14default_configENS1_25partition_config_selectorILNS1_17partition_subalgoE5ElNS0_10empty_typeEbEEZZNS1_14partition_implILS5_5ELb0ES3_mN6hipcub16HIPCUB_304000_NS21CountingInputIteratorIllEEPS6_NSA_22TransformInputIteratorIb7NonZeroIaEPalEENS0_5tupleIJPlS6_EEENSJ_IJSD_SD_EEES6_SK_JS6_EEE10hipError_tPvRmT3_T4_T5_T6_T7_T9_mT8_P12ihipStream_tbDpT10_ENKUlT_T0_E_clISt17integral_constantIbLb1EES15_IbLb0EEEEDaS11_S12_EUlS11_E_NS1_11comp_targetILNS1_3genE2ELNS1_11target_archE906ELNS1_3gpuE6ELNS1_3repE0EEENS1_30default_config_static_selectorELNS0_4arch9wavefront6targetE0EEEvT1_
	.globl	_ZN7rocprim17ROCPRIM_400000_NS6detail17trampoline_kernelINS0_14default_configENS1_25partition_config_selectorILNS1_17partition_subalgoE5ElNS0_10empty_typeEbEEZZNS1_14partition_implILS5_5ELb0ES3_mN6hipcub16HIPCUB_304000_NS21CountingInputIteratorIllEEPS6_NSA_22TransformInputIteratorIb7NonZeroIaEPalEENS0_5tupleIJPlS6_EEENSJ_IJSD_SD_EEES6_SK_JS6_EEE10hipError_tPvRmT3_T4_T5_T6_T7_T9_mT8_P12ihipStream_tbDpT10_ENKUlT_T0_E_clISt17integral_constantIbLb1EES15_IbLb0EEEEDaS11_S12_EUlS11_E_NS1_11comp_targetILNS1_3genE2ELNS1_11target_archE906ELNS1_3gpuE6ELNS1_3repE0EEENS1_30default_config_static_selectorELNS0_4arch9wavefront6targetE0EEEvT1_
	.p2align	8
	.type	_ZN7rocprim17ROCPRIM_400000_NS6detail17trampoline_kernelINS0_14default_configENS1_25partition_config_selectorILNS1_17partition_subalgoE5ElNS0_10empty_typeEbEEZZNS1_14partition_implILS5_5ELb0ES3_mN6hipcub16HIPCUB_304000_NS21CountingInputIteratorIllEEPS6_NSA_22TransformInputIteratorIb7NonZeroIaEPalEENS0_5tupleIJPlS6_EEENSJ_IJSD_SD_EEES6_SK_JS6_EEE10hipError_tPvRmT3_T4_T5_T6_T7_T9_mT8_P12ihipStream_tbDpT10_ENKUlT_T0_E_clISt17integral_constantIbLb1EES15_IbLb0EEEEDaS11_S12_EUlS11_E_NS1_11comp_targetILNS1_3genE2ELNS1_11target_archE906ELNS1_3gpuE6ELNS1_3repE0EEENS1_30default_config_static_selectorELNS0_4arch9wavefront6targetE0EEEvT1_,@function
_ZN7rocprim17ROCPRIM_400000_NS6detail17trampoline_kernelINS0_14default_configENS1_25partition_config_selectorILNS1_17partition_subalgoE5ElNS0_10empty_typeEbEEZZNS1_14partition_implILS5_5ELb0ES3_mN6hipcub16HIPCUB_304000_NS21CountingInputIteratorIllEEPS6_NSA_22TransformInputIteratorIb7NonZeroIaEPalEENS0_5tupleIJPlS6_EEENSJ_IJSD_SD_EEES6_SK_JS6_EEE10hipError_tPvRmT3_T4_T5_T6_T7_T9_mT8_P12ihipStream_tbDpT10_ENKUlT_T0_E_clISt17integral_constantIbLb1EES15_IbLb0EEEEDaS11_S12_EUlS11_E_NS1_11comp_targetILNS1_3genE2ELNS1_11target_archE906ELNS1_3gpuE6ELNS1_3repE0EEENS1_30default_config_static_selectorELNS0_4arch9wavefront6targetE0EEEvT1_: ; @_ZN7rocprim17ROCPRIM_400000_NS6detail17trampoline_kernelINS0_14default_configENS1_25partition_config_selectorILNS1_17partition_subalgoE5ElNS0_10empty_typeEbEEZZNS1_14partition_implILS5_5ELb0ES3_mN6hipcub16HIPCUB_304000_NS21CountingInputIteratorIllEEPS6_NSA_22TransformInputIteratorIb7NonZeroIaEPalEENS0_5tupleIJPlS6_EEENSJ_IJSD_SD_EEES6_SK_JS6_EEE10hipError_tPvRmT3_T4_T5_T6_T7_T9_mT8_P12ihipStream_tbDpT10_ENKUlT_T0_E_clISt17integral_constantIbLb1EES15_IbLb0EEEEDaS11_S12_EUlS11_E_NS1_11comp_targetILNS1_3genE2ELNS1_11target_archE906ELNS1_3gpuE6ELNS1_3repE0EEENS1_30default_config_static_selectorELNS0_4arch9wavefront6targetE0EEEvT1_
; %bb.0:
	.section	.rodata,"a",@progbits
	.p2align	6, 0x0
	.amdhsa_kernel _ZN7rocprim17ROCPRIM_400000_NS6detail17trampoline_kernelINS0_14default_configENS1_25partition_config_selectorILNS1_17partition_subalgoE5ElNS0_10empty_typeEbEEZZNS1_14partition_implILS5_5ELb0ES3_mN6hipcub16HIPCUB_304000_NS21CountingInputIteratorIllEEPS6_NSA_22TransformInputIteratorIb7NonZeroIaEPalEENS0_5tupleIJPlS6_EEENSJ_IJSD_SD_EEES6_SK_JS6_EEE10hipError_tPvRmT3_T4_T5_T6_T7_T9_mT8_P12ihipStream_tbDpT10_ENKUlT_T0_E_clISt17integral_constantIbLb1EES15_IbLb0EEEEDaS11_S12_EUlS11_E_NS1_11comp_targetILNS1_3genE2ELNS1_11target_archE906ELNS1_3gpuE6ELNS1_3repE0EEENS1_30default_config_static_selectorELNS0_4arch9wavefront6targetE0EEEvT1_
		.amdhsa_group_segment_fixed_size 0
		.amdhsa_private_segment_fixed_size 0
		.amdhsa_kernarg_size 120
		.amdhsa_user_sgpr_count 15
		.amdhsa_user_sgpr_dispatch_ptr 0
		.amdhsa_user_sgpr_queue_ptr 0
		.amdhsa_user_sgpr_kernarg_segment_ptr 1
		.amdhsa_user_sgpr_dispatch_id 0
		.amdhsa_user_sgpr_private_segment_size 0
		.amdhsa_wavefront_size32 1
		.amdhsa_uses_dynamic_stack 0
		.amdhsa_enable_private_segment 0
		.amdhsa_system_sgpr_workgroup_id_x 1
		.amdhsa_system_sgpr_workgroup_id_y 0
		.amdhsa_system_sgpr_workgroup_id_z 0
		.amdhsa_system_sgpr_workgroup_info 0
		.amdhsa_system_vgpr_workitem_id 0
		.amdhsa_next_free_vgpr 1
		.amdhsa_next_free_sgpr 1
		.amdhsa_reserve_vcc 0
		.amdhsa_float_round_mode_32 0
		.amdhsa_float_round_mode_16_64 0
		.amdhsa_float_denorm_mode_32 3
		.amdhsa_float_denorm_mode_16_64 3
		.amdhsa_dx10_clamp 1
		.amdhsa_ieee_mode 1
		.amdhsa_fp16_overflow 0
		.amdhsa_workgroup_processor_mode 1
		.amdhsa_memory_ordered 1
		.amdhsa_forward_progress 0
		.amdhsa_shared_vgpr_count 0
		.amdhsa_exception_fp_ieee_invalid_op 0
		.amdhsa_exception_fp_denorm_src 0
		.amdhsa_exception_fp_ieee_div_zero 0
		.amdhsa_exception_fp_ieee_overflow 0
		.amdhsa_exception_fp_ieee_underflow 0
		.amdhsa_exception_fp_ieee_inexact 0
		.amdhsa_exception_int_div_zero 0
	.end_amdhsa_kernel
	.section	.text._ZN7rocprim17ROCPRIM_400000_NS6detail17trampoline_kernelINS0_14default_configENS1_25partition_config_selectorILNS1_17partition_subalgoE5ElNS0_10empty_typeEbEEZZNS1_14partition_implILS5_5ELb0ES3_mN6hipcub16HIPCUB_304000_NS21CountingInputIteratorIllEEPS6_NSA_22TransformInputIteratorIb7NonZeroIaEPalEENS0_5tupleIJPlS6_EEENSJ_IJSD_SD_EEES6_SK_JS6_EEE10hipError_tPvRmT3_T4_T5_T6_T7_T9_mT8_P12ihipStream_tbDpT10_ENKUlT_T0_E_clISt17integral_constantIbLb1EES15_IbLb0EEEEDaS11_S12_EUlS11_E_NS1_11comp_targetILNS1_3genE2ELNS1_11target_archE906ELNS1_3gpuE6ELNS1_3repE0EEENS1_30default_config_static_selectorELNS0_4arch9wavefront6targetE0EEEvT1_,"axG",@progbits,_ZN7rocprim17ROCPRIM_400000_NS6detail17trampoline_kernelINS0_14default_configENS1_25partition_config_selectorILNS1_17partition_subalgoE5ElNS0_10empty_typeEbEEZZNS1_14partition_implILS5_5ELb0ES3_mN6hipcub16HIPCUB_304000_NS21CountingInputIteratorIllEEPS6_NSA_22TransformInputIteratorIb7NonZeroIaEPalEENS0_5tupleIJPlS6_EEENSJ_IJSD_SD_EEES6_SK_JS6_EEE10hipError_tPvRmT3_T4_T5_T6_T7_T9_mT8_P12ihipStream_tbDpT10_ENKUlT_T0_E_clISt17integral_constantIbLb1EES15_IbLb0EEEEDaS11_S12_EUlS11_E_NS1_11comp_targetILNS1_3genE2ELNS1_11target_archE906ELNS1_3gpuE6ELNS1_3repE0EEENS1_30default_config_static_selectorELNS0_4arch9wavefront6targetE0EEEvT1_,comdat
.Lfunc_end67:
	.size	_ZN7rocprim17ROCPRIM_400000_NS6detail17trampoline_kernelINS0_14default_configENS1_25partition_config_selectorILNS1_17partition_subalgoE5ElNS0_10empty_typeEbEEZZNS1_14partition_implILS5_5ELb0ES3_mN6hipcub16HIPCUB_304000_NS21CountingInputIteratorIllEEPS6_NSA_22TransformInputIteratorIb7NonZeroIaEPalEENS0_5tupleIJPlS6_EEENSJ_IJSD_SD_EEES6_SK_JS6_EEE10hipError_tPvRmT3_T4_T5_T6_T7_T9_mT8_P12ihipStream_tbDpT10_ENKUlT_T0_E_clISt17integral_constantIbLb1EES15_IbLb0EEEEDaS11_S12_EUlS11_E_NS1_11comp_targetILNS1_3genE2ELNS1_11target_archE906ELNS1_3gpuE6ELNS1_3repE0EEENS1_30default_config_static_selectorELNS0_4arch9wavefront6targetE0EEEvT1_, .Lfunc_end67-_ZN7rocprim17ROCPRIM_400000_NS6detail17trampoline_kernelINS0_14default_configENS1_25partition_config_selectorILNS1_17partition_subalgoE5ElNS0_10empty_typeEbEEZZNS1_14partition_implILS5_5ELb0ES3_mN6hipcub16HIPCUB_304000_NS21CountingInputIteratorIllEEPS6_NSA_22TransformInputIteratorIb7NonZeroIaEPalEENS0_5tupleIJPlS6_EEENSJ_IJSD_SD_EEES6_SK_JS6_EEE10hipError_tPvRmT3_T4_T5_T6_T7_T9_mT8_P12ihipStream_tbDpT10_ENKUlT_T0_E_clISt17integral_constantIbLb1EES15_IbLb0EEEEDaS11_S12_EUlS11_E_NS1_11comp_targetILNS1_3genE2ELNS1_11target_archE906ELNS1_3gpuE6ELNS1_3repE0EEENS1_30default_config_static_selectorELNS0_4arch9wavefront6targetE0EEEvT1_
                                        ; -- End function
	.section	.AMDGPU.csdata,"",@progbits
; Kernel info:
; codeLenInByte = 0
; NumSgprs: 0
; NumVgprs: 0
; ScratchSize: 0
; MemoryBound: 0
; FloatMode: 240
; IeeeMode: 1
; LDSByteSize: 0 bytes/workgroup (compile time only)
; SGPRBlocks: 0
; VGPRBlocks: 0
; NumSGPRsForWavesPerEU: 1
; NumVGPRsForWavesPerEU: 1
; Occupancy: 16
; WaveLimiterHint : 0
; COMPUTE_PGM_RSRC2:SCRATCH_EN: 0
; COMPUTE_PGM_RSRC2:USER_SGPR: 15
; COMPUTE_PGM_RSRC2:TRAP_HANDLER: 0
; COMPUTE_PGM_RSRC2:TGID_X_EN: 1
; COMPUTE_PGM_RSRC2:TGID_Y_EN: 0
; COMPUTE_PGM_RSRC2:TGID_Z_EN: 0
; COMPUTE_PGM_RSRC2:TIDIG_COMP_CNT: 0
	.section	.text._ZN7rocprim17ROCPRIM_400000_NS6detail17trampoline_kernelINS0_14default_configENS1_25partition_config_selectorILNS1_17partition_subalgoE5ElNS0_10empty_typeEbEEZZNS1_14partition_implILS5_5ELb0ES3_mN6hipcub16HIPCUB_304000_NS21CountingInputIteratorIllEEPS6_NSA_22TransformInputIteratorIb7NonZeroIaEPalEENS0_5tupleIJPlS6_EEENSJ_IJSD_SD_EEES6_SK_JS6_EEE10hipError_tPvRmT3_T4_T5_T6_T7_T9_mT8_P12ihipStream_tbDpT10_ENKUlT_T0_E_clISt17integral_constantIbLb1EES15_IbLb0EEEEDaS11_S12_EUlS11_E_NS1_11comp_targetILNS1_3genE10ELNS1_11target_archE1200ELNS1_3gpuE4ELNS1_3repE0EEENS1_30default_config_static_selectorELNS0_4arch9wavefront6targetE0EEEvT1_,"axG",@progbits,_ZN7rocprim17ROCPRIM_400000_NS6detail17trampoline_kernelINS0_14default_configENS1_25partition_config_selectorILNS1_17partition_subalgoE5ElNS0_10empty_typeEbEEZZNS1_14partition_implILS5_5ELb0ES3_mN6hipcub16HIPCUB_304000_NS21CountingInputIteratorIllEEPS6_NSA_22TransformInputIteratorIb7NonZeroIaEPalEENS0_5tupleIJPlS6_EEENSJ_IJSD_SD_EEES6_SK_JS6_EEE10hipError_tPvRmT3_T4_T5_T6_T7_T9_mT8_P12ihipStream_tbDpT10_ENKUlT_T0_E_clISt17integral_constantIbLb1EES15_IbLb0EEEEDaS11_S12_EUlS11_E_NS1_11comp_targetILNS1_3genE10ELNS1_11target_archE1200ELNS1_3gpuE4ELNS1_3repE0EEENS1_30default_config_static_selectorELNS0_4arch9wavefront6targetE0EEEvT1_,comdat
	.protected	_ZN7rocprim17ROCPRIM_400000_NS6detail17trampoline_kernelINS0_14default_configENS1_25partition_config_selectorILNS1_17partition_subalgoE5ElNS0_10empty_typeEbEEZZNS1_14partition_implILS5_5ELb0ES3_mN6hipcub16HIPCUB_304000_NS21CountingInputIteratorIllEEPS6_NSA_22TransformInputIteratorIb7NonZeroIaEPalEENS0_5tupleIJPlS6_EEENSJ_IJSD_SD_EEES6_SK_JS6_EEE10hipError_tPvRmT3_T4_T5_T6_T7_T9_mT8_P12ihipStream_tbDpT10_ENKUlT_T0_E_clISt17integral_constantIbLb1EES15_IbLb0EEEEDaS11_S12_EUlS11_E_NS1_11comp_targetILNS1_3genE10ELNS1_11target_archE1200ELNS1_3gpuE4ELNS1_3repE0EEENS1_30default_config_static_selectorELNS0_4arch9wavefront6targetE0EEEvT1_ ; -- Begin function _ZN7rocprim17ROCPRIM_400000_NS6detail17trampoline_kernelINS0_14default_configENS1_25partition_config_selectorILNS1_17partition_subalgoE5ElNS0_10empty_typeEbEEZZNS1_14partition_implILS5_5ELb0ES3_mN6hipcub16HIPCUB_304000_NS21CountingInputIteratorIllEEPS6_NSA_22TransformInputIteratorIb7NonZeroIaEPalEENS0_5tupleIJPlS6_EEENSJ_IJSD_SD_EEES6_SK_JS6_EEE10hipError_tPvRmT3_T4_T5_T6_T7_T9_mT8_P12ihipStream_tbDpT10_ENKUlT_T0_E_clISt17integral_constantIbLb1EES15_IbLb0EEEEDaS11_S12_EUlS11_E_NS1_11comp_targetILNS1_3genE10ELNS1_11target_archE1200ELNS1_3gpuE4ELNS1_3repE0EEENS1_30default_config_static_selectorELNS0_4arch9wavefront6targetE0EEEvT1_
	.globl	_ZN7rocprim17ROCPRIM_400000_NS6detail17trampoline_kernelINS0_14default_configENS1_25partition_config_selectorILNS1_17partition_subalgoE5ElNS0_10empty_typeEbEEZZNS1_14partition_implILS5_5ELb0ES3_mN6hipcub16HIPCUB_304000_NS21CountingInputIteratorIllEEPS6_NSA_22TransformInputIteratorIb7NonZeroIaEPalEENS0_5tupleIJPlS6_EEENSJ_IJSD_SD_EEES6_SK_JS6_EEE10hipError_tPvRmT3_T4_T5_T6_T7_T9_mT8_P12ihipStream_tbDpT10_ENKUlT_T0_E_clISt17integral_constantIbLb1EES15_IbLb0EEEEDaS11_S12_EUlS11_E_NS1_11comp_targetILNS1_3genE10ELNS1_11target_archE1200ELNS1_3gpuE4ELNS1_3repE0EEENS1_30default_config_static_selectorELNS0_4arch9wavefront6targetE0EEEvT1_
	.p2align	8
	.type	_ZN7rocprim17ROCPRIM_400000_NS6detail17trampoline_kernelINS0_14default_configENS1_25partition_config_selectorILNS1_17partition_subalgoE5ElNS0_10empty_typeEbEEZZNS1_14partition_implILS5_5ELb0ES3_mN6hipcub16HIPCUB_304000_NS21CountingInputIteratorIllEEPS6_NSA_22TransformInputIteratorIb7NonZeroIaEPalEENS0_5tupleIJPlS6_EEENSJ_IJSD_SD_EEES6_SK_JS6_EEE10hipError_tPvRmT3_T4_T5_T6_T7_T9_mT8_P12ihipStream_tbDpT10_ENKUlT_T0_E_clISt17integral_constantIbLb1EES15_IbLb0EEEEDaS11_S12_EUlS11_E_NS1_11comp_targetILNS1_3genE10ELNS1_11target_archE1200ELNS1_3gpuE4ELNS1_3repE0EEENS1_30default_config_static_selectorELNS0_4arch9wavefront6targetE0EEEvT1_,@function
_ZN7rocprim17ROCPRIM_400000_NS6detail17trampoline_kernelINS0_14default_configENS1_25partition_config_selectorILNS1_17partition_subalgoE5ElNS0_10empty_typeEbEEZZNS1_14partition_implILS5_5ELb0ES3_mN6hipcub16HIPCUB_304000_NS21CountingInputIteratorIllEEPS6_NSA_22TransformInputIteratorIb7NonZeroIaEPalEENS0_5tupleIJPlS6_EEENSJ_IJSD_SD_EEES6_SK_JS6_EEE10hipError_tPvRmT3_T4_T5_T6_T7_T9_mT8_P12ihipStream_tbDpT10_ENKUlT_T0_E_clISt17integral_constantIbLb1EES15_IbLb0EEEEDaS11_S12_EUlS11_E_NS1_11comp_targetILNS1_3genE10ELNS1_11target_archE1200ELNS1_3gpuE4ELNS1_3repE0EEENS1_30default_config_static_selectorELNS0_4arch9wavefront6targetE0EEEvT1_: ; @_ZN7rocprim17ROCPRIM_400000_NS6detail17trampoline_kernelINS0_14default_configENS1_25partition_config_selectorILNS1_17partition_subalgoE5ElNS0_10empty_typeEbEEZZNS1_14partition_implILS5_5ELb0ES3_mN6hipcub16HIPCUB_304000_NS21CountingInputIteratorIllEEPS6_NSA_22TransformInputIteratorIb7NonZeroIaEPalEENS0_5tupleIJPlS6_EEENSJ_IJSD_SD_EEES6_SK_JS6_EEE10hipError_tPvRmT3_T4_T5_T6_T7_T9_mT8_P12ihipStream_tbDpT10_ENKUlT_T0_E_clISt17integral_constantIbLb1EES15_IbLb0EEEEDaS11_S12_EUlS11_E_NS1_11comp_targetILNS1_3genE10ELNS1_11target_archE1200ELNS1_3gpuE4ELNS1_3repE0EEENS1_30default_config_static_selectorELNS0_4arch9wavefront6targetE0EEEvT1_
; %bb.0:
	.section	.rodata,"a",@progbits
	.p2align	6, 0x0
	.amdhsa_kernel _ZN7rocprim17ROCPRIM_400000_NS6detail17trampoline_kernelINS0_14default_configENS1_25partition_config_selectorILNS1_17partition_subalgoE5ElNS0_10empty_typeEbEEZZNS1_14partition_implILS5_5ELb0ES3_mN6hipcub16HIPCUB_304000_NS21CountingInputIteratorIllEEPS6_NSA_22TransformInputIteratorIb7NonZeroIaEPalEENS0_5tupleIJPlS6_EEENSJ_IJSD_SD_EEES6_SK_JS6_EEE10hipError_tPvRmT3_T4_T5_T6_T7_T9_mT8_P12ihipStream_tbDpT10_ENKUlT_T0_E_clISt17integral_constantIbLb1EES15_IbLb0EEEEDaS11_S12_EUlS11_E_NS1_11comp_targetILNS1_3genE10ELNS1_11target_archE1200ELNS1_3gpuE4ELNS1_3repE0EEENS1_30default_config_static_selectorELNS0_4arch9wavefront6targetE0EEEvT1_
		.amdhsa_group_segment_fixed_size 0
		.amdhsa_private_segment_fixed_size 0
		.amdhsa_kernarg_size 120
		.amdhsa_user_sgpr_count 15
		.amdhsa_user_sgpr_dispatch_ptr 0
		.amdhsa_user_sgpr_queue_ptr 0
		.amdhsa_user_sgpr_kernarg_segment_ptr 1
		.amdhsa_user_sgpr_dispatch_id 0
		.amdhsa_user_sgpr_private_segment_size 0
		.amdhsa_wavefront_size32 1
		.amdhsa_uses_dynamic_stack 0
		.amdhsa_enable_private_segment 0
		.amdhsa_system_sgpr_workgroup_id_x 1
		.amdhsa_system_sgpr_workgroup_id_y 0
		.amdhsa_system_sgpr_workgroup_id_z 0
		.amdhsa_system_sgpr_workgroup_info 0
		.amdhsa_system_vgpr_workitem_id 0
		.amdhsa_next_free_vgpr 1
		.amdhsa_next_free_sgpr 1
		.amdhsa_reserve_vcc 0
		.amdhsa_float_round_mode_32 0
		.amdhsa_float_round_mode_16_64 0
		.amdhsa_float_denorm_mode_32 3
		.amdhsa_float_denorm_mode_16_64 3
		.amdhsa_dx10_clamp 1
		.amdhsa_ieee_mode 1
		.amdhsa_fp16_overflow 0
		.amdhsa_workgroup_processor_mode 1
		.amdhsa_memory_ordered 1
		.amdhsa_forward_progress 0
		.amdhsa_shared_vgpr_count 0
		.amdhsa_exception_fp_ieee_invalid_op 0
		.amdhsa_exception_fp_denorm_src 0
		.amdhsa_exception_fp_ieee_div_zero 0
		.amdhsa_exception_fp_ieee_overflow 0
		.amdhsa_exception_fp_ieee_underflow 0
		.amdhsa_exception_fp_ieee_inexact 0
		.amdhsa_exception_int_div_zero 0
	.end_amdhsa_kernel
	.section	.text._ZN7rocprim17ROCPRIM_400000_NS6detail17trampoline_kernelINS0_14default_configENS1_25partition_config_selectorILNS1_17partition_subalgoE5ElNS0_10empty_typeEbEEZZNS1_14partition_implILS5_5ELb0ES3_mN6hipcub16HIPCUB_304000_NS21CountingInputIteratorIllEEPS6_NSA_22TransformInputIteratorIb7NonZeroIaEPalEENS0_5tupleIJPlS6_EEENSJ_IJSD_SD_EEES6_SK_JS6_EEE10hipError_tPvRmT3_T4_T5_T6_T7_T9_mT8_P12ihipStream_tbDpT10_ENKUlT_T0_E_clISt17integral_constantIbLb1EES15_IbLb0EEEEDaS11_S12_EUlS11_E_NS1_11comp_targetILNS1_3genE10ELNS1_11target_archE1200ELNS1_3gpuE4ELNS1_3repE0EEENS1_30default_config_static_selectorELNS0_4arch9wavefront6targetE0EEEvT1_,"axG",@progbits,_ZN7rocprim17ROCPRIM_400000_NS6detail17trampoline_kernelINS0_14default_configENS1_25partition_config_selectorILNS1_17partition_subalgoE5ElNS0_10empty_typeEbEEZZNS1_14partition_implILS5_5ELb0ES3_mN6hipcub16HIPCUB_304000_NS21CountingInputIteratorIllEEPS6_NSA_22TransformInputIteratorIb7NonZeroIaEPalEENS0_5tupleIJPlS6_EEENSJ_IJSD_SD_EEES6_SK_JS6_EEE10hipError_tPvRmT3_T4_T5_T6_T7_T9_mT8_P12ihipStream_tbDpT10_ENKUlT_T0_E_clISt17integral_constantIbLb1EES15_IbLb0EEEEDaS11_S12_EUlS11_E_NS1_11comp_targetILNS1_3genE10ELNS1_11target_archE1200ELNS1_3gpuE4ELNS1_3repE0EEENS1_30default_config_static_selectorELNS0_4arch9wavefront6targetE0EEEvT1_,comdat
.Lfunc_end68:
	.size	_ZN7rocprim17ROCPRIM_400000_NS6detail17trampoline_kernelINS0_14default_configENS1_25partition_config_selectorILNS1_17partition_subalgoE5ElNS0_10empty_typeEbEEZZNS1_14partition_implILS5_5ELb0ES3_mN6hipcub16HIPCUB_304000_NS21CountingInputIteratorIllEEPS6_NSA_22TransformInputIteratorIb7NonZeroIaEPalEENS0_5tupleIJPlS6_EEENSJ_IJSD_SD_EEES6_SK_JS6_EEE10hipError_tPvRmT3_T4_T5_T6_T7_T9_mT8_P12ihipStream_tbDpT10_ENKUlT_T0_E_clISt17integral_constantIbLb1EES15_IbLb0EEEEDaS11_S12_EUlS11_E_NS1_11comp_targetILNS1_3genE10ELNS1_11target_archE1200ELNS1_3gpuE4ELNS1_3repE0EEENS1_30default_config_static_selectorELNS0_4arch9wavefront6targetE0EEEvT1_, .Lfunc_end68-_ZN7rocprim17ROCPRIM_400000_NS6detail17trampoline_kernelINS0_14default_configENS1_25partition_config_selectorILNS1_17partition_subalgoE5ElNS0_10empty_typeEbEEZZNS1_14partition_implILS5_5ELb0ES3_mN6hipcub16HIPCUB_304000_NS21CountingInputIteratorIllEEPS6_NSA_22TransformInputIteratorIb7NonZeroIaEPalEENS0_5tupleIJPlS6_EEENSJ_IJSD_SD_EEES6_SK_JS6_EEE10hipError_tPvRmT3_T4_T5_T6_T7_T9_mT8_P12ihipStream_tbDpT10_ENKUlT_T0_E_clISt17integral_constantIbLb1EES15_IbLb0EEEEDaS11_S12_EUlS11_E_NS1_11comp_targetILNS1_3genE10ELNS1_11target_archE1200ELNS1_3gpuE4ELNS1_3repE0EEENS1_30default_config_static_selectorELNS0_4arch9wavefront6targetE0EEEvT1_
                                        ; -- End function
	.section	.AMDGPU.csdata,"",@progbits
; Kernel info:
; codeLenInByte = 0
; NumSgprs: 0
; NumVgprs: 0
; ScratchSize: 0
; MemoryBound: 0
; FloatMode: 240
; IeeeMode: 1
; LDSByteSize: 0 bytes/workgroup (compile time only)
; SGPRBlocks: 0
; VGPRBlocks: 0
; NumSGPRsForWavesPerEU: 1
; NumVGPRsForWavesPerEU: 1
; Occupancy: 16
; WaveLimiterHint : 0
; COMPUTE_PGM_RSRC2:SCRATCH_EN: 0
; COMPUTE_PGM_RSRC2:USER_SGPR: 15
; COMPUTE_PGM_RSRC2:TRAP_HANDLER: 0
; COMPUTE_PGM_RSRC2:TGID_X_EN: 1
; COMPUTE_PGM_RSRC2:TGID_Y_EN: 0
; COMPUTE_PGM_RSRC2:TGID_Z_EN: 0
; COMPUTE_PGM_RSRC2:TIDIG_COMP_CNT: 0
	.section	.text._ZN7rocprim17ROCPRIM_400000_NS6detail17trampoline_kernelINS0_14default_configENS1_25partition_config_selectorILNS1_17partition_subalgoE5ElNS0_10empty_typeEbEEZZNS1_14partition_implILS5_5ELb0ES3_mN6hipcub16HIPCUB_304000_NS21CountingInputIteratorIllEEPS6_NSA_22TransformInputIteratorIb7NonZeroIaEPalEENS0_5tupleIJPlS6_EEENSJ_IJSD_SD_EEES6_SK_JS6_EEE10hipError_tPvRmT3_T4_T5_T6_T7_T9_mT8_P12ihipStream_tbDpT10_ENKUlT_T0_E_clISt17integral_constantIbLb1EES15_IbLb0EEEEDaS11_S12_EUlS11_E_NS1_11comp_targetILNS1_3genE9ELNS1_11target_archE1100ELNS1_3gpuE3ELNS1_3repE0EEENS1_30default_config_static_selectorELNS0_4arch9wavefront6targetE0EEEvT1_,"axG",@progbits,_ZN7rocprim17ROCPRIM_400000_NS6detail17trampoline_kernelINS0_14default_configENS1_25partition_config_selectorILNS1_17partition_subalgoE5ElNS0_10empty_typeEbEEZZNS1_14partition_implILS5_5ELb0ES3_mN6hipcub16HIPCUB_304000_NS21CountingInputIteratorIllEEPS6_NSA_22TransformInputIteratorIb7NonZeroIaEPalEENS0_5tupleIJPlS6_EEENSJ_IJSD_SD_EEES6_SK_JS6_EEE10hipError_tPvRmT3_T4_T5_T6_T7_T9_mT8_P12ihipStream_tbDpT10_ENKUlT_T0_E_clISt17integral_constantIbLb1EES15_IbLb0EEEEDaS11_S12_EUlS11_E_NS1_11comp_targetILNS1_3genE9ELNS1_11target_archE1100ELNS1_3gpuE3ELNS1_3repE0EEENS1_30default_config_static_selectorELNS0_4arch9wavefront6targetE0EEEvT1_,comdat
	.protected	_ZN7rocprim17ROCPRIM_400000_NS6detail17trampoline_kernelINS0_14default_configENS1_25partition_config_selectorILNS1_17partition_subalgoE5ElNS0_10empty_typeEbEEZZNS1_14partition_implILS5_5ELb0ES3_mN6hipcub16HIPCUB_304000_NS21CountingInputIteratorIllEEPS6_NSA_22TransformInputIteratorIb7NonZeroIaEPalEENS0_5tupleIJPlS6_EEENSJ_IJSD_SD_EEES6_SK_JS6_EEE10hipError_tPvRmT3_T4_T5_T6_T7_T9_mT8_P12ihipStream_tbDpT10_ENKUlT_T0_E_clISt17integral_constantIbLb1EES15_IbLb0EEEEDaS11_S12_EUlS11_E_NS1_11comp_targetILNS1_3genE9ELNS1_11target_archE1100ELNS1_3gpuE3ELNS1_3repE0EEENS1_30default_config_static_selectorELNS0_4arch9wavefront6targetE0EEEvT1_ ; -- Begin function _ZN7rocprim17ROCPRIM_400000_NS6detail17trampoline_kernelINS0_14default_configENS1_25partition_config_selectorILNS1_17partition_subalgoE5ElNS0_10empty_typeEbEEZZNS1_14partition_implILS5_5ELb0ES3_mN6hipcub16HIPCUB_304000_NS21CountingInputIteratorIllEEPS6_NSA_22TransformInputIteratorIb7NonZeroIaEPalEENS0_5tupleIJPlS6_EEENSJ_IJSD_SD_EEES6_SK_JS6_EEE10hipError_tPvRmT3_T4_T5_T6_T7_T9_mT8_P12ihipStream_tbDpT10_ENKUlT_T0_E_clISt17integral_constantIbLb1EES15_IbLb0EEEEDaS11_S12_EUlS11_E_NS1_11comp_targetILNS1_3genE9ELNS1_11target_archE1100ELNS1_3gpuE3ELNS1_3repE0EEENS1_30default_config_static_selectorELNS0_4arch9wavefront6targetE0EEEvT1_
	.globl	_ZN7rocprim17ROCPRIM_400000_NS6detail17trampoline_kernelINS0_14default_configENS1_25partition_config_selectorILNS1_17partition_subalgoE5ElNS0_10empty_typeEbEEZZNS1_14partition_implILS5_5ELb0ES3_mN6hipcub16HIPCUB_304000_NS21CountingInputIteratorIllEEPS6_NSA_22TransformInputIteratorIb7NonZeroIaEPalEENS0_5tupleIJPlS6_EEENSJ_IJSD_SD_EEES6_SK_JS6_EEE10hipError_tPvRmT3_T4_T5_T6_T7_T9_mT8_P12ihipStream_tbDpT10_ENKUlT_T0_E_clISt17integral_constantIbLb1EES15_IbLb0EEEEDaS11_S12_EUlS11_E_NS1_11comp_targetILNS1_3genE9ELNS1_11target_archE1100ELNS1_3gpuE3ELNS1_3repE0EEENS1_30default_config_static_selectorELNS0_4arch9wavefront6targetE0EEEvT1_
	.p2align	8
	.type	_ZN7rocprim17ROCPRIM_400000_NS6detail17trampoline_kernelINS0_14default_configENS1_25partition_config_selectorILNS1_17partition_subalgoE5ElNS0_10empty_typeEbEEZZNS1_14partition_implILS5_5ELb0ES3_mN6hipcub16HIPCUB_304000_NS21CountingInputIteratorIllEEPS6_NSA_22TransformInputIteratorIb7NonZeroIaEPalEENS0_5tupleIJPlS6_EEENSJ_IJSD_SD_EEES6_SK_JS6_EEE10hipError_tPvRmT3_T4_T5_T6_T7_T9_mT8_P12ihipStream_tbDpT10_ENKUlT_T0_E_clISt17integral_constantIbLb1EES15_IbLb0EEEEDaS11_S12_EUlS11_E_NS1_11comp_targetILNS1_3genE9ELNS1_11target_archE1100ELNS1_3gpuE3ELNS1_3repE0EEENS1_30default_config_static_selectorELNS0_4arch9wavefront6targetE0EEEvT1_,@function
_ZN7rocprim17ROCPRIM_400000_NS6detail17trampoline_kernelINS0_14default_configENS1_25partition_config_selectorILNS1_17partition_subalgoE5ElNS0_10empty_typeEbEEZZNS1_14partition_implILS5_5ELb0ES3_mN6hipcub16HIPCUB_304000_NS21CountingInputIteratorIllEEPS6_NSA_22TransformInputIteratorIb7NonZeroIaEPalEENS0_5tupleIJPlS6_EEENSJ_IJSD_SD_EEES6_SK_JS6_EEE10hipError_tPvRmT3_T4_T5_T6_T7_T9_mT8_P12ihipStream_tbDpT10_ENKUlT_T0_E_clISt17integral_constantIbLb1EES15_IbLb0EEEEDaS11_S12_EUlS11_E_NS1_11comp_targetILNS1_3genE9ELNS1_11target_archE1100ELNS1_3gpuE3ELNS1_3repE0EEENS1_30default_config_static_selectorELNS0_4arch9wavefront6targetE0EEEvT1_: ; @_ZN7rocprim17ROCPRIM_400000_NS6detail17trampoline_kernelINS0_14default_configENS1_25partition_config_selectorILNS1_17partition_subalgoE5ElNS0_10empty_typeEbEEZZNS1_14partition_implILS5_5ELb0ES3_mN6hipcub16HIPCUB_304000_NS21CountingInputIteratorIllEEPS6_NSA_22TransformInputIteratorIb7NonZeroIaEPalEENS0_5tupleIJPlS6_EEENSJ_IJSD_SD_EEES6_SK_JS6_EEE10hipError_tPvRmT3_T4_T5_T6_T7_T9_mT8_P12ihipStream_tbDpT10_ENKUlT_T0_E_clISt17integral_constantIbLb1EES15_IbLb0EEEEDaS11_S12_EUlS11_E_NS1_11comp_targetILNS1_3genE9ELNS1_11target_archE1100ELNS1_3gpuE3ELNS1_3repE0EEENS1_30default_config_static_selectorELNS0_4arch9wavefront6targetE0EEEvT1_
; %bb.0:
	s_clause 0x4
	s_load_b128 s[8:11], s[0:1], 0x8
	s_load_b128 s[4:7], s[0:1], 0x48
	s_load_b32 s14, s[0:1], 0x70
	s_load_b64 s[2:3], s[0:1], 0x58
	s_load_b64 s[12:13], s[0:1], 0x20
	s_waitcnt lgkmcnt(0)
	s_add_u32 s8, s10, s8
	s_load_b64 s[6:7], s[6:7], 0x0
	s_mul_i32 s17, s14, 0x300
	s_addc_u32 s9, s11, s9
	s_add_i32 s14, s14, -1
	s_add_u32 s18, s10, s17
	s_addc_u32 s19, s11, 0
	s_cmp_eq_u32 s15, s14
	v_cmp_ge_u64_e64 s3, s[18:19], s[2:3]
	s_cselect_b32 s14, -1, 0
	s_mov_b32 s18, -1
	s_delay_alu instid0(VALU_DEP_1) | instskip(NEXT) | instid1(SALU_CYCLE_1)
	s_and_b32 s3, s14, s3
	s_xor_b32 s16, s3, -1
	s_mul_i32 s3, s15, 0x300
	s_and_b32 vcc_lo, exec_lo, s16
	s_cbranch_vccz .LBB69_2
; %bb.1:
	s_add_u32 s18, s8, s3
	s_addc_u32 s19, s9, 0
	v_add_co_u32 v1, s18, s18, v0
	s_delay_alu instid0(VALU_DEP_1) | instskip(SKIP_1) | instid1(VALU_DEP_3)
	v_add_co_ci_u32_e64 v2, null, s19, 0, s18
	v_lshlrev_b32_e32 v13, 3, v0
	v_add_co_u32 v3, vcc_lo, 0x80, v1
	s_delay_alu instid0(VALU_DEP_3)
	v_add_co_ci_u32_e32 v4, vcc_lo, 0, v2, vcc_lo
	v_add_co_u32 v5, vcc_lo, 0x100, v1
	v_add_co_ci_u32_e32 v6, vcc_lo, 0, v2, vcc_lo
	v_add_co_u32 v7, vcc_lo, 0x180, v1
	;; [unrolled: 2-line block ×4, first 2 shown]
	v_add_co_ci_u32_e32 v12, vcc_lo, 0, v2, vcc_lo
	ds_store_2addr_stride64_b64 v13, v[1:2], v[3:4] offset1:2
	ds_store_2addr_stride64_b64 v13, v[5:6], v[7:8] offset0:4 offset1:6
	ds_store_2addr_stride64_b64 v13, v[9:10], v[11:12] offset0:8 offset1:10
	s_waitcnt lgkmcnt(0)
	s_mov_b32 s18, 0
	s_barrier
.LBB69_2:
	v_or_b32_e32 v17, 0x100, v0
	v_or_b32_e32 v16, 0x180, v0
	;; [unrolled: 1-line block ×4, first 2 shown]
	s_and_not1_b32 vcc_lo, exec_lo, s18
	s_cbranch_vccnz .LBB69_4
; %bb.3:
	v_or_b32_e32 v3, 0x80, v0
	s_add_u32 s8, s8, s3
	s_addc_u32 s9, s9, 0
	v_add_co_u32 v1, s18, s8, v0
	s_delay_alu instid0(VALU_DEP_1) | instskip(SKIP_1) | instid1(VALU_DEP_1)
	v_add_co_ci_u32_e64 v2, null, s9, 0, s18
	v_add_co_u32 v3, s18, s8, v3
	v_add_co_ci_u32_e64 v4, null, s9, 0, s18
	v_add_co_u32 v5, s18, s8, v17
	s_delay_alu instid0(VALU_DEP_1) | instskip(SKIP_1) | instid1(VALU_DEP_1)
	v_add_co_ci_u32_e64 v6, null, s9, 0, s18
	v_add_co_u32 v7, s18, s8, v16
	v_add_co_ci_u32_e64 v8, null, s9, 0, s18
	v_add_co_u32 v9, s18, s8, v14
	v_lshlrev_b32_e32 v15, 3, v0
	v_add_co_u32 v11, s8, s8, v13
	v_add_co_ci_u32_e64 v10, null, s9, 0, s18
	v_add_co_ci_u32_e64 v12, null, s9, 0, s8
	ds_store_2addr_stride64_b64 v15, v[1:2], v[3:4] offset1:2
	ds_store_2addr_stride64_b64 v15, v[5:6], v[7:8] offset0:4 offset1:6
	ds_store_2addr_stride64_b64 v15, v[9:10], v[11:12] offset0:8 offset1:10
	s_waitcnt lgkmcnt(0)
	s_barrier
.LBB69_4:
	v_mul_u32_u24_e32 v1, 6, v0
	s_waitcnt lgkmcnt(0)
	buffer_gl0_inv
	s_add_u32 s8, s12, s10
	s_addc_u32 s9, s13, s11
	s_add_u32 s12, s8, s3
	v_lshlrev_b32_e32 v15, 3, v1
	s_addc_u32 s13, s9, 0
	s_and_b32 vcc_lo, exec_lo, s16
	s_mov_b32 s3, -1
	ds_load_b128 v[9:12], v15
	ds_load_b128 v[5:8], v15 offset:16
	ds_load_b128 v[1:4], v15 offset:32
	s_waitcnt lgkmcnt(0)
	s_barrier
	buffer_gl0_inv
	s_cbranch_vccz .LBB69_6
; %bb.5:
	s_clause 0x5
	global_load_u8 v18, v0, s[12:13]
	global_load_u8 v19, v0, s[12:13] offset:128
	global_load_u8 v20, v0, s[12:13] offset:256
	;; [unrolled: 1-line block ×5, first 2 shown]
	s_mov_b32 s3, 0
	s_waitcnt vmcnt(5)
	v_cmp_ne_u16_e32 vcc_lo, 0, v18
	v_cndmask_b32_e64 v18, 0, 1, vcc_lo
	s_waitcnt vmcnt(4)
	v_cmp_ne_u16_e32 vcc_lo, 0, v19
	v_cndmask_b32_e64 v19, 0, 1, vcc_lo
	;; [unrolled: 3-line block ×6, first 2 shown]
	ds_store_b8 v0, v18
	ds_store_b8 v0, v19 offset:128
	ds_store_b8 v0, v20 offset:256
	ds_store_b8 v0, v21 offset:384
	ds_store_b8 v0, v22 offset:512
	ds_store_b8 v0, v23 offset:640
	s_waitcnt lgkmcnt(0)
	s_barrier
.LBB69_6:
	s_load_b64 s[8:9], s[0:1], 0x68
	s_and_not1_b32 vcc_lo, exec_lo, s3
	s_cbranch_vccnz .LBB69_20
; %bb.7:
	s_add_i32 s17, s17, s10
	v_dual_mov_b32 v18, 0 :: v_dual_mov_b32 v19, 0
	s_sub_i32 s2, s2, s17
	s_mov_b32 s3, exec_lo
	s_addk_i32 s2, 0x300
	s_delay_alu instid0(SALU_CYCLE_1)
	v_cmpx_gt_u32_e64 s2, v0
	s_cbranch_execz .LBB69_9
; %bb.8:
	global_load_u8 v19, v0, s[12:13]
	s_waitcnt vmcnt(0)
	v_cmp_ne_u16_e32 vcc_lo, 0, v19
	v_cndmask_b32_e64 v19, 0, 1, vcc_lo
.LBB69_9:
	s_or_b32 exec_lo, exec_lo, s3
	v_or_b32_e32 v20, 0x80, v0
	s_mov_b32 s3, exec_lo
	s_delay_alu instid0(VALU_DEP_1)
	v_cmpx_gt_u32_e64 s2, v20
	s_cbranch_execz .LBB69_11
; %bb.10:
	global_load_u8 v18, v0, s[12:13] offset:128
	s_waitcnt vmcnt(0)
	v_cmp_ne_u16_e32 vcc_lo, 0, v18
	v_cndmask_b32_e64 v18, 0, 1, vcc_lo
.LBB69_11:
	s_or_b32 exec_lo, exec_lo, s3
	v_cmp_gt_u32_e32 vcc_lo, s2, v17
	v_dual_mov_b32 v17, 0 :: v_dual_mov_b32 v20, 0
	s_and_saveexec_b32 s3, vcc_lo
	s_cbranch_execz .LBB69_13
; %bb.12:
	global_load_u8 v20, v0, s[12:13] offset:256
	s_waitcnt vmcnt(0)
	v_cmp_ne_u16_e32 vcc_lo, 0, v20
	v_cndmask_b32_e64 v20, 0, 1, vcc_lo
.LBB69_13:
	s_or_b32 exec_lo, exec_lo, s3
	s_delay_alu instid0(SALU_CYCLE_1)
	s_mov_b32 s3, exec_lo
	v_cmpx_gt_u32_e64 s2, v16
	s_cbranch_execz .LBB69_15
; %bb.14:
	global_load_u8 v16, v0, s[12:13] offset:384
	s_waitcnt vmcnt(0)
	v_cmp_ne_u16_e32 vcc_lo, 0, v16
	v_cndmask_b32_e64 v17, 0, 1, vcc_lo
.LBB69_15:
	s_or_b32 exec_lo, exec_lo, s3
	v_cmp_gt_u32_e32 vcc_lo, s2, v14
	v_mov_b32_e32 v14, 0
	v_mov_b32_e32 v16, 0
	s_and_saveexec_b32 s3, vcc_lo
	s_cbranch_execz .LBB69_17
; %bb.16:
	global_load_u8 v16, v0, s[12:13] offset:512
	s_waitcnt vmcnt(0)
	v_cmp_ne_u16_e32 vcc_lo, 0, v16
	v_cndmask_b32_e64 v16, 0, 1, vcc_lo
.LBB69_17:
	s_or_b32 exec_lo, exec_lo, s3
	v_cmp_gt_u32_e32 vcc_lo, s2, v13
	s_and_saveexec_b32 s2, vcc_lo
	s_cbranch_execz .LBB69_19
; %bb.18:
	global_load_u8 v13, v0, s[12:13] offset:640
	s_waitcnt vmcnt(0)
	v_cmp_ne_u16_e32 vcc_lo, 0, v13
	v_cndmask_b32_e64 v14, 0, 1, vcc_lo
.LBB69_19:
	s_or_b32 exec_lo, exec_lo, s2
	ds_store_b8 v0, v19
	ds_store_b8 v0, v18 offset:128
	ds_store_b8 v0, v20 offset:256
	;; [unrolled: 1-line block ×5, first 2 shown]
	s_waitcnt lgkmcnt(0)
	s_barrier
.LBB69_20:
	v_mad_i32_i24 v43, 0xffffffd6, v0, v15
	s_waitcnt lgkmcnt(0)
	buffer_gl0_inv
	v_mbcnt_lo_u32_b32 v42, -1, 0
	s_cmp_lg_u32 s15, 0
	s_mov_b32 s3, -1
	ds_load_u16 v36, v43
	ds_load_u16 v33, v43 offset:2
	ds_load_u16 v31, v43 offset:4
	v_mov_b32_e32 v14, 0
	v_and_b32_e32 v44, 15, v42
	s_waitcnt lgkmcnt(0)
	s_barrier
	buffer_gl0_inv
	v_and_b32_e32 v41, 0xff, v36
	v_lshrrev_b16 v34, 8, v36
	v_lshrrev_b16 v35, 8, v33
	v_and_b32_e32 v39, 0xff, v33
	v_lshrrev_b16 v32, 8, v31
	v_and_b32_e32 v37, 0xff, v31
	v_and_b32_e32 v40, 0xffff, v34
	;; [unrolled: 1-line block ×3, first 2 shown]
	s_delay_alu instid0(VALU_DEP_4) | instskip(NEXT) | instid1(VALU_DEP_3)
	v_and_b32_e32 v16, 0xffff, v32
	v_add_co_u32 v13, s2, v40, v41
	s_delay_alu instid0(VALU_DEP_1) | instskip(SKIP_1) | instid1(VALU_DEP_3)
	v_add_co_ci_u32_e64 v15, null, 0, 0, s2
	v_cmp_ne_u32_e64 s2, 0, v44
	v_add_co_u32 v13, vcc_lo, v13, v39
	s_delay_alu instid0(VALU_DEP_3) | instskip(NEXT) | instid1(VALU_DEP_2)
	v_add_co_ci_u32_e32 v15, vcc_lo, 0, v15, vcc_lo
	v_add_co_u32 v13, vcc_lo, v13, v38
	s_delay_alu instid0(VALU_DEP_2) | instskip(NEXT) | instid1(VALU_DEP_2)
	v_add_co_ci_u32_e32 v15, vcc_lo, 0, v15, vcc_lo
	v_add_co_u32 v13, vcc_lo, v13, v37
	s_delay_alu instid0(VALU_DEP_2) | instskip(NEXT) | instid1(VALU_DEP_2)
	v_add_co_ci_u32_e32 v15, vcc_lo, 0, v15, vcc_lo
	v_add_co_u32 v21, vcc_lo, v13, v16
	s_delay_alu instid0(VALU_DEP_2)
	v_add_co_ci_u32_e32 v22, vcc_lo, 0, v15, vcc_lo
	s_cbranch_scc0 .LBB69_89
; %bb.21:
	s_delay_alu instid0(VALU_DEP_2)
	v_mov_b32_e32 v15, v21
	v_mov_b32_dpp v13, v21 row_shr:1 row_mask:0xf bank_mask:0xf
	v_mov_b32_dpp v18, v14 row_shr:1 row_mask:0xf bank_mask:0xf
	v_dual_mov_b32 v17, v21 :: v_dual_mov_b32 v16, v22
	s_and_saveexec_b32 s3, s2
; %bb.22:
	s_delay_alu instid0(VALU_DEP_3) | instskip(SKIP_1) | instid1(VALU_DEP_2)
	v_add_co_u32 v17, vcc_lo, v21, v13
	v_add_co_ci_u32_e32 v14, vcc_lo, 0, v22, vcc_lo
	v_add_co_u32 v13, vcc_lo, 0, v17
	s_delay_alu instid0(VALU_DEP_2) | instskip(NEXT) | instid1(VALU_DEP_1)
	v_add_co_ci_u32_e32 v14, vcc_lo, v18, v14, vcc_lo
	v_dual_mov_b32 v16, v14 :: v_dual_mov_b32 v15, v13
; %bb.23:
	s_or_b32 exec_lo, exec_lo, s3
	v_mov_b32_dpp v13, v17 row_shr:2 row_mask:0xf bank_mask:0xf
	v_mov_b32_dpp v18, v14 row_shr:2 row_mask:0xf bank_mask:0xf
	s_mov_b32 s3, exec_lo
	v_cmpx_lt_u32_e32 1, v44
; %bb.24:
	s_delay_alu instid0(VALU_DEP_3) | instskip(SKIP_1) | instid1(VALU_DEP_2)
	v_add_co_u32 v17, vcc_lo, v15, v13
	v_add_co_ci_u32_e32 v14, vcc_lo, 0, v16, vcc_lo
	v_add_co_u32 v13, vcc_lo, 0, v17
	s_delay_alu instid0(VALU_DEP_2) | instskip(NEXT) | instid1(VALU_DEP_1)
	v_add_co_ci_u32_e32 v14, vcc_lo, v18, v14, vcc_lo
	v_dual_mov_b32 v16, v14 :: v_dual_mov_b32 v15, v13
; %bb.25:
	s_or_b32 exec_lo, exec_lo, s3
	v_mov_b32_dpp v13, v17 row_shr:4 row_mask:0xf bank_mask:0xf
	v_mov_b32_dpp v18, v14 row_shr:4 row_mask:0xf bank_mask:0xf
	s_mov_b32 s3, exec_lo
	v_cmpx_lt_u32_e32 3, v44
	;; [unrolled: 14-line block ×3, first 2 shown]
; %bb.28:
	s_delay_alu instid0(VALU_DEP_3) | instskip(SKIP_1) | instid1(VALU_DEP_2)
	v_add_co_u32 v17, vcc_lo, v15, v18
	v_add_co_ci_u32_e32 v14, vcc_lo, 0, v16, vcc_lo
	v_add_co_u32 v15, vcc_lo, 0, v17
	s_delay_alu instid0(VALU_DEP_2) | instskip(NEXT) | instid1(VALU_DEP_1)
	v_add_co_ci_u32_e32 v16, vcc_lo, v13, v14, vcc_lo
	v_mov_b32_e32 v14, v16
; %bb.29:
	s_or_b32 exec_lo, exec_lo, s3
	ds_swizzle_b32 v13, v17 offset:swizzle(BROADCAST,32,15)
	ds_swizzle_b32 v18, v14 offset:swizzle(BROADCAST,32,15)
	v_and_b32_e32 v19, 16, v42
	s_mov_b32 s3, exec_lo
	s_delay_alu instid0(VALU_DEP_1)
	v_cmpx_ne_u32_e32 0, v19
	s_cbranch_execz .LBB69_31
; %bb.30:
	s_waitcnt lgkmcnt(1)
	v_add_co_u32 v17, vcc_lo, v15, v13
	v_add_co_ci_u32_e32 v14, vcc_lo, 0, v16, vcc_lo
	s_delay_alu instid0(VALU_DEP_2) | instskip(SKIP_1) | instid1(VALU_DEP_2)
	v_add_co_u32 v13, vcc_lo, 0, v17
	s_waitcnt lgkmcnt(0)
	v_add_co_ci_u32_e32 v14, vcc_lo, v18, v14, vcc_lo
	s_delay_alu instid0(VALU_DEP_1)
	v_dual_mov_b32 v16, v14 :: v_dual_mov_b32 v15, v13
.LBB69_31:
	s_or_b32 exec_lo, exec_lo, s3
	s_waitcnt lgkmcnt(0)
	v_or_b32_e32 v18, 31, v0
	v_lshrrev_b32_e32 v13, 5, v0
	s_mov_b32 s3, exec_lo
	s_delay_alu instid0(VALU_DEP_2)
	v_cmpx_eq_u32_e64 v18, v0
	s_cbranch_execz .LBB69_33
; %bb.32:
	s_delay_alu instid0(VALU_DEP_2)
	v_lshlrev_b32_e32 v18, 3, v13
	ds_store_b64 v18, v[15:16]
.LBB69_33:
	s_or_b32 exec_lo, exec_lo, s3
	s_delay_alu instid0(SALU_CYCLE_1)
	s_mov_b32 s3, exec_lo
	s_waitcnt lgkmcnt(0)
	s_barrier
	buffer_gl0_inv
	v_cmpx_gt_u32_e32 4, v0
	s_cbranch_execz .LBB69_39
; %bb.34:
	v_lshlrev_b32_e32 v18, 3, v0
	s_mov_b32 s10, exec_lo
	ds_load_b64 v[15:16], v18
	s_waitcnt lgkmcnt(0)
	v_dual_mov_b32 v20, v15 :: v_dual_and_b32 v19, 3, v42
	v_mov_b32_dpp v24, v15 row_shr:1 row_mask:0xf bank_mask:0xf
	v_mov_b32_dpp v23, v16 row_shr:1 row_mask:0xf bank_mask:0xf
	s_delay_alu instid0(VALU_DEP_3)
	v_cmpx_ne_u32_e32 0, v19
; %bb.35:
	s_delay_alu instid0(VALU_DEP_3) | instskip(SKIP_1) | instid1(VALU_DEP_2)
	v_add_co_u32 v20, vcc_lo, v15, v24
	v_add_co_ci_u32_e32 v16, vcc_lo, 0, v16, vcc_lo
	v_add_co_u32 v15, vcc_lo, 0, v20
	s_delay_alu instid0(VALU_DEP_2)
	v_add_co_ci_u32_e32 v16, vcc_lo, v23, v16, vcc_lo
; %bb.36:
	s_or_b32 exec_lo, exec_lo, s10
	v_mov_b32_dpp v23, v20 row_shr:2 row_mask:0xf bank_mask:0xf
	s_delay_alu instid0(VALU_DEP_2)
	v_mov_b32_dpp v20, v16 row_shr:2 row_mask:0xf bank_mask:0xf
	s_mov_b32 s10, exec_lo
	v_cmpx_lt_u32_e32 1, v19
; %bb.37:
	s_delay_alu instid0(VALU_DEP_3) | instskip(SKIP_1) | instid1(VALU_DEP_2)
	v_add_co_u32 v15, vcc_lo, v15, v23
	v_add_co_ci_u32_e32 v16, vcc_lo, 0, v16, vcc_lo
	v_add_co_u32 v15, vcc_lo, v15, 0
	s_delay_alu instid0(VALU_DEP_2)
	v_add_co_ci_u32_e32 v16, vcc_lo, v16, v20, vcc_lo
; %bb.38:
	s_or_b32 exec_lo, exec_lo, s10
	ds_store_b64 v18, v[15:16]
.LBB69_39:
	s_or_b32 exec_lo, exec_lo, s3
	v_cmp_gt_u32_e32 vcc_lo, 32, v0
	s_mov_b32 s10, exec_lo
	s_waitcnt lgkmcnt(0)
	s_barrier
	buffer_gl0_inv
                                        ; implicit-def: $vgpr23_vgpr24
	v_cmpx_lt_u32_e32 31, v0
	s_cbranch_execz .LBB69_41
; %bb.40:
	v_lshl_add_u32 v13, v13, 3, -8
	ds_load_b64 v[23:24], v13
	s_waitcnt lgkmcnt(0)
	v_add_co_u32 v17, s3, v17, v23
	s_delay_alu instid0(VALU_DEP_1)
	v_add_co_ci_u32_e64 v14, s3, v14, v24, s3
.LBB69_41:
	s_or_b32 exec_lo, exec_lo, s10
	v_add_nc_u32_e32 v13, -1, v42
	s_delay_alu instid0(VALU_DEP_1) | instskip(NEXT) | instid1(VALU_DEP_1)
	v_cmp_gt_i32_e64 s3, 0, v13
	v_cndmask_b32_e64 v13, v13, v42, s3
	v_cmp_eq_u32_e64 s3, 0, v42
	s_delay_alu instid0(VALU_DEP_2)
	v_lshlrev_b32_e32 v13, 2, v13
	ds_bpermute_b32 v29, v13, v17
	ds_bpermute_b32 v30, v13, v14
	s_and_saveexec_b32 s10, vcc_lo
	s_cbranch_execz .LBB69_84
; %bb.42:
	v_mov_b32_e32 v16, 0
	ds_load_b64 v[13:14], v16 offset:24
	s_and_saveexec_b32 s11, s3
	s_cbranch_execz .LBB69_44
; %bb.43:
	s_add_i32 s12, s15, 32
	s_mov_b32 s13, 0
	s_delay_alu instid0(SALU_CYCLE_1) | instskip(NEXT) | instid1(SALU_CYCLE_1)
	s_lshl_b64 s[12:13], s[12:13], 4
	s_add_u32 s12, s8, s12
	s_addc_u32 s13, s9, s13
	s_delay_alu instid0(SALU_CYCLE_1)
	v_dual_mov_b32 v15, 1 :: v_dual_mov_b32 v18, s13
	v_mov_b32_e32 v17, s12
	s_waitcnt lgkmcnt(0)
	;;#ASMSTART
	global_store_dwordx4 v[17:18], v[13:16] off	
s_waitcnt vmcnt(0)
	;;#ASMEND
.LBB69_44:
	s_or_b32 exec_lo, exec_lo, s11
	v_xad_u32 v25, v42, -1, s15
	s_mov_b32 s12, 0
	s_mov_b32 s11, exec_lo
	s_delay_alu instid0(VALU_DEP_1) | instskip(NEXT) | instid1(VALU_DEP_1)
	v_add_nc_u32_e32 v15, 32, v25
	v_lshlrev_b64 v[15:16], 4, v[15:16]
	s_delay_alu instid0(VALU_DEP_1) | instskip(NEXT) | instid1(VALU_DEP_2)
	v_add_co_u32 v15, vcc_lo, s8, v15
	v_add_co_ci_u32_e32 v16, vcc_lo, s9, v16, vcc_lo
	;;#ASMSTART
	global_load_dwordx4 v[17:20], v[15:16] off glc	
s_waitcnt vmcnt(0)
	;;#ASMEND
	v_and_b32_e32 v20, 0xff, v18
	v_and_b32_e32 v26, 0xff00, v18
	;; [unrolled: 1-line block ×3, first 2 shown]
	v_or3_b32 v17, v17, 0, 0
	v_and_b32_e32 v18, 0xff000000, v18
	s_delay_alu instid0(VALU_DEP_4) | instskip(SKIP_1) | instid1(VALU_DEP_4)
	v_or3_b32 v20, 0, v20, v26
	v_and_b32_e32 v26, 0xff, v19
	v_or3_b32 v17, v17, 0, 0
	s_delay_alu instid0(VALU_DEP_3) | instskip(NEXT) | instid1(VALU_DEP_3)
	v_or3_b32 v18, v20, v27, v18
	v_cmpx_eq_u16_e32 0, v26
	s_cbranch_execz .LBB69_50
; %bb.45:
	s_mov_b32 s13, 1
	.p2align	6
.LBB69_46:                              ; =>This Loop Header: Depth=1
                                        ;     Child Loop BB69_47 Depth 2
	s_delay_alu instid0(SALU_CYCLE_1)
	s_max_u32 s17, s13, 1
.LBB69_47:                              ;   Parent Loop BB69_46 Depth=1
                                        ; =>  This Inner Loop Header: Depth=2
	s_delay_alu instid0(SALU_CYCLE_1)
	s_add_i32 s17, s17, -1
	s_sleep 1
	s_cmp_eq_u32 s17, 0
	s_cbranch_scc0 .LBB69_47
; %bb.48:                               ;   in Loop: Header=BB69_46 Depth=1
	;;#ASMSTART
	global_load_dwordx4 v[17:20], v[15:16] off glc	
s_waitcnt vmcnt(0)
	;;#ASMEND
	v_and_b32_e32 v20, 0xff, v19
	s_cmp_lt_u32 s13, 32
	s_cselect_b32 s17, -1, 0
	s_delay_alu instid0(SALU_CYCLE_1) | instskip(NEXT) | instid1(VALU_DEP_1)
	s_cmp_lg_u32 s17, 0
	v_cmp_ne_u16_e32 vcc_lo, 0, v20
	s_addc_u32 s13, s13, 0
	s_or_b32 s12, vcc_lo, s12
	s_delay_alu instid0(SALU_CYCLE_1)
	s_and_not1_b32 exec_lo, exec_lo, s12
	s_cbranch_execnz .LBB69_46
; %bb.49:
	s_or_b32 exec_lo, exec_lo, s12
.LBB69_50:
	s_delay_alu instid0(SALU_CYCLE_1)
	s_or_b32 exec_lo, exec_lo, s11
	v_cmp_ne_u32_e32 vcc_lo, 31, v42
	v_and_b32_e32 v16, 0xff, v19
	v_lshlrev_b32_e64 v46, v42, -1
	s_mov_b32 s11, exec_lo
	v_add_co_ci_u32_e32 v15, vcc_lo, 0, v42, vcc_lo
	s_delay_alu instid0(VALU_DEP_3) | instskip(NEXT) | instid1(VALU_DEP_2)
	v_cmp_eq_u16_e32 vcc_lo, 2, v16
	v_dual_mov_b32 v16, v17 :: v_dual_lshlrev_b32 v45, 2, v15
	v_and_or_b32 v15, vcc_lo, v46, 0x80000000
	ds_bpermute_b32 v26, v45, v17
	ds_bpermute_b32 v20, v45, v18
	v_ctz_i32_b32_e32 v15, v15
	s_delay_alu instid0(VALU_DEP_1)
	v_cmpx_lt_u32_e64 v42, v15
	s_cbranch_execz .LBB69_52
; %bb.51:
	s_waitcnt lgkmcnt(1)
	v_add_co_u32 v16, vcc_lo, v17, v26
	v_add_co_ci_u32_e32 v18, vcc_lo, 0, v18, vcc_lo
	s_delay_alu instid0(VALU_DEP_2) | instskip(SKIP_1) | instid1(VALU_DEP_2)
	v_add_co_u32 v17, vcc_lo, 0, v16
	s_waitcnt lgkmcnt(0)
	v_add_co_ci_u32_e32 v18, vcc_lo, v20, v18, vcc_lo
.LBB69_52:
	s_or_b32 exec_lo, exec_lo, s11
	v_cmp_gt_u32_e32 vcc_lo, 30, v42
	v_add_nc_u32_e32 v48, 2, v42
	s_mov_b32 s11, exec_lo
	s_waitcnt lgkmcnt(0)
	v_cndmask_b32_e64 v20, 0, 1, vcc_lo
	s_delay_alu instid0(VALU_DEP_1) | instskip(NEXT) | instid1(VALU_DEP_1)
	v_lshlrev_b32_e32 v20, 1, v20
	v_add_lshl_u32 v47, v20, v42, 2
	ds_bpermute_b32 v26, v47, v16
	ds_bpermute_b32 v20, v47, v18
	v_cmpx_le_u32_e64 v48, v15
	s_cbranch_execz .LBB69_54
; %bb.53:
	s_waitcnt lgkmcnt(1)
	v_add_co_u32 v16, vcc_lo, v17, v26
	v_add_co_ci_u32_e32 v18, vcc_lo, 0, v18, vcc_lo
	s_delay_alu instid0(VALU_DEP_2) | instskip(SKIP_1) | instid1(VALU_DEP_2)
	v_add_co_u32 v17, vcc_lo, 0, v16
	s_waitcnt lgkmcnt(0)
	v_add_co_ci_u32_e32 v18, vcc_lo, v20, v18, vcc_lo
.LBB69_54:
	s_or_b32 exec_lo, exec_lo, s11
	v_cmp_gt_u32_e32 vcc_lo, 28, v42
	v_add_nc_u32_e32 v50, 4, v42
	s_mov_b32 s11, exec_lo
	s_waitcnt lgkmcnt(0)
	v_cndmask_b32_e64 v20, 0, 1, vcc_lo
	s_delay_alu instid0(VALU_DEP_1) | instskip(NEXT) | instid1(VALU_DEP_1)
	v_lshlrev_b32_e32 v20, 2, v20
	v_add_lshl_u32 v49, v20, v42, 2
	ds_bpermute_b32 v26, v49, v16
	ds_bpermute_b32 v20, v49, v18
	v_cmpx_le_u32_e64 v50, v15
	;; [unrolled: 22-line block ×4, first 2 shown]
	s_cbranch_execz .LBB69_60
; %bb.59:
	s_waitcnt lgkmcnt(1)
	v_add_co_u32 v15, vcc_lo, v17, v20
	v_add_co_ci_u32_e32 v18, vcc_lo, 0, v18, vcc_lo
	s_delay_alu instid0(VALU_DEP_2) | instskip(SKIP_1) | instid1(VALU_DEP_2)
	v_add_co_u32 v17, vcc_lo, v15, 0
	s_waitcnt lgkmcnt(0)
	v_add_co_ci_u32_e32 v18, vcc_lo, v18, v16, vcc_lo
.LBB69_60:
	s_or_b32 exec_lo, exec_lo, s11
	v_mov_b32_e32 v26, 0
	s_branch .LBB69_62
.LBB69_61:                              ;   in Loop: Header=BB69_62 Depth=1
	s_or_b32 exec_lo, exec_lo, s11
	v_add_co_u32 v17, vcc_lo, v17, v15
	v_subrev_nc_u32_e32 v25, 32, v25
	v_add_co_ci_u32_e32 v18, vcc_lo, v18, v16, vcc_lo
.LBB69_62:                              ; =>This Loop Header: Depth=1
                                        ;     Child Loop BB69_65 Depth 2
                                        ;       Child Loop BB69_66 Depth 3
	v_and_b32_e32 v15, 0xff, v19
	s_delay_alu instid0(VALU_DEP_1) | instskip(SKIP_2) | instid1(VALU_DEP_1)
	v_cmp_ne_u16_e32 vcc_lo, 2, v15
	v_cndmask_b32_e64 v15, 0, 1, vcc_lo
	;;#ASMSTART
	;;#ASMEND
	v_cmp_ne_u32_e32 vcc_lo, 0, v15
	s_waitcnt lgkmcnt(0)
	v_dual_mov_b32 v15, v17 :: v_dual_mov_b32 v16, v18
	s_cmp_lg_u32 vcc_lo, exec_lo
	s_cbranch_scc1 .LBB69_79
; %bb.63:                               ;   in Loop: Header=BB69_62 Depth=1
	v_lshlrev_b64 v[17:18], 4, v[25:26]
	s_mov_b32 s11, exec_lo
	s_delay_alu instid0(VALU_DEP_1) | instskip(NEXT) | instid1(VALU_DEP_2)
	v_add_co_u32 v27, vcc_lo, s8, v17
	v_add_co_ci_u32_e32 v28, vcc_lo, s9, v18, vcc_lo
	;;#ASMSTART
	global_load_dwordx4 v[17:20], v[27:28] off glc	
s_waitcnt vmcnt(0)
	;;#ASMEND
	v_and_b32_e32 v20, 0xff, v18
	v_and_b32_e32 v55, 0xff00, v18
	;; [unrolled: 1-line block ×3, first 2 shown]
	v_or3_b32 v17, v17, 0, 0
	v_and_b32_e32 v18, 0xff000000, v18
	s_delay_alu instid0(VALU_DEP_4) | instskip(SKIP_1) | instid1(VALU_DEP_4)
	v_or3_b32 v20, 0, v20, v55
	v_and_b32_e32 v55, 0xff, v19
	v_or3_b32 v17, v17, 0, 0
	s_delay_alu instid0(VALU_DEP_3) | instskip(NEXT) | instid1(VALU_DEP_3)
	v_or3_b32 v18, v20, v56, v18
	v_cmpx_eq_u16_e32 0, v55
	s_cbranch_execz .LBB69_69
; %bb.64:                               ;   in Loop: Header=BB69_62 Depth=1
	s_mov_b32 s13, 1
	s_mov_b32 s12, 0
	.p2align	6
.LBB69_65:                              ;   Parent Loop BB69_62 Depth=1
                                        ; =>  This Loop Header: Depth=2
                                        ;       Child Loop BB69_66 Depth 3
	s_max_u32 s17, s13, 1
.LBB69_66:                              ;   Parent Loop BB69_62 Depth=1
                                        ;     Parent Loop BB69_65 Depth=2
                                        ; =>    This Inner Loop Header: Depth=3
	s_delay_alu instid0(SALU_CYCLE_1)
	s_add_i32 s17, s17, -1
	s_sleep 1
	s_cmp_eq_u32 s17, 0
	s_cbranch_scc0 .LBB69_66
; %bb.67:                               ;   in Loop: Header=BB69_65 Depth=2
	;;#ASMSTART
	global_load_dwordx4 v[17:20], v[27:28] off glc	
s_waitcnt vmcnt(0)
	;;#ASMEND
	v_and_b32_e32 v20, 0xff, v19
	s_cmp_lt_u32 s13, 32
	s_cselect_b32 s17, -1, 0
	s_delay_alu instid0(SALU_CYCLE_1) | instskip(NEXT) | instid1(VALU_DEP_1)
	s_cmp_lg_u32 s17, 0
	v_cmp_ne_u16_e32 vcc_lo, 0, v20
	s_addc_u32 s13, s13, 0
	s_or_b32 s12, vcc_lo, s12
	s_delay_alu instid0(SALU_CYCLE_1)
	s_and_not1_b32 exec_lo, exec_lo, s12
	s_cbranch_execnz .LBB69_65
; %bb.68:                               ;   in Loop: Header=BB69_62 Depth=1
	s_or_b32 exec_lo, exec_lo, s12
.LBB69_69:                              ;   in Loop: Header=BB69_62 Depth=1
	s_delay_alu instid0(SALU_CYCLE_1)
	s_or_b32 exec_lo, exec_lo, s11
	v_dual_mov_b32 v27, v17 :: v_dual_and_b32 v20, 0xff, v19
	ds_bpermute_b32 v55, v45, v17
	ds_bpermute_b32 v28, v45, v18
	s_mov_b32 s11, exec_lo
	v_cmp_eq_u16_e32 vcc_lo, 2, v20
	v_and_or_b32 v20, vcc_lo, v46, 0x80000000
	s_delay_alu instid0(VALU_DEP_1) | instskip(NEXT) | instid1(VALU_DEP_1)
	v_ctz_i32_b32_e32 v20, v20
	v_cmpx_lt_u32_e64 v42, v20
	s_cbranch_execz .LBB69_71
; %bb.70:                               ;   in Loop: Header=BB69_62 Depth=1
	s_waitcnt lgkmcnt(1)
	v_add_co_u32 v27, vcc_lo, v17, v55
	v_add_co_ci_u32_e32 v18, vcc_lo, 0, v18, vcc_lo
	s_delay_alu instid0(VALU_DEP_2) | instskip(SKIP_1) | instid1(VALU_DEP_2)
	v_add_co_u32 v17, vcc_lo, 0, v27
	s_waitcnt lgkmcnt(0)
	v_add_co_ci_u32_e32 v18, vcc_lo, v28, v18, vcc_lo
.LBB69_71:                              ;   in Loop: Header=BB69_62 Depth=1
	s_or_b32 exec_lo, exec_lo, s11
	s_waitcnt lgkmcnt(1)
	ds_bpermute_b32 v55, v47, v27
	s_waitcnt lgkmcnt(1)
	ds_bpermute_b32 v28, v47, v18
	s_mov_b32 s11, exec_lo
	v_cmpx_le_u32_e64 v48, v20
	s_cbranch_execz .LBB69_73
; %bb.72:                               ;   in Loop: Header=BB69_62 Depth=1
	s_waitcnt lgkmcnt(1)
	v_add_co_u32 v27, vcc_lo, v17, v55
	v_add_co_ci_u32_e32 v18, vcc_lo, 0, v18, vcc_lo
	s_delay_alu instid0(VALU_DEP_2) | instskip(SKIP_1) | instid1(VALU_DEP_2)
	v_add_co_u32 v17, vcc_lo, 0, v27
	s_waitcnt lgkmcnt(0)
	v_add_co_ci_u32_e32 v18, vcc_lo, v28, v18, vcc_lo
.LBB69_73:                              ;   in Loop: Header=BB69_62 Depth=1
	s_or_b32 exec_lo, exec_lo, s11
	s_waitcnt lgkmcnt(1)
	ds_bpermute_b32 v55, v49, v27
	s_waitcnt lgkmcnt(1)
	ds_bpermute_b32 v28, v49, v18
	s_mov_b32 s11, exec_lo
	v_cmpx_le_u32_e64 v50, v20
	;; [unrolled: 17-line block ×3, first 2 shown]
	s_cbranch_execz .LBB69_77
; %bb.76:                               ;   in Loop: Header=BB69_62 Depth=1
	s_waitcnt lgkmcnt(1)
	v_add_co_u32 v27, vcc_lo, v17, v55
	v_add_co_ci_u32_e32 v18, vcc_lo, 0, v18, vcc_lo
	s_delay_alu instid0(VALU_DEP_2) | instskip(SKIP_1) | instid1(VALU_DEP_2)
	v_add_co_u32 v17, vcc_lo, 0, v27
	s_waitcnt lgkmcnt(0)
	v_add_co_ci_u32_e32 v18, vcc_lo, v28, v18, vcc_lo
.LBB69_77:                              ;   in Loop: Header=BB69_62 Depth=1
	s_or_b32 exec_lo, exec_lo, s11
	s_waitcnt lgkmcnt(0)
	ds_bpermute_b32 v28, v53, v27
	ds_bpermute_b32 v27, v53, v18
	s_mov_b32 s11, exec_lo
	v_cmpx_le_u32_e64 v54, v20
	s_cbranch_execz .LBB69_61
; %bb.78:                               ;   in Loop: Header=BB69_62 Depth=1
	s_waitcnt lgkmcnt(1)
	v_add_co_u32 v17, vcc_lo, v17, v28
	v_add_co_ci_u32_e32 v18, vcc_lo, 0, v18, vcc_lo
	s_delay_alu instid0(VALU_DEP_2) | instskip(SKIP_1) | instid1(VALU_DEP_2)
	v_add_co_u32 v17, vcc_lo, v17, 0
	s_waitcnt lgkmcnt(0)
	v_add_co_ci_u32_e32 v18, vcc_lo, v18, v27, vcc_lo
	s_branch .LBB69_61
.LBB69_79:                              ;   in Loop: Header=BB69_62 Depth=1
                                        ; implicit-def: $vgpr17_vgpr18
	s_cbranch_execz .LBB69_62
; %bb.80:
	s_and_saveexec_b32 s11, s3
	s_cbranch_execz .LBB69_82
; %bb.81:
	s_add_i32 s12, s15, 32
	s_mov_b32 s13, 0
	v_add_co_u32 v17, vcc_lo, v15, v13
	s_lshl_b64 s[12:13], s[12:13], 4
	v_dual_mov_b32 v19, 2 :: v_dual_mov_b32 v20, 0
	s_add_u32 s12, s8, s12
	s_addc_u32 s13, s9, s13
	v_add_co_ci_u32_e32 v18, vcc_lo, v16, v14, vcc_lo
	v_dual_mov_b32 v26, s13 :: v_dual_mov_b32 v25, s12
	;;#ASMSTART
	global_store_dwordx4 v[25:26], v[17:20] off	
s_waitcnt vmcnt(0)
	;;#ASMEND
	ds_store_b128 v20, v[13:16] offset:6144
.LBB69_82:
	s_or_b32 exec_lo, exec_lo, s11
	v_cmp_eq_u32_e32 vcc_lo, 0, v0
	s_and_b32 exec_lo, exec_lo, vcc_lo
	s_cbranch_execz .LBB69_84
; %bb.83:
	v_mov_b32_e32 v13, 0
	ds_store_b64 v13, v[15:16] offset:24
.LBB69_84:
	s_or_b32 exec_lo, exec_lo, s10
	s_waitcnt lgkmcnt(1)
	v_cndmask_b32_e64 v16, v29, v23, s3
	v_cmp_ne_u32_e32 vcc_lo, 0, v0
	v_mov_b32_e32 v15, 0
	s_waitcnt lgkmcnt(0)
	s_barrier
	buffer_gl0_inv
	v_cndmask_b32_e32 v16, 0, v16, vcc_lo
	ds_load_b64 v[13:14], v15 offset:24
	v_cndmask_b32_e64 v17, v30, v24, s3
	s_waitcnt lgkmcnt(0)
	s_barrier
	buffer_gl0_inv
	v_cndmask_b32_e32 v17, 0, v17, vcc_lo
	v_add_co_u32 v29, vcc_lo, v13, v16
	s_delay_alu instid0(VALU_DEP_2) | instskip(SKIP_3) | instid1(VALU_DEP_2)
	v_add_co_ci_u32_e32 v30, vcc_lo, v14, v17, vcc_lo
	ds_load_b128 v[13:16], v15 offset:6144
	v_add_co_u32 v27, vcc_lo, v29, v41
	v_add_co_ci_u32_e32 v28, vcc_lo, 0, v30, vcc_lo
	v_add_co_u32 v25, vcc_lo, v27, v40
	s_delay_alu instid0(VALU_DEP_2) | instskip(NEXT) | instid1(VALU_DEP_2)
	v_add_co_ci_u32_e32 v26, vcc_lo, 0, v28, vcc_lo
	v_add_co_u32 v23, vcc_lo, v25, v39
	s_delay_alu instid0(VALU_DEP_2) | instskip(NEXT) | instid1(VALU_DEP_2)
	;; [unrolled: 3-line block ×3, first 2 shown]
	v_add_co_ci_u32_e32 v20, vcc_lo, 0, v24, vcc_lo
	v_add_co_u32 v17, vcc_lo, v19, v37
	s_delay_alu instid0(VALU_DEP_2)
	v_add_co_ci_u32_e32 v18, vcc_lo, 0, v20, vcc_lo
	s_load_b64 s[10:11], s[0:1], 0x30
.LBB69_85:
	s_waitcnt lgkmcnt(0)
	v_cmp_gt_u64_e32 vcc_lo, 0x81, v[13:14]
	s_mov_b32 s0, -1
	s_cbranch_vccnz .LBB69_113
.LBB69_86:
	s_and_b32 vcc_lo, exec_lo, s0
	s_cbranch_vccnz .LBB69_132
.LBB69_87:
	v_cmp_eq_u32_e32 vcc_lo, 0, v0
	s_and_b32 s0, vcc_lo, s14
	s_delay_alu instid0(SALU_CYCLE_1)
	s_and_saveexec_b32 s1, s0
	s_cbranch_execnz .LBB69_148
.LBB69_88:
	s_nop 0
	s_sendmsg sendmsg(MSG_DEALLOC_VGPRS)
	s_endpgm
.LBB69_89:
                                        ; kill: def $vgpr13_vgpr14 killed $sgpr0_sgpr1 killed $exec
                                        ; implicit-def: $vgpr17_vgpr18
                                        ; implicit-def: $vgpr19_vgpr20
                                        ; implicit-def: $vgpr23_vgpr24
                                        ; implicit-def: $vgpr25_vgpr26
                                        ; implicit-def: $vgpr27_vgpr28
                                        ; implicit-def: $vgpr29_vgpr30
                                        ; implicit-def: $vgpr15_vgpr16
	s_load_b64 s[10:11], s[0:1], 0x30
	s_and_b32 vcc_lo, exec_lo, s3
	s_cbranch_vccz .LBB69_85
; %bb.90:
	s_waitcnt lgkmcnt(0)
	v_dual_mov_b32 v14, 0 :: v_dual_mov_b32 v15, v21
	v_mov_b32_dpp v16, v21 row_shr:1 row_mask:0xf bank_mask:0xf
	s_delay_alu instid0(VALU_DEP_2)
	v_mov_b32_dpp v13, v14 row_shr:1 row_mask:0xf bank_mask:0xf
	s_and_saveexec_b32 s0, s2
; %bb.91:
	s_delay_alu instid0(VALU_DEP_2) | instskip(SKIP_1) | instid1(VALU_DEP_2)
	v_add_co_u32 v15, vcc_lo, v21, v16
	v_add_co_ci_u32_e32 v14, vcc_lo, 0, v22, vcc_lo
	v_add_co_u32 v21, vcc_lo, 0, v15
	s_delay_alu instid0(VALU_DEP_2) | instskip(NEXT) | instid1(VALU_DEP_1)
	v_add_co_ci_u32_e32 v22, vcc_lo, v13, v14, vcc_lo
	v_mov_b32_e32 v14, v22
; %bb.92:
	s_or_b32 exec_lo, exec_lo, s0
	v_mov_b32_dpp v13, v15 row_shr:2 row_mask:0xf bank_mask:0xf
	s_delay_alu instid0(VALU_DEP_2)
	v_mov_b32_dpp v16, v14 row_shr:2 row_mask:0xf bank_mask:0xf
	s_mov_b32 s0, exec_lo
	v_cmpx_lt_u32_e32 1, v44
; %bb.93:
	s_delay_alu instid0(VALU_DEP_3) | instskip(SKIP_1) | instid1(VALU_DEP_2)
	v_add_co_u32 v15, vcc_lo, v21, v13
	v_add_co_ci_u32_e32 v14, vcc_lo, 0, v22, vcc_lo
	v_add_co_u32 v13, vcc_lo, 0, v15
	s_delay_alu instid0(VALU_DEP_2) | instskip(NEXT) | instid1(VALU_DEP_1)
	v_add_co_ci_u32_e32 v14, vcc_lo, v16, v14, vcc_lo
	v_dual_mov_b32 v22, v14 :: v_dual_mov_b32 v21, v13
; %bb.94:
	s_or_b32 exec_lo, exec_lo, s0
	v_mov_b32_dpp v13, v15 row_shr:4 row_mask:0xf bank_mask:0xf
	v_mov_b32_dpp v16, v14 row_shr:4 row_mask:0xf bank_mask:0xf
	s_mov_b32 s0, exec_lo
	v_cmpx_lt_u32_e32 3, v44
; %bb.95:
	s_delay_alu instid0(VALU_DEP_3) | instskip(SKIP_1) | instid1(VALU_DEP_2)
	v_add_co_u32 v15, vcc_lo, v21, v13
	v_add_co_ci_u32_e32 v14, vcc_lo, 0, v22, vcc_lo
	v_add_co_u32 v13, vcc_lo, 0, v15
	s_delay_alu instid0(VALU_DEP_2) | instskip(NEXT) | instid1(VALU_DEP_1)
	v_add_co_ci_u32_e32 v14, vcc_lo, v16, v14, vcc_lo
	v_dual_mov_b32 v22, v14 :: v_dual_mov_b32 v21, v13
; %bb.96:
	s_or_b32 exec_lo, exec_lo, s0
	v_mov_b32_dpp v16, v15 row_shr:8 row_mask:0xf bank_mask:0xf
	v_mov_b32_dpp v13, v14 row_shr:8 row_mask:0xf bank_mask:0xf
	s_mov_b32 s0, exec_lo
	v_cmpx_lt_u32_e32 7, v44
; %bb.97:
	s_delay_alu instid0(VALU_DEP_3) | instskip(SKIP_1) | instid1(VALU_DEP_2)
	v_add_co_u32 v15, vcc_lo, v21, v16
	v_add_co_ci_u32_e32 v14, vcc_lo, 0, v22, vcc_lo
	v_add_co_u32 v21, vcc_lo, 0, v15
	s_delay_alu instid0(VALU_DEP_2) | instskip(NEXT) | instid1(VALU_DEP_1)
	v_add_co_ci_u32_e32 v22, vcc_lo, v13, v14, vcc_lo
	v_mov_b32_e32 v14, v22
; %bb.98:
	s_or_b32 exec_lo, exec_lo, s0
	ds_swizzle_b32 v15, v15 offset:swizzle(BROADCAST,32,15)
	ds_swizzle_b32 v13, v14 offset:swizzle(BROADCAST,32,15)
	v_and_b32_e32 v14, 16, v42
	s_mov_b32 s0, exec_lo
	s_delay_alu instid0(VALU_DEP_1)
	v_cmpx_ne_u32_e32 0, v14
	s_cbranch_execz .LBB69_100
; %bb.99:
	s_waitcnt lgkmcnt(1)
	v_add_co_u32 v14, vcc_lo, v21, v15
	v_add_co_ci_u32_e32 v15, vcc_lo, 0, v22, vcc_lo
	s_delay_alu instid0(VALU_DEP_2) | instskip(SKIP_1) | instid1(VALU_DEP_2)
	v_add_co_u32 v21, vcc_lo, v14, 0
	s_waitcnt lgkmcnt(0)
	v_add_co_ci_u32_e32 v22, vcc_lo, v15, v13, vcc_lo
.LBB69_100:
	s_or_b32 exec_lo, exec_lo, s0
	s_waitcnt lgkmcnt(0)
	v_or_b32_e32 v13, 31, v0
	v_lshrrev_b32_e32 v15, 5, v0
	s_mov_b32 s0, exec_lo
	s_delay_alu instid0(VALU_DEP_2)
	v_cmpx_eq_u32_e64 v13, v0
	s_cbranch_execz .LBB69_102
; %bb.101:
	s_delay_alu instid0(VALU_DEP_2)
	v_lshlrev_b32_e32 v13, 3, v15
	ds_store_b64 v13, v[21:22]
.LBB69_102:
	s_or_b32 exec_lo, exec_lo, s0
	s_delay_alu instid0(SALU_CYCLE_1)
	s_mov_b32 s0, exec_lo
	s_waitcnt lgkmcnt(0)
	s_barrier
	buffer_gl0_inv
	v_cmpx_gt_u32_e32 4, v0
	s_cbranch_execz .LBB69_108
; %bb.103:
	v_lshlrev_b32_e32 v13, 1, v0
	s_mov_b32 s1, exec_lo
	s_delay_alu instid0(VALU_DEP_1)
	v_add_nc_u32_e32 v16, v43, v13
	ds_load_b64 v[13:14], v16
	s_waitcnt lgkmcnt(0)
	v_dual_mov_b32 v18, v13 :: v_dual_and_b32 v17, 3, v42
	v_mov_b32_dpp v20, v13 row_shr:1 row_mask:0xf bank_mask:0xf
	v_mov_b32_dpp v19, v14 row_shr:1 row_mask:0xf bank_mask:0xf
	s_delay_alu instid0(VALU_DEP_3)
	v_cmpx_ne_u32_e32 0, v17
; %bb.104:
	s_delay_alu instid0(VALU_DEP_3) | instskip(SKIP_1) | instid1(VALU_DEP_2)
	v_add_co_u32 v18, vcc_lo, v13, v20
	v_add_co_ci_u32_e32 v14, vcc_lo, 0, v14, vcc_lo
	v_add_co_u32 v13, vcc_lo, 0, v18
	s_delay_alu instid0(VALU_DEP_2)
	v_add_co_ci_u32_e32 v14, vcc_lo, v19, v14, vcc_lo
; %bb.105:
	s_or_b32 exec_lo, exec_lo, s1
	v_mov_b32_dpp v19, v18 row_shr:2 row_mask:0xf bank_mask:0xf
	s_delay_alu instid0(VALU_DEP_2)
	v_mov_b32_dpp v18, v14 row_shr:2 row_mask:0xf bank_mask:0xf
	s_mov_b32 s1, exec_lo
	v_cmpx_lt_u32_e32 1, v17
; %bb.106:
	s_delay_alu instid0(VALU_DEP_3) | instskip(SKIP_1) | instid1(VALU_DEP_2)
	v_add_co_u32 v13, vcc_lo, v13, v19
	v_add_co_ci_u32_e32 v14, vcc_lo, 0, v14, vcc_lo
	v_add_co_u32 v13, vcc_lo, v13, 0
	s_delay_alu instid0(VALU_DEP_2)
	v_add_co_ci_u32_e32 v14, vcc_lo, v14, v18, vcc_lo
; %bb.107:
	s_or_b32 exec_lo, exec_lo, s1
	ds_store_b64 v16, v[13:14]
.LBB69_108:
	s_or_b32 exec_lo, exec_lo, s0
	v_mov_b32_e32 v17, 0
	v_mov_b32_e32 v18, 0
	s_mov_b32 s0, exec_lo
	s_waitcnt lgkmcnt(0)
	s_barrier
	buffer_gl0_inv
	v_cmpx_lt_u32_e32 31, v0
	s_cbranch_execz .LBB69_110
; %bb.109:
	v_lshl_add_u32 v13, v15, 3, -8
	ds_load_b64 v[17:18], v13
.LBB69_110:
	s_or_b32 exec_lo, exec_lo, s0
	v_dual_mov_b32 v16, 0 :: v_dual_add_nc_u32 v13, -1, v42
	s_delay_alu instid0(VALU_DEP_1) | instskip(SKIP_4) | instid1(VALU_DEP_3)
	v_cmp_gt_i32_e32 vcc_lo, 0, v13
	v_cndmask_b32_e32 v13, v13, v42, vcc_lo
	s_waitcnt lgkmcnt(0)
	v_add_co_u32 v14, vcc_lo, v17, v21
	v_add_co_ci_u32_e32 v15, vcc_lo, v18, v22, vcc_lo
	v_lshlrev_b32_e32 v13, 2, v13
	v_cmp_eq_u32_e32 vcc_lo, 0, v0
	ds_bpermute_b32 v19, v13, v14
	ds_bpermute_b32 v20, v13, v15
	ds_load_b64 v[13:14], v16 offset:24
	s_and_saveexec_b32 s0, vcc_lo
	s_cbranch_execz .LBB69_112
; %bb.111:
	s_add_u32 s2, s8, 0x200
	s_addc_u32 s3, s9, 0
	s_delay_alu instid0(SALU_CYCLE_1)
	v_dual_mov_b32 v15, 2 :: v_dual_mov_b32 v22, s3
	v_mov_b32_e32 v21, s2
	s_waitcnt lgkmcnt(0)
	;;#ASMSTART
	global_store_dwordx4 v[21:22], v[13:16] off	
s_waitcnt vmcnt(0)
	;;#ASMEND
.LBB69_112:
	s_or_b32 exec_lo, exec_lo, s0
	v_cmp_eq_u32_e64 s0, 0, v42
	s_waitcnt lgkmcnt(0)
	s_barrier
	buffer_gl0_inv
	v_cndmask_b32_e64 v15, v19, v17, s0
	v_cndmask_b32_e64 v16, v20, v18, s0
	s_delay_alu instid0(VALU_DEP_2) | instskip(NEXT) | instid1(VALU_DEP_2)
	v_cndmask_b32_e64 v29, v15, 0, vcc_lo
	v_cndmask_b32_e64 v30, v16, 0, vcc_lo
	v_mov_b32_e32 v15, 0
	v_mov_b32_e32 v16, 0
	s_delay_alu instid0(VALU_DEP_4) | instskip(NEXT) | instid1(VALU_DEP_4)
	v_add_co_u32 v27, vcc_lo, v29, v41
	v_add_co_ci_u32_e32 v28, vcc_lo, 0, v30, vcc_lo
	s_delay_alu instid0(VALU_DEP_2) | instskip(NEXT) | instid1(VALU_DEP_2)
	v_add_co_u32 v25, vcc_lo, v27, v40
	v_add_co_ci_u32_e32 v26, vcc_lo, 0, v28, vcc_lo
	s_delay_alu instid0(VALU_DEP_2) | instskip(NEXT) | instid1(VALU_DEP_2)
	;; [unrolled: 3-line block ×4, first 2 shown]
	v_add_co_u32 v17, vcc_lo, v19, v37
	v_add_co_ci_u32_e32 v18, vcc_lo, 0, v20, vcc_lo
	v_cmp_gt_u64_e32 vcc_lo, 0x81, v[13:14]
	s_mov_b32 s0, -1
	s_cbranch_vccz .LBB69_86
.LBB69_113:
	v_add_co_u32 v21, vcc_lo, v15, v13
	v_add_co_ci_u32_e32 v22, vcc_lo, v16, v14, vcc_lo
	s_delay_alu instid0(VALU_DEP_1) | instskip(SKIP_1) | instid1(SALU_CYCLE_1)
	v_cmp_lt_u64_e32 vcc_lo, v[29:30], v[21:22]
	s_or_b32 s1, s16, vcc_lo
	s_and_saveexec_b32 s0, s1
	s_cbranch_execz .LBB69_116
; %bb.114:
	v_and_b32_e32 v37, 1, v36
	s_delay_alu instid0(VALU_DEP_1)
	v_cmp_eq_u32_e32 vcc_lo, 1, v37
	s_and_b32 exec_lo, exec_lo, vcc_lo
	s_cbranch_execz .LBB69_116
; %bb.115:
	v_lshlrev_b64 v[37:38], 3, v[29:30]
	s_lshl_b64 s[2:3], s[6:7], 3
	s_delay_alu instid0(SALU_CYCLE_1) | instskip(SKIP_1) | instid1(VALU_DEP_1)
	s_add_u32 s1, s10, s2
	s_addc_u32 s2, s11, s3
	v_add_co_u32 v37, vcc_lo, s1, v37
	s_delay_alu instid0(VALU_DEP_2)
	v_add_co_ci_u32_e32 v38, vcc_lo, s2, v38, vcc_lo
	global_store_b64 v[37:38], v[9:10], off
.LBB69_116:
	s_or_b32 exec_lo, exec_lo, s0
	v_cmp_lt_u64_e32 vcc_lo, v[27:28], v[21:22]
	s_or_b32 s1, s16, vcc_lo
	s_delay_alu instid0(SALU_CYCLE_1)
	s_and_saveexec_b32 s0, s1
	s_cbranch_execz .LBB69_119
; %bb.117:
	v_and_b32_e32 v30, 1, v34
	s_delay_alu instid0(VALU_DEP_1)
	v_cmp_eq_u32_e32 vcc_lo, 1, v30
	s_and_b32 exec_lo, exec_lo, vcc_lo
	s_cbranch_execz .LBB69_119
; %bb.118:
	v_lshlrev_b64 v[37:38], 3, v[27:28]
	s_lshl_b64 s[2:3], s[6:7], 3
	s_delay_alu instid0(SALU_CYCLE_1) | instskip(SKIP_1) | instid1(VALU_DEP_1)
	s_add_u32 s1, s10, s2
	s_addc_u32 s2, s11, s3
	v_add_co_u32 v37, vcc_lo, s1, v37
	s_delay_alu instid0(VALU_DEP_2)
	v_add_co_ci_u32_e32 v38, vcc_lo, s2, v38, vcc_lo
	global_store_b64 v[37:38], v[11:12], off
.LBB69_119:
	s_or_b32 exec_lo, exec_lo, s0
	v_cmp_lt_u64_e32 vcc_lo, v[25:26], v[21:22]
	s_or_b32 s1, s16, vcc_lo
	s_delay_alu instid0(SALU_CYCLE_1)
	;; [unrolled: 23-line block ×5, first 2 shown]
	s_and_saveexec_b32 s0, s1
	s_cbranch_execz .LBB69_131
; %bb.129:
	v_and_b32_e32 v20, 1, v32
	s_delay_alu instid0(VALU_DEP_1)
	v_cmp_eq_u32_e32 vcc_lo, 1, v20
	s_and_b32 exec_lo, exec_lo, vcc_lo
	s_cbranch_execz .LBB69_131
; %bb.130:
	v_lshlrev_b64 v[20:21], 3, v[17:18]
	s_lshl_b64 s[2:3], s[6:7], 3
	s_delay_alu instid0(SALU_CYCLE_1) | instskip(SKIP_1) | instid1(VALU_DEP_1)
	s_add_u32 s1, s10, s2
	s_addc_u32 s2, s11, s3
	v_add_co_u32 v20, vcc_lo, s1, v20
	s_delay_alu instid0(VALU_DEP_2)
	v_add_co_ci_u32_e32 v21, vcc_lo, s2, v21, vcc_lo
	global_store_b64 v[20:21], v[3:4], off
.LBB69_131:
	s_or_b32 exec_lo, exec_lo, s0
	s_branch .LBB69_87
.LBB69_132:
	v_and_b32_e32 v18, 1, v36
	s_mov_b32 s0, exec_lo
	s_delay_alu instid0(VALU_DEP_1)
	v_cmpx_eq_u32_e32 1, v18
	s_cbranch_execz .LBB69_134
; %bb.133:
	v_sub_nc_u32_e32 v18, v29, v15
	s_delay_alu instid0(VALU_DEP_1)
	v_lshlrev_b32_e32 v18, 3, v18
	ds_store_b64 v18, v[9:10]
.LBB69_134:
	s_or_b32 exec_lo, exec_lo, s0
	v_and_b32_e32 v9, 1, v34
	s_mov_b32 s0, exec_lo
	s_delay_alu instid0(VALU_DEP_1)
	v_cmpx_eq_u32_e32 1, v9
	s_cbranch_execz .LBB69_136
; %bb.135:
	v_sub_nc_u32_e32 v9, v27, v15
	s_delay_alu instid0(VALU_DEP_1)
	v_lshlrev_b32_e32 v9, 3, v9
	ds_store_b64 v9, v[11:12]
.LBB69_136:
	s_or_b32 exec_lo, exec_lo, s0
	;; [unrolled: 12-line block ×6, first 2 shown]
	v_mov_b32_e32 v3, 0
	s_mov_b32 s1, exec_lo
	s_waitcnt lgkmcnt(0)
	s_waitcnt_vscnt null, 0x0
	s_barrier
	buffer_gl0_inv
	v_mov_b32_e32 v1, v3
	s_delay_alu instid0(VALU_DEP_1)
	v_cmpx_gt_u64_e64 v[13:14], v[0:1]
	s_cbranch_execz .LBB69_147
; %bb.145:
	v_lshlrev_b64 v[4:5], 3, v[15:16]
	s_lshl_b64 s[2:3], s[6:7], 3
	v_or_b32_e32 v2, 0x80, v0
	s_delay_alu instid0(VALU_DEP_2) | instskip(NEXT) | instid1(VALU_DEP_3)
	v_add_co_u32 v4, vcc_lo, s10, v4
	v_add_co_ci_u32_e32 v5, vcc_lo, s11, v5, vcc_lo
	s_delay_alu instid0(VALU_DEP_2) | instskip(NEXT) | instid1(VALU_DEP_2)
	v_add_co_u32 v6, vcc_lo, v4, s2
	v_add_co_ci_u32_e32 v7, vcc_lo, s3, v5, vcc_lo
	v_dual_mov_b32 v5, v1 :: v_dual_mov_b32 v4, v0
	s_mov_b32 s2, 0
	.p2align	6
.LBB69_146:                             ; =>This Inner Loop Header: Depth=1
	s_delay_alu instid0(VALU_DEP_1) | instskip(NEXT) | instid1(VALU_DEP_2)
	v_lshlrev_b32_e32 v1, 3, v4
	v_lshlrev_b64 v[10:11], 3, v[4:5]
	v_dual_mov_b32 v5, v3 :: v_dual_mov_b32 v4, v2
	v_cmp_le_u64_e32 vcc_lo, v[13:14], v[2:3]
	v_add_nc_u32_e32 v2, 0x80, v2
	ds_load_b64 v[8:9], v1
	v_add_co_u32 v10, s0, v6, v10
	s_delay_alu instid0(VALU_DEP_1)
	v_add_co_ci_u32_e64 v11, s0, v7, v11, s0
	s_or_b32 s2, vcc_lo, s2
	s_waitcnt lgkmcnt(0)
	global_store_b64 v[10:11], v[8:9], off
	s_and_not1_b32 exec_lo, exec_lo, s2
	s_cbranch_execnz .LBB69_146
.LBB69_147:
	s_or_b32 exec_lo, exec_lo, s1
	v_cmp_eq_u32_e32 vcc_lo, 0, v0
	s_and_b32 s0, vcc_lo, s14
	s_delay_alu instid0(SALU_CYCLE_1)
	s_and_saveexec_b32 s1, s0
	s_cbranch_execz .LBB69_88
.LBB69_148:
	v_add_co_u32 v0, vcc_lo, v15, v13
	v_add_co_ci_u32_e32 v1, vcc_lo, v16, v14, vcc_lo
	v_mov_b32_e32 v2, 0
	s_delay_alu instid0(VALU_DEP_3) | instskip(NEXT) | instid1(VALU_DEP_3)
	v_add_co_u32 v0, vcc_lo, v0, s6
	v_add_co_ci_u32_e32 v1, vcc_lo, s7, v1, vcc_lo
	global_store_b64 v2, v[0:1], s[4:5]
	s_nop 0
	s_sendmsg sendmsg(MSG_DEALLOC_VGPRS)
	s_endpgm
	.section	.rodata,"a",@progbits
	.p2align	6, 0x0
	.amdhsa_kernel _ZN7rocprim17ROCPRIM_400000_NS6detail17trampoline_kernelINS0_14default_configENS1_25partition_config_selectorILNS1_17partition_subalgoE5ElNS0_10empty_typeEbEEZZNS1_14partition_implILS5_5ELb0ES3_mN6hipcub16HIPCUB_304000_NS21CountingInputIteratorIllEEPS6_NSA_22TransformInputIteratorIb7NonZeroIaEPalEENS0_5tupleIJPlS6_EEENSJ_IJSD_SD_EEES6_SK_JS6_EEE10hipError_tPvRmT3_T4_T5_T6_T7_T9_mT8_P12ihipStream_tbDpT10_ENKUlT_T0_E_clISt17integral_constantIbLb1EES15_IbLb0EEEEDaS11_S12_EUlS11_E_NS1_11comp_targetILNS1_3genE9ELNS1_11target_archE1100ELNS1_3gpuE3ELNS1_3repE0EEENS1_30default_config_static_selectorELNS0_4arch9wavefront6targetE0EEEvT1_
		.amdhsa_group_segment_fixed_size 6160
		.amdhsa_private_segment_fixed_size 0
		.amdhsa_kernarg_size 120
		.amdhsa_user_sgpr_count 15
		.amdhsa_user_sgpr_dispatch_ptr 0
		.amdhsa_user_sgpr_queue_ptr 0
		.amdhsa_user_sgpr_kernarg_segment_ptr 1
		.amdhsa_user_sgpr_dispatch_id 0
		.amdhsa_user_sgpr_private_segment_size 0
		.amdhsa_wavefront_size32 1
		.amdhsa_uses_dynamic_stack 0
		.amdhsa_enable_private_segment 0
		.amdhsa_system_sgpr_workgroup_id_x 1
		.amdhsa_system_sgpr_workgroup_id_y 0
		.amdhsa_system_sgpr_workgroup_id_z 0
		.amdhsa_system_sgpr_workgroup_info 0
		.amdhsa_system_vgpr_workitem_id 0
		.amdhsa_next_free_vgpr 57
		.amdhsa_next_free_sgpr 20
		.amdhsa_reserve_vcc 1
		.amdhsa_float_round_mode_32 0
		.amdhsa_float_round_mode_16_64 0
		.amdhsa_float_denorm_mode_32 3
		.amdhsa_float_denorm_mode_16_64 3
		.amdhsa_dx10_clamp 1
		.amdhsa_ieee_mode 1
		.amdhsa_fp16_overflow 0
		.amdhsa_workgroup_processor_mode 1
		.amdhsa_memory_ordered 1
		.amdhsa_forward_progress 0
		.amdhsa_shared_vgpr_count 0
		.amdhsa_exception_fp_ieee_invalid_op 0
		.amdhsa_exception_fp_denorm_src 0
		.amdhsa_exception_fp_ieee_div_zero 0
		.amdhsa_exception_fp_ieee_overflow 0
		.amdhsa_exception_fp_ieee_underflow 0
		.amdhsa_exception_fp_ieee_inexact 0
		.amdhsa_exception_int_div_zero 0
	.end_amdhsa_kernel
	.section	.text._ZN7rocprim17ROCPRIM_400000_NS6detail17trampoline_kernelINS0_14default_configENS1_25partition_config_selectorILNS1_17partition_subalgoE5ElNS0_10empty_typeEbEEZZNS1_14partition_implILS5_5ELb0ES3_mN6hipcub16HIPCUB_304000_NS21CountingInputIteratorIllEEPS6_NSA_22TransformInputIteratorIb7NonZeroIaEPalEENS0_5tupleIJPlS6_EEENSJ_IJSD_SD_EEES6_SK_JS6_EEE10hipError_tPvRmT3_T4_T5_T6_T7_T9_mT8_P12ihipStream_tbDpT10_ENKUlT_T0_E_clISt17integral_constantIbLb1EES15_IbLb0EEEEDaS11_S12_EUlS11_E_NS1_11comp_targetILNS1_3genE9ELNS1_11target_archE1100ELNS1_3gpuE3ELNS1_3repE0EEENS1_30default_config_static_selectorELNS0_4arch9wavefront6targetE0EEEvT1_,"axG",@progbits,_ZN7rocprim17ROCPRIM_400000_NS6detail17trampoline_kernelINS0_14default_configENS1_25partition_config_selectorILNS1_17partition_subalgoE5ElNS0_10empty_typeEbEEZZNS1_14partition_implILS5_5ELb0ES3_mN6hipcub16HIPCUB_304000_NS21CountingInputIteratorIllEEPS6_NSA_22TransformInputIteratorIb7NonZeroIaEPalEENS0_5tupleIJPlS6_EEENSJ_IJSD_SD_EEES6_SK_JS6_EEE10hipError_tPvRmT3_T4_T5_T6_T7_T9_mT8_P12ihipStream_tbDpT10_ENKUlT_T0_E_clISt17integral_constantIbLb1EES15_IbLb0EEEEDaS11_S12_EUlS11_E_NS1_11comp_targetILNS1_3genE9ELNS1_11target_archE1100ELNS1_3gpuE3ELNS1_3repE0EEENS1_30default_config_static_selectorELNS0_4arch9wavefront6targetE0EEEvT1_,comdat
.Lfunc_end69:
	.size	_ZN7rocprim17ROCPRIM_400000_NS6detail17trampoline_kernelINS0_14default_configENS1_25partition_config_selectorILNS1_17partition_subalgoE5ElNS0_10empty_typeEbEEZZNS1_14partition_implILS5_5ELb0ES3_mN6hipcub16HIPCUB_304000_NS21CountingInputIteratorIllEEPS6_NSA_22TransformInputIteratorIb7NonZeroIaEPalEENS0_5tupleIJPlS6_EEENSJ_IJSD_SD_EEES6_SK_JS6_EEE10hipError_tPvRmT3_T4_T5_T6_T7_T9_mT8_P12ihipStream_tbDpT10_ENKUlT_T0_E_clISt17integral_constantIbLb1EES15_IbLb0EEEEDaS11_S12_EUlS11_E_NS1_11comp_targetILNS1_3genE9ELNS1_11target_archE1100ELNS1_3gpuE3ELNS1_3repE0EEENS1_30default_config_static_selectorELNS0_4arch9wavefront6targetE0EEEvT1_, .Lfunc_end69-_ZN7rocprim17ROCPRIM_400000_NS6detail17trampoline_kernelINS0_14default_configENS1_25partition_config_selectorILNS1_17partition_subalgoE5ElNS0_10empty_typeEbEEZZNS1_14partition_implILS5_5ELb0ES3_mN6hipcub16HIPCUB_304000_NS21CountingInputIteratorIllEEPS6_NSA_22TransformInputIteratorIb7NonZeroIaEPalEENS0_5tupleIJPlS6_EEENSJ_IJSD_SD_EEES6_SK_JS6_EEE10hipError_tPvRmT3_T4_T5_T6_T7_T9_mT8_P12ihipStream_tbDpT10_ENKUlT_T0_E_clISt17integral_constantIbLb1EES15_IbLb0EEEEDaS11_S12_EUlS11_E_NS1_11comp_targetILNS1_3genE9ELNS1_11target_archE1100ELNS1_3gpuE3ELNS1_3repE0EEENS1_30default_config_static_selectorELNS0_4arch9wavefront6targetE0EEEvT1_
                                        ; -- End function
	.section	.AMDGPU.csdata,"",@progbits
; Kernel info:
; codeLenInByte = 6432
; NumSgprs: 22
; NumVgprs: 57
; ScratchSize: 0
; MemoryBound: 0
; FloatMode: 240
; IeeeMode: 1
; LDSByteSize: 6160 bytes/workgroup (compile time only)
; SGPRBlocks: 2
; VGPRBlocks: 7
; NumSGPRsForWavesPerEU: 22
; NumVGPRsForWavesPerEU: 57
; Occupancy: 16
; WaveLimiterHint : 1
; COMPUTE_PGM_RSRC2:SCRATCH_EN: 0
; COMPUTE_PGM_RSRC2:USER_SGPR: 15
; COMPUTE_PGM_RSRC2:TRAP_HANDLER: 0
; COMPUTE_PGM_RSRC2:TGID_X_EN: 1
; COMPUTE_PGM_RSRC2:TGID_Y_EN: 0
; COMPUTE_PGM_RSRC2:TGID_Z_EN: 0
; COMPUTE_PGM_RSRC2:TIDIG_COMP_CNT: 0
	.section	.text._ZN7rocprim17ROCPRIM_400000_NS6detail17trampoline_kernelINS0_14default_configENS1_25partition_config_selectorILNS1_17partition_subalgoE5ElNS0_10empty_typeEbEEZZNS1_14partition_implILS5_5ELb0ES3_mN6hipcub16HIPCUB_304000_NS21CountingInputIteratorIllEEPS6_NSA_22TransformInputIteratorIb7NonZeroIaEPalEENS0_5tupleIJPlS6_EEENSJ_IJSD_SD_EEES6_SK_JS6_EEE10hipError_tPvRmT3_T4_T5_T6_T7_T9_mT8_P12ihipStream_tbDpT10_ENKUlT_T0_E_clISt17integral_constantIbLb1EES15_IbLb0EEEEDaS11_S12_EUlS11_E_NS1_11comp_targetILNS1_3genE8ELNS1_11target_archE1030ELNS1_3gpuE2ELNS1_3repE0EEENS1_30default_config_static_selectorELNS0_4arch9wavefront6targetE0EEEvT1_,"axG",@progbits,_ZN7rocprim17ROCPRIM_400000_NS6detail17trampoline_kernelINS0_14default_configENS1_25partition_config_selectorILNS1_17partition_subalgoE5ElNS0_10empty_typeEbEEZZNS1_14partition_implILS5_5ELb0ES3_mN6hipcub16HIPCUB_304000_NS21CountingInputIteratorIllEEPS6_NSA_22TransformInputIteratorIb7NonZeroIaEPalEENS0_5tupleIJPlS6_EEENSJ_IJSD_SD_EEES6_SK_JS6_EEE10hipError_tPvRmT3_T4_T5_T6_T7_T9_mT8_P12ihipStream_tbDpT10_ENKUlT_T0_E_clISt17integral_constantIbLb1EES15_IbLb0EEEEDaS11_S12_EUlS11_E_NS1_11comp_targetILNS1_3genE8ELNS1_11target_archE1030ELNS1_3gpuE2ELNS1_3repE0EEENS1_30default_config_static_selectorELNS0_4arch9wavefront6targetE0EEEvT1_,comdat
	.protected	_ZN7rocprim17ROCPRIM_400000_NS6detail17trampoline_kernelINS0_14default_configENS1_25partition_config_selectorILNS1_17partition_subalgoE5ElNS0_10empty_typeEbEEZZNS1_14partition_implILS5_5ELb0ES3_mN6hipcub16HIPCUB_304000_NS21CountingInputIteratorIllEEPS6_NSA_22TransformInputIteratorIb7NonZeroIaEPalEENS0_5tupleIJPlS6_EEENSJ_IJSD_SD_EEES6_SK_JS6_EEE10hipError_tPvRmT3_T4_T5_T6_T7_T9_mT8_P12ihipStream_tbDpT10_ENKUlT_T0_E_clISt17integral_constantIbLb1EES15_IbLb0EEEEDaS11_S12_EUlS11_E_NS1_11comp_targetILNS1_3genE8ELNS1_11target_archE1030ELNS1_3gpuE2ELNS1_3repE0EEENS1_30default_config_static_selectorELNS0_4arch9wavefront6targetE0EEEvT1_ ; -- Begin function _ZN7rocprim17ROCPRIM_400000_NS6detail17trampoline_kernelINS0_14default_configENS1_25partition_config_selectorILNS1_17partition_subalgoE5ElNS0_10empty_typeEbEEZZNS1_14partition_implILS5_5ELb0ES3_mN6hipcub16HIPCUB_304000_NS21CountingInputIteratorIllEEPS6_NSA_22TransformInputIteratorIb7NonZeroIaEPalEENS0_5tupleIJPlS6_EEENSJ_IJSD_SD_EEES6_SK_JS6_EEE10hipError_tPvRmT3_T4_T5_T6_T7_T9_mT8_P12ihipStream_tbDpT10_ENKUlT_T0_E_clISt17integral_constantIbLb1EES15_IbLb0EEEEDaS11_S12_EUlS11_E_NS1_11comp_targetILNS1_3genE8ELNS1_11target_archE1030ELNS1_3gpuE2ELNS1_3repE0EEENS1_30default_config_static_selectorELNS0_4arch9wavefront6targetE0EEEvT1_
	.globl	_ZN7rocprim17ROCPRIM_400000_NS6detail17trampoline_kernelINS0_14default_configENS1_25partition_config_selectorILNS1_17partition_subalgoE5ElNS0_10empty_typeEbEEZZNS1_14partition_implILS5_5ELb0ES3_mN6hipcub16HIPCUB_304000_NS21CountingInputIteratorIllEEPS6_NSA_22TransformInputIteratorIb7NonZeroIaEPalEENS0_5tupleIJPlS6_EEENSJ_IJSD_SD_EEES6_SK_JS6_EEE10hipError_tPvRmT3_T4_T5_T6_T7_T9_mT8_P12ihipStream_tbDpT10_ENKUlT_T0_E_clISt17integral_constantIbLb1EES15_IbLb0EEEEDaS11_S12_EUlS11_E_NS1_11comp_targetILNS1_3genE8ELNS1_11target_archE1030ELNS1_3gpuE2ELNS1_3repE0EEENS1_30default_config_static_selectorELNS0_4arch9wavefront6targetE0EEEvT1_
	.p2align	8
	.type	_ZN7rocprim17ROCPRIM_400000_NS6detail17trampoline_kernelINS0_14default_configENS1_25partition_config_selectorILNS1_17partition_subalgoE5ElNS0_10empty_typeEbEEZZNS1_14partition_implILS5_5ELb0ES3_mN6hipcub16HIPCUB_304000_NS21CountingInputIteratorIllEEPS6_NSA_22TransformInputIteratorIb7NonZeroIaEPalEENS0_5tupleIJPlS6_EEENSJ_IJSD_SD_EEES6_SK_JS6_EEE10hipError_tPvRmT3_T4_T5_T6_T7_T9_mT8_P12ihipStream_tbDpT10_ENKUlT_T0_E_clISt17integral_constantIbLb1EES15_IbLb0EEEEDaS11_S12_EUlS11_E_NS1_11comp_targetILNS1_3genE8ELNS1_11target_archE1030ELNS1_3gpuE2ELNS1_3repE0EEENS1_30default_config_static_selectorELNS0_4arch9wavefront6targetE0EEEvT1_,@function
_ZN7rocprim17ROCPRIM_400000_NS6detail17trampoline_kernelINS0_14default_configENS1_25partition_config_selectorILNS1_17partition_subalgoE5ElNS0_10empty_typeEbEEZZNS1_14partition_implILS5_5ELb0ES3_mN6hipcub16HIPCUB_304000_NS21CountingInputIteratorIllEEPS6_NSA_22TransformInputIteratorIb7NonZeroIaEPalEENS0_5tupleIJPlS6_EEENSJ_IJSD_SD_EEES6_SK_JS6_EEE10hipError_tPvRmT3_T4_T5_T6_T7_T9_mT8_P12ihipStream_tbDpT10_ENKUlT_T0_E_clISt17integral_constantIbLb1EES15_IbLb0EEEEDaS11_S12_EUlS11_E_NS1_11comp_targetILNS1_3genE8ELNS1_11target_archE1030ELNS1_3gpuE2ELNS1_3repE0EEENS1_30default_config_static_selectorELNS0_4arch9wavefront6targetE0EEEvT1_: ; @_ZN7rocprim17ROCPRIM_400000_NS6detail17trampoline_kernelINS0_14default_configENS1_25partition_config_selectorILNS1_17partition_subalgoE5ElNS0_10empty_typeEbEEZZNS1_14partition_implILS5_5ELb0ES3_mN6hipcub16HIPCUB_304000_NS21CountingInputIteratorIllEEPS6_NSA_22TransformInputIteratorIb7NonZeroIaEPalEENS0_5tupleIJPlS6_EEENSJ_IJSD_SD_EEES6_SK_JS6_EEE10hipError_tPvRmT3_T4_T5_T6_T7_T9_mT8_P12ihipStream_tbDpT10_ENKUlT_T0_E_clISt17integral_constantIbLb1EES15_IbLb0EEEEDaS11_S12_EUlS11_E_NS1_11comp_targetILNS1_3genE8ELNS1_11target_archE1030ELNS1_3gpuE2ELNS1_3repE0EEENS1_30default_config_static_selectorELNS0_4arch9wavefront6targetE0EEEvT1_
; %bb.0:
	.section	.rodata,"a",@progbits
	.p2align	6, 0x0
	.amdhsa_kernel _ZN7rocprim17ROCPRIM_400000_NS6detail17trampoline_kernelINS0_14default_configENS1_25partition_config_selectorILNS1_17partition_subalgoE5ElNS0_10empty_typeEbEEZZNS1_14partition_implILS5_5ELb0ES3_mN6hipcub16HIPCUB_304000_NS21CountingInputIteratorIllEEPS6_NSA_22TransformInputIteratorIb7NonZeroIaEPalEENS0_5tupleIJPlS6_EEENSJ_IJSD_SD_EEES6_SK_JS6_EEE10hipError_tPvRmT3_T4_T5_T6_T7_T9_mT8_P12ihipStream_tbDpT10_ENKUlT_T0_E_clISt17integral_constantIbLb1EES15_IbLb0EEEEDaS11_S12_EUlS11_E_NS1_11comp_targetILNS1_3genE8ELNS1_11target_archE1030ELNS1_3gpuE2ELNS1_3repE0EEENS1_30default_config_static_selectorELNS0_4arch9wavefront6targetE0EEEvT1_
		.amdhsa_group_segment_fixed_size 0
		.amdhsa_private_segment_fixed_size 0
		.amdhsa_kernarg_size 120
		.amdhsa_user_sgpr_count 15
		.amdhsa_user_sgpr_dispatch_ptr 0
		.amdhsa_user_sgpr_queue_ptr 0
		.amdhsa_user_sgpr_kernarg_segment_ptr 1
		.amdhsa_user_sgpr_dispatch_id 0
		.amdhsa_user_sgpr_private_segment_size 0
		.amdhsa_wavefront_size32 1
		.amdhsa_uses_dynamic_stack 0
		.amdhsa_enable_private_segment 0
		.amdhsa_system_sgpr_workgroup_id_x 1
		.amdhsa_system_sgpr_workgroup_id_y 0
		.amdhsa_system_sgpr_workgroup_id_z 0
		.amdhsa_system_sgpr_workgroup_info 0
		.amdhsa_system_vgpr_workitem_id 0
		.amdhsa_next_free_vgpr 1
		.amdhsa_next_free_sgpr 1
		.amdhsa_reserve_vcc 0
		.amdhsa_float_round_mode_32 0
		.amdhsa_float_round_mode_16_64 0
		.amdhsa_float_denorm_mode_32 3
		.amdhsa_float_denorm_mode_16_64 3
		.amdhsa_dx10_clamp 1
		.amdhsa_ieee_mode 1
		.amdhsa_fp16_overflow 0
		.amdhsa_workgroup_processor_mode 1
		.amdhsa_memory_ordered 1
		.amdhsa_forward_progress 0
		.amdhsa_shared_vgpr_count 0
		.amdhsa_exception_fp_ieee_invalid_op 0
		.amdhsa_exception_fp_denorm_src 0
		.amdhsa_exception_fp_ieee_div_zero 0
		.amdhsa_exception_fp_ieee_overflow 0
		.amdhsa_exception_fp_ieee_underflow 0
		.amdhsa_exception_fp_ieee_inexact 0
		.amdhsa_exception_int_div_zero 0
	.end_amdhsa_kernel
	.section	.text._ZN7rocprim17ROCPRIM_400000_NS6detail17trampoline_kernelINS0_14default_configENS1_25partition_config_selectorILNS1_17partition_subalgoE5ElNS0_10empty_typeEbEEZZNS1_14partition_implILS5_5ELb0ES3_mN6hipcub16HIPCUB_304000_NS21CountingInputIteratorIllEEPS6_NSA_22TransformInputIteratorIb7NonZeroIaEPalEENS0_5tupleIJPlS6_EEENSJ_IJSD_SD_EEES6_SK_JS6_EEE10hipError_tPvRmT3_T4_T5_T6_T7_T9_mT8_P12ihipStream_tbDpT10_ENKUlT_T0_E_clISt17integral_constantIbLb1EES15_IbLb0EEEEDaS11_S12_EUlS11_E_NS1_11comp_targetILNS1_3genE8ELNS1_11target_archE1030ELNS1_3gpuE2ELNS1_3repE0EEENS1_30default_config_static_selectorELNS0_4arch9wavefront6targetE0EEEvT1_,"axG",@progbits,_ZN7rocprim17ROCPRIM_400000_NS6detail17trampoline_kernelINS0_14default_configENS1_25partition_config_selectorILNS1_17partition_subalgoE5ElNS0_10empty_typeEbEEZZNS1_14partition_implILS5_5ELb0ES3_mN6hipcub16HIPCUB_304000_NS21CountingInputIteratorIllEEPS6_NSA_22TransformInputIteratorIb7NonZeroIaEPalEENS0_5tupleIJPlS6_EEENSJ_IJSD_SD_EEES6_SK_JS6_EEE10hipError_tPvRmT3_T4_T5_T6_T7_T9_mT8_P12ihipStream_tbDpT10_ENKUlT_T0_E_clISt17integral_constantIbLb1EES15_IbLb0EEEEDaS11_S12_EUlS11_E_NS1_11comp_targetILNS1_3genE8ELNS1_11target_archE1030ELNS1_3gpuE2ELNS1_3repE0EEENS1_30default_config_static_selectorELNS0_4arch9wavefront6targetE0EEEvT1_,comdat
.Lfunc_end70:
	.size	_ZN7rocprim17ROCPRIM_400000_NS6detail17trampoline_kernelINS0_14default_configENS1_25partition_config_selectorILNS1_17partition_subalgoE5ElNS0_10empty_typeEbEEZZNS1_14partition_implILS5_5ELb0ES3_mN6hipcub16HIPCUB_304000_NS21CountingInputIteratorIllEEPS6_NSA_22TransformInputIteratorIb7NonZeroIaEPalEENS0_5tupleIJPlS6_EEENSJ_IJSD_SD_EEES6_SK_JS6_EEE10hipError_tPvRmT3_T4_T5_T6_T7_T9_mT8_P12ihipStream_tbDpT10_ENKUlT_T0_E_clISt17integral_constantIbLb1EES15_IbLb0EEEEDaS11_S12_EUlS11_E_NS1_11comp_targetILNS1_3genE8ELNS1_11target_archE1030ELNS1_3gpuE2ELNS1_3repE0EEENS1_30default_config_static_selectorELNS0_4arch9wavefront6targetE0EEEvT1_, .Lfunc_end70-_ZN7rocprim17ROCPRIM_400000_NS6detail17trampoline_kernelINS0_14default_configENS1_25partition_config_selectorILNS1_17partition_subalgoE5ElNS0_10empty_typeEbEEZZNS1_14partition_implILS5_5ELb0ES3_mN6hipcub16HIPCUB_304000_NS21CountingInputIteratorIllEEPS6_NSA_22TransformInputIteratorIb7NonZeroIaEPalEENS0_5tupleIJPlS6_EEENSJ_IJSD_SD_EEES6_SK_JS6_EEE10hipError_tPvRmT3_T4_T5_T6_T7_T9_mT8_P12ihipStream_tbDpT10_ENKUlT_T0_E_clISt17integral_constantIbLb1EES15_IbLb0EEEEDaS11_S12_EUlS11_E_NS1_11comp_targetILNS1_3genE8ELNS1_11target_archE1030ELNS1_3gpuE2ELNS1_3repE0EEENS1_30default_config_static_selectorELNS0_4arch9wavefront6targetE0EEEvT1_
                                        ; -- End function
	.section	.AMDGPU.csdata,"",@progbits
; Kernel info:
; codeLenInByte = 0
; NumSgprs: 0
; NumVgprs: 0
; ScratchSize: 0
; MemoryBound: 0
; FloatMode: 240
; IeeeMode: 1
; LDSByteSize: 0 bytes/workgroup (compile time only)
; SGPRBlocks: 0
; VGPRBlocks: 0
; NumSGPRsForWavesPerEU: 1
; NumVGPRsForWavesPerEU: 1
; Occupancy: 16
; WaveLimiterHint : 0
; COMPUTE_PGM_RSRC2:SCRATCH_EN: 0
; COMPUTE_PGM_RSRC2:USER_SGPR: 15
; COMPUTE_PGM_RSRC2:TRAP_HANDLER: 0
; COMPUTE_PGM_RSRC2:TGID_X_EN: 1
; COMPUTE_PGM_RSRC2:TGID_Y_EN: 0
; COMPUTE_PGM_RSRC2:TGID_Z_EN: 0
; COMPUTE_PGM_RSRC2:TIDIG_COMP_CNT: 0
	.section	.text._ZN7rocprim17ROCPRIM_400000_NS6detail31init_lookback_scan_state_kernelINS1_19lookback_scan_stateImLb0ELb1EEENS1_16block_id_wrapperIjLb1EEEEEvT_jT0_jPNS7_10value_typeE,"axG",@progbits,_ZN7rocprim17ROCPRIM_400000_NS6detail31init_lookback_scan_state_kernelINS1_19lookback_scan_stateImLb0ELb1EEENS1_16block_id_wrapperIjLb1EEEEEvT_jT0_jPNS7_10value_typeE,comdat
	.protected	_ZN7rocprim17ROCPRIM_400000_NS6detail31init_lookback_scan_state_kernelINS1_19lookback_scan_stateImLb0ELb1EEENS1_16block_id_wrapperIjLb1EEEEEvT_jT0_jPNS7_10value_typeE ; -- Begin function _ZN7rocprim17ROCPRIM_400000_NS6detail31init_lookback_scan_state_kernelINS1_19lookback_scan_stateImLb0ELb1EEENS1_16block_id_wrapperIjLb1EEEEEvT_jT0_jPNS7_10value_typeE
	.globl	_ZN7rocprim17ROCPRIM_400000_NS6detail31init_lookback_scan_state_kernelINS1_19lookback_scan_stateImLb0ELb1EEENS1_16block_id_wrapperIjLb1EEEEEvT_jT0_jPNS7_10value_typeE
	.p2align	8
	.type	_ZN7rocprim17ROCPRIM_400000_NS6detail31init_lookback_scan_state_kernelINS1_19lookback_scan_stateImLb0ELb1EEENS1_16block_id_wrapperIjLb1EEEEEvT_jT0_jPNS7_10value_typeE,@function
_ZN7rocprim17ROCPRIM_400000_NS6detail31init_lookback_scan_state_kernelINS1_19lookback_scan_stateImLb0ELb1EEENS1_16block_id_wrapperIjLb1EEEEEvT_jT0_jPNS7_10value_typeE: ; @_ZN7rocprim17ROCPRIM_400000_NS6detail31init_lookback_scan_state_kernelINS1_19lookback_scan_stateImLb0ELb1EEENS1_16block_id_wrapperIjLb1EEEEEvT_jT0_jPNS7_10value_typeE
; %bb.0:
	s_clause 0x3
	s_load_b32 s6, s[0:1], 0x34
	s_load_b64 s[4:5], s[0:1], 0x20
	s_load_b64 s[2:3], s[0:1], 0x0
	s_load_b32 s8, s[0:1], 0x8
	s_waitcnt lgkmcnt(0)
	s_and_b32 s6, s6, 0xffff
	s_cmp_eq_u64 s[4:5], 0
	v_mad_u64_u32 v[1:2], null, s15, s6, v[0:1]
	s_cbranch_scc1 .LBB71_8
; %bb.1:
	s_load_b32 s6, s[0:1], 0x18
	s_waitcnt lgkmcnt(0)
	s_cmp_lt_u32 s6, s8
	s_cselect_b32 s7, s6, 0
	s_delay_alu instid0(VALU_DEP_1) | instid1(SALU_CYCLE_1)
	v_cmp_eq_u32_e32 vcc_lo, s7, v1
	s_mov_b32 s7, 0
	s_and_saveexec_b32 s9, vcc_lo
	s_cbranch_execz .LBB71_7
; %bb.2:
	s_add_i32 s6, s6, 32
	s_mov_b32 s10, exec_lo
	s_lshl_b64 s[6:7], s[6:7], 4
	v_mov_b32_e32 v6, 0
	s_add_u32 s6, s2, s6
	s_addc_u32 s7, s3, s7
	s_delay_alu instid0(SALU_CYCLE_1) | instskip(SKIP_2) | instid1(VALU_DEP_1)
	v_dual_mov_b32 v2, s6 :: v_dual_mov_b32 v3, s7
	;;#ASMSTART
	global_load_dwordx4 v[2:5], v[2:3] off glc	
s_waitcnt vmcnt(0)
	;;#ASMEND
	v_and_b32_e32 v5, 0xff, v4
	v_cmpx_eq_u64_e32 0, v[5:6]
	s_cbranch_execz .LBB71_6
; %bb.3:
	v_dual_mov_b32 v8, s7 :: v_dual_mov_b32 v7, s6
	s_mov_b32 s6, 0
.LBB71_4:                               ; =>This Inner Loop Header: Depth=1
	;;#ASMSTART
	global_load_dwordx4 v[2:5], v[7:8] off glc	
s_waitcnt vmcnt(0)
	;;#ASMEND
	v_and_b32_e32 v5, 0xff, v4
	s_delay_alu instid0(VALU_DEP_1) | instskip(SKIP_1) | instid1(SALU_CYCLE_1)
	v_cmp_ne_u64_e32 vcc_lo, 0, v[5:6]
	s_or_b32 s6, vcc_lo, s6
	s_and_not1_b32 exec_lo, exec_lo, s6
	s_cbranch_execnz .LBB71_4
; %bb.5:
	s_or_b32 exec_lo, exec_lo, s6
.LBB71_6:
	s_delay_alu instid0(SALU_CYCLE_1)
	s_or_b32 exec_lo, exec_lo, s10
	v_mov_b32_e32 v0, 0
	global_store_b64 v0, v[2:3], s[4:5]
.LBB71_7:
	s_or_b32 exec_lo, exec_lo, s9
.LBB71_8:
	s_delay_alu instid0(SALU_CYCLE_1) | instskip(NEXT) | instid1(VALU_DEP_1)
	s_mov_b32 s4, exec_lo
	v_cmpx_eq_u32_e32 0, v1
	s_cbranch_execz .LBB71_10
; %bb.9:
	s_load_b64 s[0:1], s[0:1], 0x10
	v_mov_b32_e32 v0, 0
	s_waitcnt lgkmcnt(0)
	global_store_b32 v0, v0, s[0:1]
.LBB71_10:
	s_or_b32 exec_lo, exec_lo, s4
	s_delay_alu instid0(SALU_CYCLE_1)
	s_mov_b32 s0, exec_lo
	v_cmpx_gt_u32_e64 s8, v1
	s_cbranch_execz .LBB71_12
; %bb.11:
	v_dual_mov_b32 v3, 0 :: v_dual_add_nc_u32 v2, 32, v1
	s_delay_alu instid0(VALU_DEP_1) | instskip(SKIP_2) | instid1(VALU_DEP_3)
	v_lshlrev_b64 v[5:6], 4, v[2:3]
	v_mov_b32_e32 v2, v3
	v_mov_b32_e32 v4, v3
	v_add_co_u32 v7, vcc_lo, s2, v5
	s_delay_alu instid0(VALU_DEP_4)
	v_add_co_ci_u32_e32 v8, vcc_lo, s3, v6, vcc_lo
	v_mov_b32_e32 v5, v3
	global_store_b128 v[7:8], v[2:5], off
.LBB71_12:
	s_or_b32 exec_lo, exec_lo, s0
	s_delay_alu instid0(SALU_CYCLE_1)
	s_mov_b32 s0, exec_lo
	v_cmpx_gt_u32_e32 32, v1
	s_cbranch_execz .LBB71_14
; %bb.13:
	v_dual_mov_b32 v2, 0 :: v_dual_mov_b32 v3, 0xff
	s_delay_alu instid0(VALU_DEP_1) | instskip(SKIP_1) | instid1(VALU_DEP_2)
	v_lshlrev_b64 v[4:5], 4, v[1:2]
	v_mov_b32_e32 v1, v2
	v_add_co_u32 v6, vcc_lo, s2, v4
	s_delay_alu instid0(VALU_DEP_3)
	v_add_co_ci_u32_e32 v7, vcc_lo, s3, v5, vcc_lo
	v_mov_b32_e32 v4, v2
	global_store_b128 v[6:7], v[1:4], off
.LBB71_14:
	s_nop 0
	s_sendmsg sendmsg(MSG_DEALLOC_VGPRS)
	s_endpgm
	.section	.rodata,"a",@progbits
	.p2align	6, 0x0
	.amdhsa_kernel _ZN7rocprim17ROCPRIM_400000_NS6detail31init_lookback_scan_state_kernelINS1_19lookback_scan_stateImLb0ELb1EEENS1_16block_id_wrapperIjLb1EEEEEvT_jT0_jPNS7_10value_typeE
		.amdhsa_group_segment_fixed_size 0
		.amdhsa_private_segment_fixed_size 0
		.amdhsa_kernarg_size 296
		.amdhsa_user_sgpr_count 15
		.amdhsa_user_sgpr_dispatch_ptr 0
		.amdhsa_user_sgpr_queue_ptr 0
		.amdhsa_user_sgpr_kernarg_segment_ptr 1
		.amdhsa_user_sgpr_dispatch_id 0
		.amdhsa_user_sgpr_private_segment_size 0
		.amdhsa_wavefront_size32 1
		.amdhsa_uses_dynamic_stack 0
		.amdhsa_enable_private_segment 0
		.amdhsa_system_sgpr_workgroup_id_x 1
		.amdhsa_system_sgpr_workgroup_id_y 0
		.amdhsa_system_sgpr_workgroup_id_z 0
		.amdhsa_system_sgpr_workgroup_info 0
		.amdhsa_system_vgpr_workitem_id 0
		.amdhsa_next_free_vgpr 9
		.amdhsa_next_free_sgpr 16
		.amdhsa_reserve_vcc 1
		.amdhsa_float_round_mode_32 0
		.amdhsa_float_round_mode_16_64 0
		.amdhsa_float_denorm_mode_32 3
		.amdhsa_float_denorm_mode_16_64 3
		.amdhsa_dx10_clamp 1
		.amdhsa_ieee_mode 1
		.amdhsa_fp16_overflow 0
		.amdhsa_workgroup_processor_mode 1
		.amdhsa_memory_ordered 1
		.amdhsa_forward_progress 0
		.amdhsa_shared_vgpr_count 0
		.amdhsa_exception_fp_ieee_invalid_op 0
		.amdhsa_exception_fp_denorm_src 0
		.amdhsa_exception_fp_ieee_div_zero 0
		.amdhsa_exception_fp_ieee_overflow 0
		.amdhsa_exception_fp_ieee_underflow 0
		.amdhsa_exception_fp_ieee_inexact 0
		.amdhsa_exception_int_div_zero 0
	.end_amdhsa_kernel
	.section	.text._ZN7rocprim17ROCPRIM_400000_NS6detail31init_lookback_scan_state_kernelINS1_19lookback_scan_stateImLb0ELb1EEENS1_16block_id_wrapperIjLb1EEEEEvT_jT0_jPNS7_10value_typeE,"axG",@progbits,_ZN7rocprim17ROCPRIM_400000_NS6detail31init_lookback_scan_state_kernelINS1_19lookback_scan_stateImLb0ELb1EEENS1_16block_id_wrapperIjLb1EEEEEvT_jT0_jPNS7_10value_typeE,comdat
.Lfunc_end71:
	.size	_ZN7rocprim17ROCPRIM_400000_NS6detail31init_lookback_scan_state_kernelINS1_19lookback_scan_stateImLb0ELb1EEENS1_16block_id_wrapperIjLb1EEEEEvT_jT0_jPNS7_10value_typeE, .Lfunc_end71-_ZN7rocprim17ROCPRIM_400000_NS6detail31init_lookback_scan_state_kernelINS1_19lookback_scan_stateImLb0ELb1EEENS1_16block_id_wrapperIjLb1EEEEEvT_jT0_jPNS7_10value_typeE
                                        ; -- End function
	.section	.AMDGPU.csdata,"",@progbits
; Kernel info:
; codeLenInByte = 512
; NumSgprs: 18
; NumVgprs: 9
; ScratchSize: 0
; MemoryBound: 0
; FloatMode: 240
; IeeeMode: 1
; LDSByteSize: 0 bytes/workgroup (compile time only)
; SGPRBlocks: 2
; VGPRBlocks: 1
; NumSGPRsForWavesPerEU: 18
; NumVGPRsForWavesPerEU: 9
; Occupancy: 16
; WaveLimiterHint : 0
; COMPUTE_PGM_RSRC2:SCRATCH_EN: 0
; COMPUTE_PGM_RSRC2:USER_SGPR: 15
; COMPUTE_PGM_RSRC2:TRAP_HANDLER: 0
; COMPUTE_PGM_RSRC2:TGID_X_EN: 1
; COMPUTE_PGM_RSRC2:TGID_Y_EN: 0
; COMPUTE_PGM_RSRC2:TGID_Z_EN: 0
; COMPUTE_PGM_RSRC2:TIDIG_COMP_CNT: 0
	.section	.text._ZN7rocprim17ROCPRIM_400000_NS6detail17trampoline_kernelINS0_14default_configENS1_25partition_config_selectorILNS1_17partition_subalgoE5ElNS0_10empty_typeEbEEZZNS1_14partition_implILS5_5ELb0ES3_mN6hipcub16HIPCUB_304000_NS21CountingInputIteratorIllEEPS6_NSA_22TransformInputIteratorIb7NonZeroIaEPalEENS0_5tupleIJPlS6_EEENSJ_IJSD_SD_EEES6_SK_JS6_EEE10hipError_tPvRmT3_T4_T5_T6_T7_T9_mT8_P12ihipStream_tbDpT10_ENKUlT_T0_E_clISt17integral_constantIbLb0EES15_IbLb1EEEEDaS11_S12_EUlS11_E_NS1_11comp_targetILNS1_3genE0ELNS1_11target_archE4294967295ELNS1_3gpuE0ELNS1_3repE0EEENS1_30default_config_static_selectorELNS0_4arch9wavefront6targetE0EEEvT1_,"axG",@progbits,_ZN7rocprim17ROCPRIM_400000_NS6detail17trampoline_kernelINS0_14default_configENS1_25partition_config_selectorILNS1_17partition_subalgoE5ElNS0_10empty_typeEbEEZZNS1_14partition_implILS5_5ELb0ES3_mN6hipcub16HIPCUB_304000_NS21CountingInputIteratorIllEEPS6_NSA_22TransformInputIteratorIb7NonZeroIaEPalEENS0_5tupleIJPlS6_EEENSJ_IJSD_SD_EEES6_SK_JS6_EEE10hipError_tPvRmT3_T4_T5_T6_T7_T9_mT8_P12ihipStream_tbDpT10_ENKUlT_T0_E_clISt17integral_constantIbLb0EES15_IbLb1EEEEDaS11_S12_EUlS11_E_NS1_11comp_targetILNS1_3genE0ELNS1_11target_archE4294967295ELNS1_3gpuE0ELNS1_3repE0EEENS1_30default_config_static_selectorELNS0_4arch9wavefront6targetE0EEEvT1_,comdat
	.protected	_ZN7rocprim17ROCPRIM_400000_NS6detail17trampoline_kernelINS0_14default_configENS1_25partition_config_selectorILNS1_17partition_subalgoE5ElNS0_10empty_typeEbEEZZNS1_14partition_implILS5_5ELb0ES3_mN6hipcub16HIPCUB_304000_NS21CountingInputIteratorIllEEPS6_NSA_22TransformInputIteratorIb7NonZeroIaEPalEENS0_5tupleIJPlS6_EEENSJ_IJSD_SD_EEES6_SK_JS6_EEE10hipError_tPvRmT3_T4_T5_T6_T7_T9_mT8_P12ihipStream_tbDpT10_ENKUlT_T0_E_clISt17integral_constantIbLb0EES15_IbLb1EEEEDaS11_S12_EUlS11_E_NS1_11comp_targetILNS1_3genE0ELNS1_11target_archE4294967295ELNS1_3gpuE0ELNS1_3repE0EEENS1_30default_config_static_selectorELNS0_4arch9wavefront6targetE0EEEvT1_ ; -- Begin function _ZN7rocprim17ROCPRIM_400000_NS6detail17trampoline_kernelINS0_14default_configENS1_25partition_config_selectorILNS1_17partition_subalgoE5ElNS0_10empty_typeEbEEZZNS1_14partition_implILS5_5ELb0ES3_mN6hipcub16HIPCUB_304000_NS21CountingInputIteratorIllEEPS6_NSA_22TransformInputIteratorIb7NonZeroIaEPalEENS0_5tupleIJPlS6_EEENSJ_IJSD_SD_EEES6_SK_JS6_EEE10hipError_tPvRmT3_T4_T5_T6_T7_T9_mT8_P12ihipStream_tbDpT10_ENKUlT_T0_E_clISt17integral_constantIbLb0EES15_IbLb1EEEEDaS11_S12_EUlS11_E_NS1_11comp_targetILNS1_3genE0ELNS1_11target_archE4294967295ELNS1_3gpuE0ELNS1_3repE0EEENS1_30default_config_static_selectorELNS0_4arch9wavefront6targetE0EEEvT1_
	.globl	_ZN7rocprim17ROCPRIM_400000_NS6detail17trampoline_kernelINS0_14default_configENS1_25partition_config_selectorILNS1_17partition_subalgoE5ElNS0_10empty_typeEbEEZZNS1_14partition_implILS5_5ELb0ES3_mN6hipcub16HIPCUB_304000_NS21CountingInputIteratorIllEEPS6_NSA_22TransformInputIteratorIb7NonZeroIaEPalEENS0_5tupleIJPlS6_EEENSJ_IJSD_SD_EEES6_SK_JS6_EEE10hipError_tPvRmT3_T4_T5_T6_T7_T9_mT8_P12ihipStream_tbDpT10_ENKUlT_T0_E_clISt17integral_constantIbLb0EES15_IbLb1EEEEDaS11_S12_EUlS11_E_NS1_11comp_targetILNS1_3genE0ELNS1_11target_archE4294967295ELNS1_3gpuE0ELNS1_3repE0EEENS1_30default_config_static_selectorELNS0_4arch9wavefront6targetE0EEEvT1_
	.p2align	8
	.type	_ZN7rocprim17ROCPRIM_400000_NS6detail17trampoline_kernelINS0_14default_configENS1_25partition_config_selectorILNS1_17partition_subalgoE5ElNS0_10empty_typeEbEEZZNS1_14partition_implILS5_5ELb0ES3_mN6hipcub16HIPCUB_304000_NS21CountingInputIteratorIllEEPS6_NSA_22TransformInputIteratorIb7NonZeroIaEPalEENS0_5tupleIJPlS6_EEENSJ_IJSD_SD_EEES6_SK_JS6_EEE10hipError_tPvRmT3_T4_T5_T6_T7_T9_mT8_P12ihipStream_tbDpT10_ENKUlT_T0_E_clISt17integral_constantIbLb0EES15_IbLb1EEEEDaS11_S12_EUlS11_E_NS1_11comp_targetILNS1_3genE0ELNS1_11target_archE4294967295ELNS1_3gpuE0ELNS1_3repE0EEENS1_30default_config_static_selectorELNS0_4arch9wavefront6targetE0EEEvT1_,@function
_ZN7rocprim17ROCPRIM_400000_NS6detail17trampoline_kernelINS0_14default_configENS1_25partition_config_selectorILNS1_17partition_subalgoE5ElNS0_10empty_typeEbEEZZNS1_14partition_implILS5_5ELb0ES3_mN6hipcub16HIPCUB_304000_NS21CountingInputIteratorIllEEPS6_NSA_22TransformInputIteratorIb7NonZeroIaEPalEENS0_5tupleIJPlS6_EEENSJ_IJSD_SD_EEES6_SK_JS6_EEE10hipError_tPvRmT3_T4_T5_T6_T7_T9_mT8_P12ihipStream_tbDpT10_ENKUlT_T0_E_clISt17integral_constantIbLb0EES15_IbLb1EEEEDaS11_S12_EUlS11_E_NS1_11comp_targetILNS1_3genE0ELNS1_11target_archE4294967295ELNS1_3gpuE0ELNS1_3repE0EEENS1_30default_config_static_selectorELNS0_4arch9wavefront6targetE0EEEvT1_: ; @_ZN7rocprim17ROCPRIM_400000_NS6detail17trampoline_kernelINS0_14default_configENS1_25partition_config_selectorILNS1_17partition_subalgoE5ElNS0_10empty_typeEbEEZZNS1_14partition_implILS5_5ELb0ES3_mN6hipcub16HIPCUB_304000_NS21CountingInputIteratorIllEEPS6_NSA_22TransformInputIteratorIb7NonZeroIaEPalEENS0_5tupleIJPlS6_EEENSJ_IJSD_SD_EEES6_SK_JS6_EEE10hipError_tPvRmT3_T4_T5_T6_T7_T9_mT8_P12ihipStream_tbDpT10_ENKUlT_T0_E_clISt17integral_constantIbLb0EES15_IbLb1EEEEDaS11_S12_EUlS11_E_NS1_11comp_targetILNS1_3genE0ELNS1_11target_archE4294967295ELNS1_3gpuE0ELNS1_3repE0EEENS1_30default_config_static_selectorELNS0_4arch9wavefront6targetE0EEEvT1_
; %bb.0:
	.section	.rodata,"a",@progbits
	.p2align	6, 0x0
	.amdhsa_kernel _ZN7rocprim17ROCPRIM_400000_NS6detail17trampoline_kernelINS0_14default_configENS1_25partition_config_selectorILNS1_17partition_subalgoE5ElNS0_10empty_typeEbEEZZNS1_14partition_implILS5_5ELb0ES3_mN6hipcub16HIPCUB_304000_NS21CountingInputIteratorIllEEPS6_NSA_22TransformInputIteratorIb7NonZeroIaEPalEENS0_5tupleIJPlS6_EEENSJ_IJSD_SD_EEES6_SK_JS6_EEE10hipError_tPvRmT3_T4_T5_T6_T7_T9_mT8_P12ihipStream_tbDpT10_ENKUlT_T0_E_clISt17integral_constantIbLb0EES15_IbLb1EEEEDaS11_S12_EUlS11_E_NS1_11comp_targetILNS1_3genE0ELNS1_11target_archE4294967295ELNS1_3gpuE0ELNS1_3repE0EEENS1_30default_config_static_selectorELNS0_4arch9wavefront6targetE0EEEvT1_
		.amdhsa_group_segment_fixed_size 0
		.amdhsa_private_segment_fixed_size 0
		.amdhsa_kernarg_size 136
		.amdhsa_user_sgpr_count 15
		.amdhsa_user_sgpr_dispatch_ptr 0
		.amdhsa_user_sgpr_queue_ptr 0
		.amdhsa_user_sgpr_kernarg_segment_ptr 1
		.amdhsa_user_sgpr_dispatch_id 0
		.amdhsa_user_sgpr_private_segment_size 0
		.amdhsa_wavefront_size32 1
		.amdhsa_uses_dynamic_stack 0
		.amdhsa_enable_private_segment 0
		.amdhsa_system_sgpr_workgroup_id_x 1
		.amdhsa_system_sgpr_workgroup_id_y 0
		.amdhsa_system_sgpr_workgroup_id_z 0
		.amdhsa_system_sgpr_workgroup_info 0
		.amdhsa_system_vgpr_workitem_id 0
		.amdhsa_next_free_vgpr 1
		.amdhsa_next_free_sgpr 1
		.amdhsa_reserve_vcc 0
		.amdhsa_float_round_mode_32 0
		.amdhsa_float_round_mode_16_64 0
		.amdhsa_float_denorm_mode_32 3
		.amdhsa_float_denorm_mode_16_64 3
		.amdhsa_dx10_clamp 1
		.amdhsa_ieee_mode 1
		.amdhsa_fp16_overflow 0
		.amdhsa_workgroup_processor_mode 1
		.amdhsa_memory_ordered 1
		.amdhsa_forward_progress 0
		.amdhsa_shared_vgpr_count 0
		.amdhsa_exception_fp_ieee_invalid_op 0
		.amdhsa_exception_fp_denorm_src 0
		.amdhsa_exception_fp_ieee_div_zero 0
		.amdhsa_exception_fp_ieee_overflow 0
		.amdhsa_exception_fp_ieee_underflow 0
		.amdhsa_exception_fp_ieee_inexact 0
		.amdhsa_exception_int_div_zero 0
	.end_amdhsa_kernel
	.section	.text._ZN7rocprim17ROCPRIM_400000_NS6detail17trampoline_kernelINS0_14default_configENS1_25partition_config_selectorILNS1_17partition_subalgoE5ElNS0_10empty_typeEbEEZZNS1_14partition_implILS5_5ELb0ES3_mN6hipcub16HIPCUB_304000_NS21CountingInputIteratorIllEEPS6_NSA_22TransformInputIteratorIb7NonZeroIaEPalEENS0_5tupleIJPlS6_EEENSJ_IJSD_SD_EEES6_SK_JS6_EEE10hipError_tPvRmT3_T4_T5_T6_T7_T9_mT8_P12ihipStream_tbDpT10_ENKUlT_T0_E_clISt17integral_constantIbLb0EES15_IbLb1EEEEDaS11_S12_EUlS11_E_NS1_11comp_targetILNS1_3genE0ELNS1_11target_archE4294967295ELNS1_3gpuE0ELNS1_3repE0EEENS1_30default_config_static_selectorELNS0_4arch9wavefront6targetE0EEEvT1_,"axG",@progbits,_ZN7rocprim17ROCPRIM_400000_NS6detail17trampoline_kernelINS0_14default_configENS1_25partition_config_selectorILNS1_17partition_subalgoE5ElNS0_10empty_typeEbEEZZNS1_14partition_implILS5_5ELb0ES3_mN6hipcub16HIPCUB_304000_NS21CountingInputIteratorIllEEPS6_NSA_22TransformInputIteratorIb7NonZeroIaEPalEENS0_5tupleIJPlS6_EEENSJ_IJSD_SD_EEES6_SK_JS6_EEE10hipError_tPvRmT3_T4_T5_T6_T7_T9_mT8_P12ihipStream_tbDpT10_ENKUlT_T0_E_clISt17integral_constantIbLb0EES15_IbLb1EEEEDaS11_S12_EUlS11_E_NS1_11comp_targetILNS1_3genE0ELNS1_11target_archE4294967295ELNS1_3gpuE0ELNS1_3repE0EEENS1_30default_config_static_selectorELNS0_4arch9wavefront6targetE0EEEvT1_,comdat
.Lfunc_end72:
	.size	_ZN7rocprim17ROCPRIM_400000_NS6detail17trampoline_kernelINS0_14default_configENS1_25partition_config_selectorILNS1_17partition_subalgoE5ElNS0_10empty_typeEbEEZZNS1_14partition_implILS5_5ELb0ES3_mN6hipcub16HIPCUB_304000_NS21CountingInputIteratorIllEEPS6_NSA_22TransformInputIteratorIb7NonZeroIaEPalEENS0_5tupleIJPlS6_EEENSJ_IJSD_SD_EEES6_SK_JS6_EEE10hipError_tPvRmT3_T4_T5_T6_T7_T9_mT8_P12ihipStream_tbDpT10_ENKUlT_T0_E_clISt17integral_constantIbLb0EES15_IbLb1EEEEDaS11_S12_EUlS11_E_NS1_11comp_targetILNS1_3genE0ELNS1_11target_archE4294967295ELNS1_3gpuE0ELNS1_3repE0EEENS1_30default_config_static_selectorELNS0_4arch9wavefront6targetE0EEEvT1_, .Lfunc_end72-_ZN7rocprim17ROCPRIM_400000_NS6detail17trampoline_kernelINS0_14default_configENS1_25partition_config_selectorILNS1_17partition_subalgoE5ElNS0_10empty_typeEbEEZZNS1_14partition_implILS5_5ELb0ES3_mN6hipcub16HIPCUB_304000_NS21CountingInputIteratorIllEEPS6_NSA_22TransformInputIteratorIb7NonZeroIaEPalEENS0_5tupleIJPlS6_EEENSJ_IJSD_SD_EEES6_SK_JS6_EEE10hipError_tPvRmT3_T4_T5_T6_T7_T9_mT8_P12ihipStream_tbDpT10_ENKUlT_T0_E_clISt17integral_constantIbLb0EES15_IbLb1EEEEDaS11_S12_EUlS11_E_NS1_11comp_targetILNS1_3genE0ELNS1_11target_archE4294967295ELNS1_3gpuE0ELNS1_3repE0EEENS1_30default_config_static_selectorELNS0_4arch9wavefront6targetE0EEEvT1_
                                        ; -- End function
	.section	.AMDGPU.csdata,"",@progbits
; Kernel info:
; codeLenInByte = 0
; NumSgprs: 0
; NumVgprs: 0
; ScratchSize: 0
; MemoryBound: 0
; FloatMode: 240
; IeeeMode: 1
; LDSByteSize: 0 bytes/workgroup (compile time only)
; SGPRBlocks: 0
; VGPRBlocks: 0
; NumSGPRsForWavesPerEU: 1
; NumVGPRsForWavesPerEU: 1
; Occupancy: 16
; WaveLimiterHint : 0
; COMPUTE_PGM_RSRC2:SCRATCH_EN: 0
; COMPUTE_PGM_RSRC2:USER_SGPR: 15
; COMPUTE_PGM_RSRC2:TRAP_HANDLER: 0
; COMPUTE_PGM_RSRC2:TGID_X_EN: 1
; COMPUTE_PGM_RSRC2:TGID_Y_EN: 0
; COMPUTE_PGM_RSRC2:TGID_Z_EN: 0
; COMPUTE_PGM_RSRC2:TIDIG_COMP_CNT: 0
	.section	.text._ZN7rocprim17ROCPRIM_400000_NS6detail17trampoline_kernelINS0_14default_configENS1_25partition_config_selectorILNS1_17partition_subalgoE5ElNS0_10empty_typeEbEEZZNS1_14partition_implILS5_5ELb0ES3_mN6hipcub16HIPCUB_304000_NS21CountingInputIteratorIllEEPS6_NSA_22TransformInputIteratorIb7NonZeroIaEPalEENS0_5tupleIJPlS6_EEENSJ_IJSD_SD_EEES6_SK_JS6_EEE10hipError_tPvRmT3_T4_T5_T6_T7_T9_mT8_P12ihipStream_tbDpT10_ENKUlT_T0_E_clISt17integral_constantIbLb0EES15_IbLb1EEEEDaS11_S12_EUlS11_E_NS1_11comp_targetILNS1_3genE5ELNS1_11target_archE942ELNS1_3gpuE9ELNS1_3repE0EEENS1_30default_config_static_selectorELNS0_4arch9wavefront6targetE0EEEvT1_,"axG",@progbits,_ZN7rocprim17ROCPRIM_400000_NS6detail17trampoline_kernelINS0_14default_configENS1_25partition_config_selectorILNS1_17partition_subalgoE5ElNS0_10empty_typeEbEEZZNS1_14partition_implILS5_5ELb0ES3_mN6hipcub16HIPCUB_304000_NS21CountingInputIteratorIllEEPS6_NSA_22TransformInputIteratorIb7NonZeroIaEPalEENS0_5tupleIJPlS6_EEENSJ_IJSD_SD_EEES6_SK_JS6_EEE10hipError_tPvRmT3_T4_T5_T6_T7_T9_mT8_P12ihipStream_tbDpT10_ENKUlT_T0_E_clISt17integral_constantIbLb0EES15_IbLb1EEEEDaS11_S12_EUlS11_E_NS1_11comp_targetILNS1_3genE5ELNS1_11target_archE942ELNS1_3gpuE9ELNS1_3repE0EEENS1_30default_config_static_selectorELNS0_4arch9wavefront6targetE0EEEvT1_,comdat
	.protected	_ZN7rocprim17ROCPRIM_400000_NS6detail17trampoline_kernelINS0_14default_configENS1_25partition_config_selectorILNS1_17partition_subalgoE5ElNS0_10empty_typeEbEEZZNS1_14partition_implILS5_5ELb0ES3_mN6hipcub16HIPCUB_304000_NS21CountingInputIteratorIllEEPS6_NSA_22TransformInputIteratorIb7NonZeroIaEPalEENS0_5tupleIJPlS6_EEENSJ_IJSD_SD_EEES6_SK_JS6_EEE10hipError_tPvRmT3_T4_T5_T6_T7_T9_mT8_P12ihipStream_tbDpT10_ENKUlT_T0_E_clISt17integral_constantIbLb0EES15_IbLb1EEEEDaS11_S12_EUlS11_E_NS1_11comp_targetILNS1_3genE5ELNS1_11target_archE942ELNS1_3gpuE9ELNS1_3repE0EEENS1_30default_config_static_selectorELNS0_4arch9wavefront6targetE0EEEvT1_ ; -- Begin function _ZN7rocprim17ROCPRIM_400000_NS6detail17trampoline_kernelINS0_14default_configENS1_25partition_config_selectorILNS1_17partition_subalgoE5ElNS0_10empty_typeEbEEZZNS1_14partition_implILS5_5ELb0ES3_mN6hipcub16HIPCUB_304000_NS21CountingInputIteratorIllEEPS6_NSA_22TransformInputIteratorIb7NonZeroIaEPalEENS0_5tupleIJPlS6_EEENSJ_IJSD_SD_EEES6_SK_JS6_EEE10hipError_tPvRmT3_T4_T5_T6_T7_T9_mT8_P12ihipStream_tbDpT10_ENKUlT_T0_E_clISt17integral_constantIbLb0EES15_IbLb1EEEEDaS11_S12_EUlS11_E_NS1_11comp_targetILNS1_3genE5ELNS1_11target_archE942ELNS1_3gpuE9ELNS1_3repE0EEENS1_30default_config_static_selectorELNS0_4arch9wavefront6targetE0EEEvT1_
	.globl	_ZN7rocprim17ROCPRIM_400000_NS6detail17trampoline_kernelINS0_14default_configENS1_25partition_config_selectorILNS1_17partition_subalgoE5ElNS0_10empty_typeEbEEZZNS1_14partition_implILS5_5ELb0ES3_mN6hipcub16HIPCUB_304000_NS21CountingInputIteratorIllEEPS6_NSA_22TransformInputIteratorIb7NonZeroIaEPalEENS0_5tupleIJPlS6_EEENSJ_IJSD_SD_EEES6_SK_JS6_EEE10hipError_tPvRmT3_T4_T5_T6_T7_T9_mT8_P12ihipStream_tbDpT10_ENKUlT_T0_E_clISt17integral_constantIbLb0EES15_IbLb1EEEEDaS11_S12_EUlS11_E_NS1_11comp_targetILNS1_3genE5ELNS1_11target_archE942ELNS1_3gpuE9ELNS1_3repE0EEENS1_30default_config_static_selectorELNS0_4arch9wavefront6targetE0EEEvT1_
	.p2align	8
	.type	_ZN7rocprim17ROCPRIM_400000_NS6detail17trampoline_kernelINS0_14default_configENS1_25partition_config_selectorILNS1_17partition_subalgoE5ElNS0_10empty_typeEbEEZZNS1_14partition_implILS5_5ELb0ES3_mN6hipcub16HIPCUB_304000_NS21CountingInputIteratorIllEEPS6_NSA_22TransformInputIteratorIb7NonZeroIaEPalEENS0_5tupleIJPlS6_EEENSJ_IJSD_SD_EEES6_SK_JS6_EEE10hipError_tPvRmT3_T4_T5_T6_T7_T9_mT8_P12ihipStream_tbDpT10_ENKUlT_T0_E_clISt17integral_constantIbLb0EES15_IbLb1EEEEDaS11_S12_EUlS11_E_NS1_11comp_targetILNS1_3genE5ELNS1_11target_archE942ELNS1_3gpuE9ELNS1_3repE0EEENS1_30default_config_static_selectorELNS0_4arch9wavefront6targetE0EEEvT1_,@function
_ZN7rocprim17ROCPRIM_400000_NS6detail17trampoline_kernelINS0_14default_configENS1_25partition_config_selectorILNS1_17partition_subalgoE5ElNS0_10empty_typeEbEEZZNS1_14partition_implILS5_5ELb0ES3_mN6hipcub16HIPCUB_304000_NS21CountingInputIteratorIllEEPS6_NSA_22TransformInputIteratorIb7NonZeroIaEPalEENS0_5tupleIJPlS6_EEENSJ_IJSD_SD_EEES6_SK_JS6_EEE10hipError_tPvRmT3_T4_T5_T6_T7_T9_mT8_P12ihipStream_tbDpT10_ENKUlT_T0_E_clISt17integral_constantIbLb0EES15_IbLb1EEEEDaS11_S12_EUlS11_E_NS1_11comp_targetILNS1_3genE5ELNS1_11target_archE942ELNS1_3gpuE9ELNS1_3repE0EEENS1_30default_config_static_selectorELNS0_4arch9wavefront6targetE0EEEvT1_: ; @_ZN7rocprim17ROCPRIM_400000_NS6detail17trampoline_kernelINS0_14default_configENS1_25partition_config_selectorILNS1_17partition_subalgoE5ElNS0_10empty_typeEbEEZZNS1_14partition_implILS5_5ELb0ES3_mN6hipcub16HIPCUB_304000_NS21CountingInputIteratorIllEEPS6_NSA_22TransformInputIteratorIb7NonZeroIaEPalEENS0_5tupleIJPlS6_EEENSJ_IJSD_SD_EEES6_SK_JS6_EEE10hipError_tPvRmT3_T4_T5_T6_T7_T9_mT8_P12ihipStream_tbDpT10_ENKUlT_T0_E_clISt17integral_constantIbLb0EES15_IbLb1EEEEDaS11_S12_EUlS11_E_NS1_11comp_targetILNS1_3genE5ELNS1_11target_archE942ELNS1_3gpuE9ELNS1_3repE0EEENS1_30default_config_static_selectorELNS0_4arch9wavefront6targetE0EEEvT1_
; %bb.0:
	.section	.rodata,"a",@progbits
	.p2align	6, 0x0
	.amdhsa_kernel _ZN7rocprim17ROCPRIM_400000_NS6detail17trampoline_kernelINS0_14default_configENS1_25partition_config_selectorILNS1_17partition_subalgoE5ElNS0_10empty_typeEbEEZZNS1_14partition_implILS5_5ELb0ES3_mN6hipcub16HIPCUB_304000_NS21CountingInputIteratorIllEEPS6_NSA_22TransformInputIteratorIb7NonZeroIaEPalEENS0_5tupleIJPlS6_EEENSJ_IJSD_SD_EEES6_SK_JS6_EEE10hipError_tPvRmT3_T4_T5_T6_T7_T9_mT8_P12ihipStream_tbDpT10_ENKUlT_T0_E_clISt17integral_constantIbLb0EES15_IbLb1EEEEDaS11_S12_EUlS11_E_NS1_11comp_targetILNS1_3genE5ELNS1_11target_archE942ELNS1_3gpuE9ELNS1_3repE0EEENS1_30default_config_static_selectorELNS0_4arch9wavefront6targetE0EEEvT1_
		.amdhsa_group_segment_fixed_size 0
		.amdhsa_private_segment_fixed_size 0
		.amdhsa_kernarg_size 136
		.amdhsa_user_sgpr_count 15
		.amdhsa_user_sgpr_dispatch_ptr 0
		.amdhsa_user_sgpr_queue_ptr 0
		.amdhsa_user_sgpr_kernarg_segment_ptr 1
		.amdhsa_user_sgpr_dispatch_id 0
		.amdhsa_user_sgpr_private_segment_size 0
		.amdhsa_wavefront_size32 1
		.amdhsa_uses_dynamic_stack 0
		.amdhsa_enable_private_segment 0
		.amdhsa_system_sgpr_workgroup_id_x 1
		.amdhsa_system_sgpr_workgroup_id_y 0
		.amdhsa_system_sgpr_workgroup_id_z 0
		.amdhsa_system_sgpr_workgroup_info 0
		.amdhsa_system_vgpr_workitem_id 0
		.amdhsa_next_free_vgpr 1
		.amdhsa_next_free_sgpr 1
		.amdhsa_reserve_vcc 0
		.amdhsa_float_round_mode_32 0
		.amdhsa_float_round_mode_16_64 0
		.amdhsa_float_denorm_mode_32 3
		.amdhsa_float_denorm_mode_16_64 3
		.amdhsa_dx10_clamp 1
		.amdhsa_ieee_mode 1
		.amdhsa_fp16_overflow 0
		.amdhsa_workgroup_processor_mode 1
		.amdhsa_memory_ordered 1
		.amdhsa_forward_progress 0
		.amdhsa_shared_vgpr_count 0
		.amdhsa_exception_fp_ieee_invalid_op 0
		.amdhsa_exception_fp_denorm_src 0
		.amdhsa_exception_fp_ieee_div_zero 0
		.amdhsa_exception_fp_ieee_overflow 0
		.amdhsa_exception_fp_ieee_underflow 0
		.amdhsa_exception_fp_ieee_inexact 0
		.amdhsa_exception_int_div_zero 0
	.end_amdhsa_kernel
	.section	.text._ZN7rocprim17ROCPRIM_400000_NS6detail17trampoline_kernelINS0_14default_configENS1_25partition_config_selectorILNS1_17partition_subalgoE5ElNS0_10empty_typeEbEEZZNS1_14partition_implILS5_5ELb0ES3_mN6hipcub16HIPCUB_304000_NS21CountingInputIteratorIllEEPS6_NSA_22TransformInputIteratorIb7NonZeroIaEPalEENS0_5tupleIJPlS6_EEENSJ_IJSD_SD_EEES6_SK_JS6_EEE10hipError_tPvRmT3_T4_T5_T6_T7_T9_mT8_P12ihipStream_tbDpT10_ENKUlT_T0_E_clISt17integral_constantIbLb0EES15_IbLb1EEEEDaS11_S12_EUlS11_E_NS1_11comp_targetILNS1_3genE5ELNS1_11target_archE942ELNS1_3gpuE9ELNS1_3repE0EEENS1_30default_config_static_selectorELNS0_4arch9wavefront6targetE0EEEvT1_,"axG",@progbits,_ZN7rocprim17ROCPRIM_400000_NS6detail17trampoline_kernelINS0_14default_configENS1_25partition_config_selectorILNS1_17partition_subalgoE5ElNS0_10empty_typeEbEEZZNS1_14partition_implILS5_5ELb0ES3_mN6hipcub16HIPCUB_304000_NS21CountingInputIteratorIllEEPS6_NSA_22TransformInputIteratorIb7NonZeroIaEPalEENS0_5tupleIJPlS6_EEENSJ_IJSD_SD_EEES6_SK_JS6_EEE10hipError_tPvRmT3_T4_T5_T6_T7_T9_mT8_P12ihipStream_tbDpT10_ENKUlT_T0_E_clISt17integral_constantIbLb0EES15_IbLb1EEEEDaS11_S12_EUlS11_E_NS1_11comp_targetILNS1_3genE5ELNS1_11target_archE942ELNS1_3gpuE9ELNS1_3repE0EEENS1_30default_config_static_selectorELNS0_4arch9wavefront6targetE0EEEvT1_,comdat
.Lfunc_end73:
	.size	_ZN7rocprim17ROCPRIM_400000_NS6detail17trampoline_kernelINS0_14default_configENS1_25partition_config_selectorILNS1_17partition_subalgoE5ElNS0_10empty_typeEbEEZZNS1_14partition_implILS5_5ELb0ES3_mN6hipcub16HIPCUB_304000_NS21CountingInputIteratorIllEEPS6_NSA_22TransformInputIteratorIb7NonZeroIaEPalEENS0_5tupleIJPlS6_EEENSJ_IJSD_SD_EEES6_SK_JS6_EEE10hipError_tPvRmT3_T4_T5_T6_T7_T9_mT8_P12ihipStream_tbDpT10_ENKUlT_T0_E_clISt17integral_constantIbLb0EES15_IbLb1EEEEDaS11_S12_EUlS11_E_NS1_11comp_targetILNS1_3genE5ELNS1_11target_archE942ELNS1_3gpuE9ELNS1_3repE0EEENS1_30default_config_static_selectorELNS0_4arch9wavefront6targetE0EEEvT1_, .Lfunc_end73-_ZN7rocprim17ROCPRIM_400000_NS6detail17trampoline_kernelINS0_14default_configENS1_25partition_config_selectorILNS1_17partition_subalgoE5ElNS0_10empty_typeEbEEZZNS1_14partition_implILS5_5ELb0ES3_mN6hipcub16HIPCUB_304000_NS21CountingInputIteratorIllEEPS6_NSA_22TransformInputIteratorIb7NonZeroIaEPalEENS0_5tupleIJPlS6_EEENSJ_IJSD_SD_EEES6_SK_JS6_EEE10hipError_tPvRmT3_T4_T5_T6_T7_T9_mT8_P12ihipStream_tbDpT10_ENKUlT_T0_E_clISt17integral_constantIbLb0EES15_IbLb1EEEEDaS11_S12_EUlS11_E_NS1_11comp_targetILNS1_3genE5ELNS1_11target_archE942ELNS1_3gpuE9ELNS1_3repE0EEENS1_30default_config_static_selectorELNS0_4arch9wavefront6targetE0EEEvT1_
                                        ; -- End function
	.section	.AMDGPU.csdata,"",@progbits
; Kernel info:
; codeLenInByte = 0
; NumSgprs: 0
; NumVgprs: 0
; ScratchSize: 0
; MemoryBound: 0
; FloatMode: 240
; IeeeMode: 1
; LDSByteSize: 0 bytes/workgroup (compile time only)
; SGPRBlocks: 0
; VGPRBlocks: 0
; NumSGPRsForWavesPerEU: 1
; NumVGPRsForWavesPerEU: 1
; Occupancy: 16
; WaveLimiterHint : 0
; COMPUTE_PGM_RSRC2:SCRATCH_EN: 0
; COMPUTE_PGM_RSRC2:USER_SGPR: 15
; COMPUTE_PGM_RSRC2:TRAP_HANDLER: 0
; COMPUTE_PGM_RSRC2:TGID_X_EN: 1
; COMPUTE_PGM_RSRC2:TGID_Y_EN: 0
; COMPUTE_PGM_RSRC2:TGID_Z_EN: 0
; COMPUTE_PGM_RSRC2:TIDIG_COMP_CNT: 0
	.section	.text._ZN7rocprim17ROCPRIM_400000_NS6detail17trampoline_kernelINS0_14default_configENS1_25partition_config_selectorILNS1_17partition_subalgoE5ElNS0_10empty_typeEbEEZZNS1_14partition_implILS5_5ELb0ES3_mN6hipcub16HIPCUB_304000_NS21CountingInputIteratorIllEEPS6_NSA_22TransformInputIteratorIb7NonZeroIaEPalEENS0_5tupleIJPlS6_EEENSJ_IJSD_SD_EEES6_SK_JS6_EEE10hipError_tPvRmT3_T4_T5_T6_T7_T9_mT8_P12ihipStream_tbDpT10_ENKUlT_T0_E_clISt17integral_constantIbLb0EES15_IbLb1EEEEDaS11_S12_EUlS11_E_NS1_11comp_targetILNS1_3genE4ELNS1_11target_archE910ELNS1_3gpuE8ELNS1_3repE0EEENS1_30default_config_static_selectorELNS0_4arch9wavefront6targetE0EEEvT1_,"axG",@progbits,_ZN7rocprim17ROCPRIM_400000_NS6detail17trampoline_kernelINS0_14default_configENS1_25partition_config_selectorILNS1_17partition_subalgoE5ElNS0_10empty_typeEbEEZZNS1_14partition_implILS5_5ELb0ES3_mN6hipcub16HIPCUB_304000_NS21CountingInputIteratorIllEEPS6_NSA_22TransformInputIteratorIb7NonZeroIaEPalEENS0_5tupleIJPlS6_EEENSJ_IJSD_SD_EEES6_SK_JS6_EEE10hipError_tPvRmT3_T4_T5_T6_T7_T9_mT8_P12ihipStream_tbDpT10_ENKUlT_T0_E_clISt17integral_constantIbLb0EES15_IbLb1EEEEDaS11_S12_EUlS11_E_NS1_11comp_targetILNS1_3genE4ELNS1_11target_archE910ELNS1_3gpuE8ELNS1_3repE0EEENS1_30default_config_static_selectorELNS0_4arch9wavefront6targetE0EEEvT1_,comdat
	.protected	_ZN7rocprim17ROCPRIM_400000_NS6detail17trampoline_kernelINS0_14default_configENS1_25partition_config_selectorILNS1_17partition_subalgoE5ElNS0_10empty_typeEbEEZZNS1_14partition_implILS5_5ELb0ES3_mN6hipcub16HIPCUB_304000_NS21CountingInputIteratorIllEEPS6_NSA_22TransformInputIteratorIb7NonZeroIaEPalEENS0_5tupleIJPlS6_EEENSJ_IJSD_SD_EEES6_SK_JS6_EEE10hipError_tPvRmT3_T4_T5_T6_T7_T9_mT8_P12ihipStream_tbDpT10_ENKUlT_T0_E_clISt17integral_constantIbLb0EES15_IbLb1EEEEDaS11_S12_EUlS11_E_NS1_11comp_targetILNS1_3genE4ELNS1_11target_archE910ELNS1_3gpuE8ELNS1_3repE0EEENS1_30default_config_static_selectorELNS0_4arch9wavefront6targetE0EEEvT1_ ; -- Begin function _ZN7rocprim17ROCPRIM_400000_NS6detail17trampoline_kernelINS0_14default_configENS1_25partition_config_selectorILNS1_17partition_subalgoE5ElNS0_10empty_typeEbEEZZNS1_14partition_implILS5_5ELb0ES3_mN6hipcub16HIPCUB_304000_NS21CountingInputIteratorIllEEPS6_NSA_22TransformInputIteratorIb7NonZeroIaEPalEENS0_5tupleIJPlS6_EEENSJ_IJSD_SD_EEES6_SK_JS6_EEE10hipError_tPvRmT3_T4_T5_T6_T7_T9_mT8_P12ihipStream_tbDpT10_ENKUlT_T0_E_clISt17integral_constantIbLb0EES15_IbLb1EEEEDaS11_S12_EUlS11_E_NS1_11comp_targetILNS1_3genE4ELNS1_11target_archE910ELNS1_3gpuE8ELNS1_3repE0EEENS1_30default_config_static_selectorELNS0_4arch9wavefront6targetE0EEEvT1_
	.globl	_ZN7rocprim17ROCPRIM_400000_NS6detail17trampoline_kernelINS0_14default_configENS1_25partition_config_selectorILNS1_17partition_subalgoE5ElNS0_10empty_typeEbEEZZNS1_14partition_implILS5_5ELb0ES3_mN6hipcub16HIPCUB_304000_NS21CountingInputIteratorIllEEPS6_NSA_22TransformInputIteratorIb7NonZeroIaEPalEENS0_5tupleIJPlS6_EEENSJ_IJSD_SD_EEES6_SK_JS6_EEE10hipError_tPvRmT3_T4_T5_T6_T7_T9_mT8_P12ihipStream_tbDpT10_ENKUlT_T0_E_clISt17integral_constantIbLb0EES15_IbLb1EEEEDaS11_S12_EUlS11_E_NS1_11comp_targetILNS1_3genE4ELNS1_11target_archE910ELNS1_3gpuE8ELNS1_3repE0EEENS1_30default_config_static_selectorELNS0_4arch9wavefront6targetE0EEEvT1_
	.p2align	8
	.type	_ZN7rocprim17ROCPRIM_400000_NS6detail17trampoline_kernelINS0_14default_configENS1_25partition_config_selectorILNS1_17partition_subalgoE5ElNS0_10empty_typeEbEEZZNS1_14partition_implILS5_5ELb0ES3_mN6hipcub16HIPCUB_304000_NS21CountingInputIteratorIllEEPS6_NSA_22TransformInputIteratorIb7NonZeroIaEPalEENS0_5tupleIJPlS6_EEENSJ_IJSD_SD_EEES6_SK_JS6_EEE10hipError_tPvRmT3_T4_T5_T6_T7_T9_mT8_P12ihipStream_tbDpT10_ENKUlT_T0_E_clISt17integral_constantIbLb0EES15_IbLb1EEEEDaS11_S12_EUlS11_E_NS1_11comp_targetILNS1_3genE4ELNS1_11target_archE910ELNS1_3gpuE8ELNS1_3repE0EEENS1_30default_config_static_selectorELNS0_4arch9wavefront6targetE0EEEvT1_,@function
_ZN7rocprim17ROCPRIM_400000_NS6detail17trampoline_kernelINS0_14default_configENS1_25partition_config_selectorILNS1_17partition_subalgoE5ElNS0_10empty_typeEbEEZZNS1_14partition_implILS5_5ELb0ES3_mN6hipcub16HIPCUB_304000_NS21CountingInputIteratorIllEEPS6_NSA_22TransformInputIteratorIb7NonZeroIaEPalEENS0_5tupleIJPlS6_EEENSJ_IJSD_SD_EEES6_SK_JS6_EEE10hipError_tPvRmT3_T4_T5_T6_T7_T9_mT8_P12ihipStream_tbDpT10_ENKUlT_T0_E_clISt17integral_constantIbLb0EES15_IbLb1EEEEDaS11_S12_EUlS11_E_NS1_11comp_targetILNS1_3genE4ELNS1_11target_archE910ELNS1_3gpuE8ELNS1_3repE0EEENS1_30default_config_static_selectorELNS0_4arch9wavefront6targetE0EEEvT1_: ; @_ZN7rocprim17ROCPRIM_400000_NS6detail17trampoline_kernelINS0_14default_configENS1_25partition_config_selectorILNS1_17partition_subalgoE5ElNS0_10empty_typeEbEEZZNS1_14partition_implILS5_5ELb0ES3_mN6hipcub16HIPCUB_304000_NS21CountingInputIteratorIllEEPS6_NSA_22TransformInputIteratorIb7NonZeroIaEPalEENS0_5tupleIJPlS6_EEENSJ_IJSD_SD_EEES6_SK_JS6_EEE10hipError_tPvRmT3_T4_T5_T6_T7_T9_mT8_P12ihipStream_tbDpT10_ENKUlT_T0_E_clISt17integral_constantIbLb0EES15_IbLb1EEEEDaS11_S12_EUlS11_E_NS1_11comp_targetILNS1_3genE4ELNS1_11target_archE910ELNS1_3gpuE8ELNS1_3repE0EEENS1_30default_config_static_selectorELNS0_4arch9wavefront6targetE0EEEvT1_
; %bb.0:
	.section	.rodata,"a",@progbits
	.p2align	6, 0x0
	.amdhsa_kernel _ZN7rocprim17ROCPRIM_400000_NS6detail17trampoline_kernelINS0_14default_configENS1_25partition_config_selectorILNS1_17partition_subalgoE5ElNS0_10empty_typeEbEEZZNS1_14partition_implILS5_5ELb0ES3_mN6hipcub16HIPCUB_304000_NS21CountingInputIteratorIllEEPS6_NSA_22TransformInputIteratorIb7NonZeroIaEPalEENS0_5tupleIJPlS6_EEENSJ_IJSD_SD_EEES6_SK_JS6_EEE10hipError_tPvRmT3_T4_T5_T6_T7_T9_mT8_P12ihipStream_tbDpT10_ENKUlT_T0_E_clISt17integral_constantIbLb0EES15_IbLb1EEEEDaS11_S12_EUlS11_E_NS1_11comp_targetILNS1_3genE4ELNS1_11target_archE910ELNS1_3gpuE8ELNS1_3repE0EEENS1_30default_config_static_selectorELNS0_4arch9wavefront6targetE0EEEvT1_
		.amdhsa_group_segment_fixed_size 0
		.amdhsa_private_segment_fixed_size 0
		.amdhsa_kernarg_size 136
		.amdhsa_user_sgpr_count 15
		.amdhsa_user_sgpr_dispatch_ptr 0
		.amdhsa_user_sgpr_queue_ptr 0
		.amdhsa_user_sgpr_kernarg_segment_ptr 1
		.amdhsa_user_sgpr_dispatch_id 0
		.amdhsa_user_sgpr_private_segment_size 0
		.amdhsa_wavefront_size32 1
		.amdhsa_uses_dynamic_stack 0
		.amdhsa_enable_private_segment 0
		.amdhsa_system_sgpr_workgroup_id_x 1
		.amdhsa_system_sgpr_workgroup_id_y 0
		.amdhsa_system_sgpr_workgroup_id_z 0
		.amdhsa_system_sgpr_workgroup_info 0
		.amdhsa_system_vgpr_workitem_id 0
		.amdhsa_next_free_vgpr 1
		.amdhsa_next_free_sgpr 1
		.amdhsa_reserve_vcc 0
		.amdhsa_float_round_mode_32 0
		.amdhsa_float_round_mode_16_64 0
		.amdhsa_float_denorm_mode_32 3
		.amdhsa_float_denorm_mode_16_64 3
		.amdhsa_dx10_clamp 1
		.amdhsa_ieee_mode 1
		.amdhsa_fp16_overflow 0
		.amdhsa_workgroup_processor_mode 1
		.amdhsa_memory_ordered 1
		.amdhsa_forward_progress 0
		.amdhsa_shared_vgpr_count 0
		.amdhsa_exception_fp_ieee_invalid_op 0
		.amdhsa_exception_fp_denorm_src 0
		.amdhsa_exception_fp_ieee_div_zero 0
		.amdhsa_exception_fp_ieee_overflow 0
		.amdhsa_exception_fp_ieee_underflow 0
		.amdhsa_exception_fp_ieee_inexact 0
		.amdhsa_exception_int_div_zero 0
	.end_amdhsa_kernel
	.section	.text._ZN7rocprim17ROCPRIM_400000_NS6detail17trampoline_kernelINS0_14default_configENS1_25partition_config_selectorILNS1_17partition_subalgoE5ElNS0_10empty_typeEbEEZZNS1_14partition_implILS5_5ELb0ES3_mN6hipcub16HIPCUB_304000_NS21CountingInputIteratorIllEEPS6_NSA_22TransformInputIteratorIb7NonZeroIaEPalEENS0_5tupleIJPlS6_EEENSJ_IJSD_SD_EEES6_SK_JS6_EEE10hipError_tPvRmT3_T4_T5_T6_T7_T9_mT8_P12ihipStream_tbDpT10_ENKUlT_T0_E_clISt17integral_constantIbLb0EES15_IbLb1EEEEDaS11_S12_EUlS11_E_NS1_11comp_targetILNS1_3genE4ELNS1_11target_archE910ELNS1_3gpuE8ELNS1_3repE0EEENS1_30default_config_static_selectorELNS0_4arch9wavefront6targetE0EEEvT1_,"axG",@progbits,_ZN7rocprim17ROCPRIM_400000_NS6detail17trampoline_kernelINS0_14default_configENS1_25partition_config_selectorILNS1_17partition_subalgoE5ElNS0_10empty_typeEbEEZZNS1_14partition_implILS5_5ELb0ES3_mN6hipcub16HIPCUB_304000_NS21CountingInputIteratorIllEEPS6_NSA_22TransformInputIteratorIb7NonZeroIaEPalEENS0_5tupleIJPlS6_EEENSJ_IJSD_SD_EEES6_SK_JS6_EEE10hipError_tPvRmT3_T4_T5_T6_T7_T9_mT8_P12ihipStream_tbDpT10_ENKUlT_T0_E_clISt17integral_constantIbLb0EES15_IbLb1EEEEDaS11_S12_EUlS11_E_NS1_11comp_targetILNS1_3genE4ELNS1_11target_archE910ELNS1_3gpuE8ELNS1_3repE0EEENS1_30default_config_static_selectorELNS0_4arch9wavefront6targetE0EEEvT1_,comdat
.Lfunc_end74:
	.size	_ZN7rocprim17ROCPRIM_400000_NS6detail17trampoline_kernelINS0_14default_configENS1_25partition_config_selectorILNS1_17partition_subalgoE5ElNS0_10empty_typeEbEEZZNS1_14partition_implILS5_5ELb0ES3_mN6hipcub16HIPCUB_304000_NS21CountingInputIteratorIllEEPS6_NSA_22TransformInputIteratorIb7NonZeroIaEPalEENS0_5tupleIJPlS6_EEENSJ_IJSD_SD_EEES6_SK_JS6_EEE10hipError_tPvRmT3_T4_T5_T6_T7_T9_mT8_P12ihipStream_tbDpT10_ENKUlT_T0_E_clISt17integral_constantIbLb0EES15_IbLb1EEEEDaS11_S12_EUlS11_E_NS1_11comp_targetILNS1_3genE4ELNS1_11target_archE910ELNS1_3gpuE8ELNS1_3repE0EEENS1_30default_config_static_selectorELNS0_4arch9wavefront6targetE0EEEvT1_, .Lfunc_end74-_ZN7rocprim17ROCPRIM_400000_NS6detail17trampoline_kernelINS0_14default_configENS1_25partition_config_selectorILNS1_17partition_subalgoE5ElNS0_10empty_typeEbEEZZNS1_14partition_implILS5_5ELb0ES3_mN6hipcub16HIPCUB_304000_NS21CountingInputIteratorIllEEPS6_NSA_22TransformInputIteratorIb7NonZeroIaEPalEENS0_5tupleIJPlS6_EEENSJ_IJSD_SD_EEES6_SK_JS6_EEE10hipError_tPvRmT3_T4_T5_T6_T7_T9_mT8_P12ihipStream_tbDpT10_ENKUlT_T0_E_clISt17integral_constantIbLb0EES15_IbLb1EEEEDaS11_S12_EUlS11_E_NS1_11comp_targetILNS1_3genE4ELNS1_11target_archE910ELNS1_3gpuE8ELNS1_3repE0EEENS1_30default_config_static_selectorELNS0_4arch9wavefront6targetE0EEEvT1_
                                        ; -- End function
	.section	.AMDGPU.csdata,"",@progbits
; Kernel info:
; codeLenInByte = 0
; NumSgprs: 0
; NumVgprs: 0
; ScratchSize: 0
; MemoryBound: 0
; FloatMode: 240
; IeeeMode: 1
; LDSByteSize: 0 bytes/workgroup (compile time only)
; SGPRBlocks: 0
; VGPRBlocks: 0
; NumSGPRsForWavesPerEU: 1
; NumVGPRsForWavesPerEU: 1
; Occupancy: 15
; WaveLimiterHint : 0
; COMPUTE_PGM_RSRC2:SCRATCH_EN: 0
; COMPUTE_PGM_RSRC2:USER_SGPR: 15
; COMPUTE_PGM_RSRC2:TRAP_HANDLER: 0
; COMPUTE_PGM_RSRC2:TGID_X_EN: 1
; COMPUTE_PGM_RSRC2:TGID_Y_EN: 0
; COMPUTE_PGM_RSRC2:TGID_Z_EN: 0
; COMPUTE_PGM_RSRC2:TIDIG_COMP_CNT: 0
	.section	.text._ZN7rocprim17ROCPRIM_400000_NS6detail17trampoline_kernelINS0_14default_configENS1_25partition_config_selectorILNS1_17partition_subalgoE5ElNS0_10empty_typeEbEEZZNS1_14partition_implILS5_5ELb0ES3_mN6hipcub16HIPCUB_304000_NS21CountingInputIteratorIllEEPS6_NSA_22TransformInputIteratorIb7NonZeroIaEPalEENS0_5tupleIJPlS6_EEENSJ_IJSD_SD_EEES6_SK_JS6_EEE10hipError_tPvRmT3_T4_T5_T6_T7_T9_mT8_P12ihipStream_tbDpT10_ENKUlT_T0_E_clISt17integral_constantIbLb0EES15_IbLb1EEEEDaS11_S12_EUlS11_E_NS1_11comp_targetILNS1_3genE3ELNS1_11target_archE908ELNS1_3gpuE7ELNS1_3repE0EEENS1_30default_config_static_selectorELNS0_4arch9wavefront6targetE0EEEvT1_,"axG",@progbits,_ZN7rocprim17ROCPRIM_400000_NS6detail17trampoline_kernelINS0_14default_configENS1_25partition_config_selectorILNS1_17partition_subalgoE5ElNS0_10empty_typeEbEEZZNS1_14partition_implILS5_5ELb0ES3_mN6hipcub16HIPCUB_304000_NS21CountingInputIteratorIllEEPS6_NSA_22TransformInputIteratorIb7NonZeroIaEPalEENS0_5tupleIJPlS6_EEENSJ_IJSD_SD_EEES6_SK_JS6_EEE10hipError_tPvRmT3_T4_T5_T6_T7_T9_mT8_P12ihipStream_tbDpT10_ENKUlT_T0_E_clISt17integral_constantIbLb0EES15_IbLb1EEEEDaS11_S12_EUlS11_E_NS1_11comp_targetILNS1_3genE3ELNS1_11target_archE908ELNS1_3gpuE7ELNS1_3repE0EEENS1_30default_config_static_selectorELNS0_4arch9wavefront6targetE0EEEvT1_,comdat
	.protected	_ZN7rocprim17ROCPRIM_400000_NS6detail17trampoline_kernelINS0_14default_configENS1_25partition_config_selectorILNS1_17partition_subalgoE5ElNS0_10empty_typeEbEEZZNS1_14partition_implILS5_5ELb0ES3_mN6hipcub16HIPCUB_304000_NS21CountingInputIteratorIllEEPS6_NSA_22TransformInputIteratorIb7NonZeroIaEPalEENS0_5tupleIJPlS6_EEENSJ_IJSD_SD_EEES6_SK_JS6_EEE10hipError_tPvRmT3_T4_T5_T6_T7_T9_mT8_P12ihipStream_tbDpT10_ENKUlT_T0_E_clISt17integral_constantIbLb0EES15_IbLb1EEEEDaS11_S12_EUlS11_E_NS1_11comp_targetILNS1_3genE3ELNS1_11target_archE908ELNS1_3gpuE7ELNS1_3repE0EEENS1_30default_config_static_selectorELNS0_4arch9wavefront6targetE0EEEvT1_ ; -- Begin function _ZN7rocprim17ROCPRIM_400000_NS6detail17trampoline_kernelINS0_14default_configENS1_25partition_config_selectorILNS1_17partition_subalgoE5ElNS0_10empty_typeEbEEZZNS1_14partition_implILS5_5ELb0ES3_mN6hipcub16HIPCUB_304000_NS21CountingInputIteratorIllEEPS6_NSA_22TransformInputIteratorIb7NonZeroIaEPalEENS0_5tupleIJPlS6_EEENSJ_IJSD_SD_EEES6_SK_JS6_EEE10hipError_tPvRmT3_T4_T5_T6_T7_T9_mT8_P12ihipStream_tbDpT10_ENKUlT_T0_E_clISt17integral_constantIbLb0EES15_IbLb1EEEEDaS11_S12_EUlS11_E_NS1_11comp_targetILNS1_3genE3ELNS1_11target_archE908ELNS1_3gpuE7ELNS1_3repE0EEENS1_30default_config_static_selectorELNS0_4arch9wavefront6targetE0EEEvT1_
	.globl	_ZN7rocprim17ROCPRIM_400000_NS6detail17trampoline_kernelINS0_14default_configENS1_25partition_config_selectorILNS1_17partition_subalgoE5ElNS0_10empty_typeEbEEZZNS1_14partition_implILS5_5ELb0ES3_mN6hipcub16HIPCUB_304000_NS21CountingInputIteratorIllEEPS6_NSA_22TransformInputIteratorIb7NonZeroIaEPalEENS0_5tupleIJPlS6_EEENSJ_IJSD_SD_EEES6_SK_JS6_EEE10hipError_tPvRmT3_T4_T5_T6_T7_T9_mT8_P12ihipStream_tbDpT10_ENKUlT_T0_E_clISt17integral_constantIbLb0EES15_IbLb1EEEEDaS11_S12_EUlS11_E_NS1_11comp_targetILNS1_3genE3ELNS1_11target_archE908ELNS1_3gpuE7ELNS1_3repE0EEENS1_30default_config_static_selectorELNS0_4arch9wavefront6targetE0EEEvT1_
	.p2align	8
	.type	_ZN7rocprim17ROCPRIM_400000_NS6detail17trampoline_kernelINS0_14default_configENS1_25partition_config_selectorILNS1_17partition_subalgoE5ElNS0_10empty_typeEbEEZZNS1_14partition_implILS5_5ELb0ES3_mN6hipcub16HIPCUB_304000_NS21CountingInputIteratorIllEEPS6_NSA_22TransformInputIteratorIb7NonZeroIaEPalEENS0_5tupleIJPlS6_EEENSJ_IJSD_SD_EEES6_SK_JS6_EEE10hipError_tPvRmT3_T4_T5_T6_T7_T9_mT8_P12ihipStream_tbDpT10_ENKUlT_T0_E_clISt17integral_constantIbLb0EES15_IbLb1EEEEDaS11_S12_EUlS11_E_NS1_11comp_targetILNS1_3genE3ELNS1_11target_archE908ELNS1_3gpuE7ELNS1_3repE0EEENS1_30default_config_static_selectorELNS0_4arch9wavefront6targetE0EEEvT1_,@function
_ZN7rocprim17ROCPRIM_400000_NS6detail17trampoline_kernelINS0_14default_configENS1_25partition_config_selectorILNS1_17partition_subalgoE5ElNS0_10empty_typeEbEEZZNS1_14partition_implILS5_5ELb0ES3_mN6hipcub16HIPCUB_304000_NS21CountingInputIteratorIllEEPS6_NSA_22TransformInputIteratorIb7NonZeroIaEPalEENS0_5tupleIJPlS6_EEENSJ_IJSD_SD_EEES6_SK_JS6_EEE10hipError_tPvRmT3_T4_T5_T6_T7_T9_mT8_P12ihipStream_tbDpT10_ENKUlT_T0_E_clISt17integral_constantIbLb0EES15_IbLb1EEEEDaS11_S12_EUlS11_E_NS1_11comp_targetILNS1_3genE3ELNS1_11target_archE908ELNS1_3gpuE7ELNS1_3repE0EEENS1_30default_config_static_selectorELNS0_4arch9wavefront6targetE0EEEvT1_: ; @_ZN7rocprim17ROCPRIM_400000_NS6detail17trampoline_kernelINS0_14default_configENS1_25partition_config_selectorILNS1_17partition_subalgoE5ElNS0_10empty_typeEbEEZZNS1_14partition_implILS5_5ELb0ES3_mN6hipcub16HIPCUB_304000_NS21CountingInputIteratorIllEEPS6_NSA_22TransformInputIteratorIb7NonZeroIaEPalEENS0_5tupleIJPlS6_EEENSJ_IJSD_SD_EEES6_SK_JS6_EEE10hipError_tPvRmT3_T4_T5_T6_T7_T9_mT8_P12ihipStream_tbDpT10_ENKUlT_T0_E_clISt17integral_constantIbLb0EES15_IbLb1EEEEDaS11_S12_EUlS11_E_NS1_11comp_targetILNS1_3genE3ELNS1_11target_archE908ELNS1_3gpuE7ELNS1_3repE0EEENS1_30default_config_static_selectorELNS0_4arch9wavefront6targetE0EEEvT1_
; %bb.0:
	.section	.rodata,"a",@progbits
	.p2align	6, 0x0
	.amdhsa_kernel _ZN7rocprim17ROCPRIM_400000_NS6detail17trampoline_kernelINS0_14default_configENS1_25partition_config_selectorILNS1_17partition_subalgoE5ElNS0_10empty_typeEbEEZZNS1_14partition_implILS5_5ELb0ES3_mN6hipcub16HIPCUB_304000_NS21CountingInputIteratorIllEEPS6_NSA_22TransformInputIteratorIb7NonZeroIaEPalEENS0_5tupleIJPlS6_EEENSJ_IJSD_SD_EEES6_SK_JS6_EEE10hipError_tPvRmT3_T4_T5_T6_T7_T9_mT8_P12ihipStream_tbDpT10_ENKUlT_T0_E_clISt17integral_constantIbLb0EES15_IbLb1EEEEDaS11_S12_EUlS11_E_NS1_11comp_targetILNS1_3genE3ELNS1_11target_archE908ELNS1_3gpuE7ELNS1_3repE0EEENS1_30default_config_static_selectorELNS0_4arch9wavefront6targetE0EEEvT1_
		.amdhsa_group_segment_fixed_size 0
		.amdhsa_private_segment_fixed_size 0
		.amdhsa_kernarg_size 136
		.amdhsa_user_sgpr_count 15
		.amdhsa_user_sgpr_dispatch_ptr 0
		.amdhsa_user_sgpr_queue_ptr 0
		.amdhsa_user_sgpr_kernarg_segment_ptr 1
		.amdhsa_user_sgpr_dispatch_id 0
		.amdhsa_user_sgpr_private_segment_size 0
		.amdhsa_wavefront_size32 1
		.amdhsa_uses_dynamic_stack 0
		.amdhsa_enable_private_segment 0
		.amdhsa_system_sgpr_workgroup_id_x 1
		.amdhsa_system_sgpr_workgroup_id_y 0
		.amdhsa_system_sgpr_workgroup_id_z 0
		.amdhsa_system_sgpr_workgroup_info 0
		.amdhsa_system_vgpr_workitem_id 0
		.amdhsa_next_free_vgpr 1
		.amdhsa_next_free_sgpr 1
		.amdhsa_reserve_vcc 0
		.amdhsa_float_round_mode_32 0
		.amdhsa_float_round_mode_16_64 0
		.amdhsa_float_denorm_mode_32 3
		.amdhsa_float_denorm_mode_16_64 3
		.amdhsa_dx10_clamp 1
		.amdhsa_ieee_mode 1
		.amdhsa_fp16_overflow 0
		.amdhsa_workgroup_processor_mode 1
		.amdhsa_memory_ordered 1
		.amdhsa_forward_progress 0
		.amdhsa_shared_vgpr_count 0
		.amdhsa_exception_fp_ieee_invalid_op 0
		.amdhsa_exception_fp_denorm_src 0
		.amdhsa_exception_fp_ieee_div_zero 0
		.amdhsa_exception_fp_ieee_overflow 0
		.amdhsa_exception_fp_ieee_underflow 0
		.amdhsa_exception_fp_ieee_inexact 0
		.amdhsa_exception_int_div_zero 0
	.end_amdhsa_kernel
	.section	.text._ZN7rocprim17ROCPRIM_400000_NS6detail17trampoline_kernelINS0_14default_configENS1_25partition_config_selectorILNS1_17partition_subalgoE5ElNS0_10empty_typeEbEEZZNS1_14partition_implILS5_5ELb0ES3_mN6hipcub16HIPCUB_304000_NS21CountingInputIteratorIllEEPS6_NSA_22TransformInputIteratorIb7NonZeroIaEPalEENS0_5tupleIJPlS6_EEENSJ_IJSD_SD_EEES6_SK_JS6_EEE10hipError_tPvRmT3_T4_T5_T6_T7_T9_mT8_P12ihipStream_tbDpT10_ENKUlT_T0_E_clISt17integral_constantIbLb0EES15_IbLb1EEEEDaS11_S12_EUlS11_E_NS1_11comp_targetILNS1_3genE3ELNS1_11target_archE908ELNS1_3gpuE7ELNS1_3repE0EEENS1_30default_config_static_selectorELNS0_4arch9wavefront6targetE0EEEvT1_,"axG",@progbits,_ZN7rocprim17ROCPRIM_400000_NS6detail17trampoline_kernelINS0_14default_configENS1_25partition_config_selectorILNS1_17partition_subalgoE5ElNS0_10empty_typeEbEEZZNS1_14partition_implILS5_5ELb0ES3_mN6hipcub16HIPCUB_304000_NS21CountingInputIteratorIllEEPS6_NSA_22TransformInputIteratorIb7NonZeroIaEPalEENS0_5tupleIJPlS6_EEENSJ_IJSD_SD_EEES6_SK_JS6_EEE10hipError_tPvRmT3_T4_T5_T6_T7_T9_mT8_P12ihipStream_tbDpT10_ENKUlT_T0_E_clISt17integral_constantIbLb0EES15_IbLb1EEEEDaS11_S12_EUlS11_E_NS1_11comp_targetILNS1_3genE3ELNS1_11target_archE908ELNS1_3gpuE7ELNS1_3repE0EEENS1_30default_config_static_selectorELNS0_4arch9wavefront6targetE0EEEvT1_,comdat
.Lfunc_end75:
	.size	_ZN7rocprim17ROCPRIM_400000_NS6detail17trampoline_kernelINS0_14default_configENS1_25partition_config_selectorILNS1_17partition_subalgoE5ElNS0_10empty_typeEbEEZZNS1_14partition_implILS5_5ELb0ES3_mN6hipcub16HIPCUB_304000_NS21CountingInputIteratorIllEEPS6_NSA_22TransformInputIteratorIb7NonZeroIaEPalEENS0_5tupleIJPlS6_EEENSJ_IJSD_SD_EEES6_SK_JS6_EEE10hipError_tPvRmT3_T4_T5_T6_T7_T9_mT8_P12ihipStream_tbDpT10_ENKUlT_T0_E_clISt17integral_constantIbLb0EES15_IbLb1EEEEDaS11_S12_EUlS11_E_NS1_11comp_targetILNS1_3genE3ELNS1_11target_archE908ELNS1_3gpuE7ELNS1_3repE0EEENS1_30default_config_static_selectorELNS0_4arch9wavefront6targetE0EEEvT1_, .Lfunc_end75-_ZN7rocprim17ROCPRIM_400000_NS6detail17trampoline_kernelINS0_14default_configENS1_25partition_config_selectorILNS1_17partition_subalgoE5ElNS0_10empty_typeEbEEZZNS1_14partition_implILS5_5ELb0ES3_mN6hipcub16HIPCUB_304000_NS21CountingInputIteratorIllEEPS6_NSA_22TransformInputIteratorIb7NonZeroIaEPalEENS0_5tupleIJPlS6_EEENSJ_IJSD_SD_EEES6_SK_JS6_EEE10hipError_tPvRmT3_T4_T5_T6_T7_T9_mT8_P12ihipStream_tbDpT10_ENKUlT_T0_E_clISt17integral_constantIbLb0EES15_IbLb1EEEEDaS11_S12_EUlS11_E_NS1_11comp_targetILNS1_3genE3ELNS1_11target_archE908ELNS1_3gpuE7ELNS1_3repE0EEENS1_30default_config_static_selectorELNS0_4arch9wavefront6targetE0EEEvT1_
                                        ; -- End function
	.section	.AMDGPU.csdata,"",@progbits
; Kernel info:
; codeLenInByte = 0
; NumSgprs: 0
; NumVgprs: 0
; ScratchSize: 0
; MemoryBound: 0
; FloatMode: 240
; IeeeMode: 1
; LDSByteSize: 0 bytes/workgroup (compile time only)
; SGPRBlocks: 0
; VGPRBlocks: 0
; NumSGPRsForWavesPerEU: 1
; NumVGPRsForWavesPerEU: 1
; Occupancy: 16
; WaveLimiterHint : 0
; COMPUTE_PGM_RSRC2:SCRATCH_EN: 0
; COMPUTE_PGM_RSRC2:USER_SGPR: 15
; COMPUTE_PGM_RSRC2:TRAP_HANDLER: 0
; COMPUTE_PGM_RSRC2:TGID_X_EN: 1
; COMPUTE_PGM_RSRC2:TGID_Y_EN: 0
; COMPUTE_PGM_RSRC2:TGID_Z_EN: 0
; COMPUTE_PGM_RSRC2:TIDIG_COMP_CNT: 0
	.section	.text._ZN7rocprim17ROCPRIM_400000_NS6detail17trampoline_kernelINS0_14default_configENS1_25partition_config_selectorILNS1_17partition_subalgoE5ElNS0_10empty_typeEbEEZZNS1_14partition_implILS5_5ELb0ES3_mN6hipcub16HIPCUB_304000_NS21CountingInputIteratorIllEEPS6_NSA_22TransformInputIteratorIb7NonZeroIaEPalEENS0_5tupleIJPlS6_EEENSJ_IJSD_SD_EEES6_SK_JS6_EEE10hipError_tPvRmT3_T4_T5_T6_T7_T9_mT8_P12ihipStream_tbDpT10_ENKUlT_T0_E_clISt17integral_constantIbLb0EES15_IbLb1EEEEDaS11_S12_EUlS11_E_NS1_11comp_targetILNS1_3genE2ELNS1_11target_archE906ELNS1_3gpuE6ELNS1_3repE0EEENS1_30default_config_static_selectorELNS0_4arch9wavefront6targetE0EEEvT1_,"axG",@progbits,_ZN7rocprim17ROCPRIM_400000_NS6detail17trampoline_kernelINS0_14default_configENS1_25partition_config_selectorILNS1_17partition_subalgoE5ElNS0_10empty_typeEbEEZZNS1_14partition_implILS5_5ELb0ES3_mN6hipcub16HIPCUB_304000_NS21CountingInputIteratorIllEEPS6_NSA_22TransformInputIteratorIb7NonZeroIaEPalEENS0_5tupleIJPlS6_EEENSJ_IJSD_SD_EEES6_SK_JS6_EEE10hipError_tPvRmT3_T4_T5_T6_T7_T9_mT8_P12ihipStream_tbDpT10_ENKUlT_T0_E_clISt17integral_constantIbLb0EES15_IbLb1EEEEDaS11_S12_EUlS11_E_NS1_11comp_targetILNS1_3genE2ELNS1_11target_archE906ELNS1_3gpuE6ELNS1_3repE0EEENS1_30default_config_static_selectorELNS0_4arch9wavefront6targetE0EEEvT1_,comdat
	.protected	_ZN7rocprim17ROCPRIM_400000_NS6detail17trampoline_kernelINS0_14default_configENS1_25partition_config_selectorILNS1_17partition_subalgoE5ElNS0_10empty_typeEbEEZZNS1_14partition_implILS5_5ELb0ES3_mN6hipcub16HIPCUB_304000_NS21CountingInputIteratorIllEEPS6_NSA_22TransformInputIteratorIb7NonZeroIaEPalEENS0_5tupleIJPlS6_EEENSJ_IJSD_SD_EEES6_SK_JS6_EEE10hipError_tPvRmT3_T4_T5_T6_T7_T9_mT8_P12ihipStream_tbDpT10_ENKUlT_T0_E_clISt17integral_constantIbLb0EES15_IbLb1EEEEDaS11_S12_EUlS11_E_NS1_11comp_targetILNS1_3genE2ELNS1_11target_archE906ELNS1_3gpuE6ELNS1_3repE0EEENS1_30default_config_static_selectorELNS0_4arch9wavefront6targetE0EEEvT1_ ; -- Begin function _ZN7rocprim17ROCPRIM_400000_NS6detail17trampoline_kernelINS0_14default_configENS1_25partition_config_selectorILNS1_17partition_subalgoE5ElNS0_10empty_typeEbEEZZNS1_14partition_implILS5_5ELb0ES3_mN6hipcub16HIPCUB_304000_NS21CountingInputIteratorIllEEPS6_NSA_22TransformInputIteratorIb7NonZeroIaEPalEENS0_5tupleIJPlS6_EEENSJ_IJSD_SD_EEES6_SK_JS6_EEE10hipError_tPvRmT3_T4_T5_T6_T7_T9_mT8_P12ihipStream_tbDpT10_ENKUlT_T0_E_clISt17integral_constantIbLb0EES15_IbLb1EEEEDaS11_S12_EUlS11_E_NS1_11comp_targetILNS1_3genE2ELNS1_11target_archE906ELNS1_3gpuE6ELNS1_3repE0EEENS1_30default_config_static_selectorELNS0_4arch9wavefront6targetE0EEEvT1_
	.globl	_ZN7rocprim17ROCPRIM_400000_NS6detail17trampoline_kernelINS0_14default_configENS1_25partition_config_selectorILNS1_17partition_subalgoE5ElNS0_10empty_typeEbEEZZNS1_14partition_implILS5_5ELb0ES3_mN6hipcub16HIPCUB_304000_NS21CountingInputIteratorIllEEPS6_NSA_22TransformInputIteratorIb7NonZeroIaEPalEENS0_5tupleIJPlS6_EEENSJ_IJSD_SD_EEES6_SK_JS6_EEE10hipError_tPvRmT3_T4_T5_T6_T7_T9_mT8_P12ihipStream_tbDpT10_ENKUlT_T0_E_clISt17integral_constantIbLb0EES15_IbLb1EEEEDaS11_S12_EUlS11_E_NS1_11comp_targetILNS1_3genE2ELNS1_11target_archE906ELNS1_3gpuE6ELNS1_3repE0EEENS1_30default_config_static_selectorELNS0_4arch9wavefront6targetE0EEEvT1_
	.p2align	8
	.type	_ZN7rocprim17ROCPRIM_400000_NS6detail17trampoline_kernelINS0_14default_configENS1_25partition_config_selectorILNS1_17partition_subalgoE5ElNS0_10empty_typeEbEEZZNS1_14partition_implILS5_5ELb0ES3_mN6hipcub16HIPCUB_304000_NS21CountingInputIteratorIllEEPS6_NSA_22TransformInputIteratorIb7NonZeroIaEPalEENS0_5tupleIJPlS6_EEENSJ_IJSD_SD_EEES6_SK_JS6_EEE10hipError_tPvRmT3_T4_T5_T6_T7_T9_mT8_P12ihipStream_tbDpT10_ENKUlT_T0_E_clISt17integral_constantIbLb0EES15_IbLb1EEEEDaS11_S12_EUlS11_E_NS1_11comp_targetILNS1_3genE2ELNS1_11target_archE906ELNS1_3gpuE6ELNS1_3repE0EEENS1_30default_config_static_selectorELNS0_4arch9wavefront6targetE0EEEvT1_,@function
_ZN7rocprim17ROCPRIM_400000_NS6detail17trampoline_kernelINS0_14default_configENS1_25partition_config_selectorILNS1_17partition_subalgoE5ElNS0_10empty_typeEbEEZZNS1_14partition_implILS5_5ELb0ES3_mN6hipcub16HIPCUB_304000_NS21CountingInputIteratorIllEEPS6_NSA_22TransformInputIteratorIb7NonZeroIaEPalEENS0_5tupleIJPlS6_EEENSJ_IJSD_SD_EEES6_SK_JS6_EEE10hipError_tPvRmT3_T4_T5_T6_T7_T9_mT8_P12ihipStream_tbDpT10_ENKUlT_T0_E_clISt17integral_constantIbLb0EES15_IbLb1EEEEDaS11_S12_EUlS11_E_NS1_11comp_targetILNS1_3genE2ELNS1_11target_archE906ELNS1_3gpuE6ELNS1_3repE0EEENS1_30default_config_static_selectorELNS0_4arch9wavefront6targetE0EEEvT1_: ; @_ZN7rocprim17ROCPRIM_400000_NS6detail17trampoline_kernelINS0_14default_configENS1_25partition_config_selectorILNS1_17partition_subalgoE5ElNS0_10empty_typeEbEEZZNS1_14partition_implILS5_5ELb0ES3_mN6hipcub16HIPCUB_304000_NS21CountingInputIteratorIllEEPS6_NSA_22TransformInputIteratorIb7NonZeroIaEPalEENS0_5tupleIJPlS6_EEENSJ_IJSD_SD_EEES6_SK_JS6_EEE10hipError_tPvRmT3_T4_T5_T6_T7_T9_mT8_P12ihipStream_tbDpT10_ENKUlT_T0_E_clISt17integral_constantIbLb0EES15_IbLb1EEEEDaS11_S12_EUlS11_E_NS1_11comp_targetILNS1_3genE2ELNS1_11target_archE906ELNS1_3gpuE6ELNS1_3repE0EEENS1_30default_config_static_selectorELNS0_4arch9wavefront6targetE0EEEvT1_
; %bb.0:
	.section	.rodata,"a",@progbits
	.p2align	6, 0x0
	.amdhsa_kernel _ZN7rocprim17ROCPRIM_400000_NS6detail17trampoline_kernelINS0_14default_configENS1_25partition_config_selectorILNS1_17partition_subalgoE5ElNS0_10empty_typeEbEEZZNS1_14partition_implILS5_5ELb0ES3_mN6hipcub16HIPCUB_304000_NS21CountingInputIteratorIllEEPS6_NSA_22TransformInputIteratorIb7NonZeroIaEPalEENS0_5tupleIJPlS6_EEENSJ_IJSD_SD_EEES6_SK_JS6_EEE10hipError_tPvRmT3_T4_T5_T6_T7_T9_mT8_P12ihipStream_tbDpT10_ENKUlT_T0_E_clISt17integral_constantIbLb0EES15_IbLb1EEEEDaS11_S12_EUlS11_E_NS1_11comp_targetILNS1_3genE2ELNS1_11target_archE906ELNS1_3gpuE6ELNS1_3repE0EEENS1_30default_config_static_selectorELNS0_4arch9wavefront6targetE0EEEvT1_
		.amdhsa_group_segment_fixed_size 0
		.amdhsa_private_segment_fixed_size 0
		.amdhsa_kernarg_size 136
		.amdhsa_user_sgpr_count 15
		.amdhsa_user_sgpr_dispatch_ptr 0
		.amdhsa_user_sgpr_queue_ptr 0
		.amdhsa_user_sgpr_kernarg_segment_ptr 1
		.amdhsa_user_sgpr_dispatch_id 0
		.amdhsa_user_sgpr_private_segment_size 0
		.amdhsa_wavefront_size32 1
		.amdhsa_uses_dynamic_stack 0
		.amdhsa_enable_private_segment 0
		.amdhsa_system_sgpr_workgroup_id_x 1
		.amdhsa_system_sgpr_workgroup_id_y 0
		.amdhsa_system_sgpr_workgroup_id_z 0
		.amdhsa_system_sgpr_workgroup_info 0
		.amdhsa_system_vgpr_workitem_id 0
		.amdhsa_next_free_vgpr 1
		.amdhsa_next_free_sgpr 1
		.amdhsa_reserve_vcc 0
		.amdhsa_float_round_mode_32 0
		.amdhsa_float_round_mode_16_64 0
		.amdhsa_float_denorm_mode_32 3
		.amdhsa_float_denorm_mode_16_64 3
		.amdhsa_dx10_clamp 1
		.amdhsa_ieee_mode 1
		.amdhsa_fp16_overflow 0
		.amdhsa_workgroup_processor_mode 1
		.amdhsa_memory_ordered 1
		.amdhsa_forward_progress 0
		.amdhsa_shared_vgpr_count 0
		.amdhsa_exception_fp_ieee_invalid_op 0
		.amdhsa_exception_fp_denorm_src 0
		.amdhsa_exception_fp_ieee_div_zero 0
		.amdhsa_exception_fp_ieee_overflow 0
		.amdhsa_exception_fp_ieee_underflow 0
		.amdhsa_exception_fp_ieee_inexact 0
		.amdhsa_exception_int_div_zero 0
	.end_amdhsa_kernel
	.section	.text._ZN7rocprim17ROCPRIM_400000_NS6detail17trampoline_kernelINS0_14default_configENS1_25partition_config_selectorILNS1_17partition_subalgoE5ElNS0_10empty_typeEbEEZZNS1_14partition_implILS5_5ELb0ES3_mN6hipcub16HIPCUB_304000_NS21CountingInputIteratorIllEEPS6_NSA_22TransformInputIteratorIb7NonZeroIaEPalEENS0_5tupleIJPlS6_EEENSJ_IJSD_SD_EEES6_SK_JS6_EEE10hipError_tPvRmT3_T4_T5_T6_T7_T9_mT8_P12ihipStream_tbDpT10_ENKUlT_T0_E_clISt17integral_constantIbLb0EES15_IbLb1EEEEDaS11_S12_EUlS11_E_NS1_11comp_targetILNS1_3genE2ELNS1_11target_archE906ELNS1_3gpuE6ELNS1_3repE0EEENS1_30default_config_static_selectorELNS0_4arch9wavefront6targetE0EEEvT1_,"axG",@progbits,_ZN7rocprim17ROCPRIM_400000_NS6detail17trampoline_kernelINS0_14default_configENS1_25partition_config_selectorILNS1_17partition_subalgoE5ElNS0_10empty_typeEbEEZZNS1_14partition_implILS5_5ELb0ES3_mN6hipcub16HIPCUB_304000_NS21CountingInputIteratorIllEEPS6_NSA_22TransformInputIteratorIb7NonZeroIaEPalEENS0_5tupleIJPlS6_EEENSJ_IJSD_SD_EEES6_SK_JS6_EEE10hipError_tPvRmT3_T4_T5_T6_T7_T9_mT8_P12ihipStream_tbDpT10_ENKUlT_T0_E_clISt17integral_constantIbLb0EES15_IbLb1EEEEDaS11_S12_EUlS11_E_NS1_11comp_targetILNS1_3genE2ELNS1_11target_archE906ELNS1_3gpuE6ELNS1_3repE0EEENS1_30default_config_static_selectorELNS0_4arch9wavefront6targetE0EEEvT1_,comdat
.Lfunc_end76:
	.size	_ZN7rocprim17ROCPRIM_400000_NS6detail17trampoline_kernelINS0_14default_configENS1_25partition_config_selectorILNS1_17partition_subalgoE5ElNS0_10empty_typeEbEEZZNS1_14partition_implILS5_5ELb0ES3_mN6hipcub16HIPCUB_304000_NS21CountingInputIteratorIllEEPS6_NSA_22TransformInputIteratorIb7NonZeroIaEPalEENS0_5tupleIJPlS6_EEENSJ_IJSD_SD_EEES6_SK_JS6_EEE10hipError_tPvRmT3_T4_T5_T6_T7_T9_mT8_P12ihipStream_tbDpT10_ENKUlT_T0_E_clISt17integral_constantIbLb0EES15_IbLb1EEEEDaS11_S12_EUlS11_E_NS1_11comp_targetILNS1_3genE2ELNS1_11target_archE906ELNS1_3gpuE6ELNS1_3repE0EEENS1_30default_config_static_selectorELNS0_4arch9wavefront6targetE0EEEvT1_, .Lfunc_end76-_ZN7rocprim17ROCPRIM_400000_NS6detail17trampoline_kernelINS0_14default_configENS1_25partition_config_selectorILNS1_17partition_subalgoE5ElNS0_10empty_typeEbEEZZNS1_14partition_implILS5_5ELb0ES3_mN6hipcub16HIPCUB_304000_NS21CountingInputIteratorIllEEPS6_NSA_22TransformInputIteratorIb7NonZeroIaEPalEENS0_5tupleIJPlS6_EEENSJ_IJSD_SD_EEES6_SK_JS6_EEE10hipError_tPvRmT3_T4_T5_T6_T7_T9_mT8_P12ihipStream_tbDpT10_ENKUlT_T0_E_clISt17integral_constantIbLb0EES15_IbLb1EEEEDaS11_S12_EUlS11_E_NS1_11comp_targetILNS1_3genE2ELNS1_11target_archE906ELNS1_3gpuE6ELNS1_3repE0EEENS1_30default_config_static_selectorELNS0_4arch9wavefront6targetE0EEEvT1_
                                        ; -- End function
	.section	.AMDGPU.csdata,"",@progbits
; Kernel info:
; codeLenInByte = 0
; NumSgprs: 0
; NumVgprs: 0
; ScratchSize: 0
; MemoryBound: 0
; FloatMode: 240
; IeeeMode: 1
; LDSByteSize: 0 bytes/workgroup (compile time only)
; SGPRBlocks: 0
; VGPRBlocks: 0
; NumSGPRsForWavesPerEU: 1
; NumVGPRsForWavesPerEU: 1
; Occupancy: 16
; WaveLimiterHint : 0
; COMPUTE_PGM_RSRC2:SCRATCH_EN: 0
; COMPUTE_PGM_RSRC2:USER_SGPR: 15
; COMPUTE_PGM_RSRC2:TRAP_HANDLER: 0
; COMPUTE_PGM_RSRC2:TGID_X_EN: 1
; COMPUTE_PGM_RSRC2:TGID_Y_EN: 0
; COMPUTE_PGM_RSRC2:TGID_Z_EN: 0
; COMPUTE_PGM_RSRC2:TIDIG_COMP_CNT: 0
	.section	.text._ZN7rocprim17ROCPRIM_400000_NS6detail17trampoline_kernelINS0_14default_configENS1_25partition_config_selectorILNS1_17partition_subalgoE5ElNS0_10empty_typeEbEEZZNS1_14partition_implILS5_5ELb0ES3_mN6hipcub16HIPCUB_304000_NS21CountingInputIteratorIllEEPS6_NSA_22TransformInputIteratorIb7NonZeroIaEPalEENS0_5tupleIJPlS6_EEENSJ_IJSD_SD_EEES6_SK_JS6_EEE10hipError_tPvRmT3_T4_T5_T6_T7_T9_mT8_P12ihipStream_tbDpT10_ENKUlT_T0_E_clISt17integral_constantIbLb0EES15_IbLb1EEEEDaS11_S12_EUlS11_E_NS1_11comp_targetILNS1_3genE10ELNS1_11target_archE1200ELNS1_3gpuE4ELNS1_3repE0EEENS1_30default_config_static_selectorELNS0_4arch9wavefront6targetE0EEEvT1_,"axG",@progbits,_ZN7rocprim17ROCPRIM_400000_NS6detail17trampoline_kernelINS0_14default_configENS1_25partition_config_selectorILNS1_17partition_subalgoE5ElNS0_10empty_typeEbEEZZNS1_14partition_implILS5_5ELb0ES3_mN6hipcub16HIPCUB_304000_NS21CountingInputIteratorIllEEPS6_NSA_22TransformInputIteratorIb7NonZeroIaEPalEENS0_5tupleIJPlS6_EEENSJ_IJSD_SD_EEES6_SK_JS6_EEE10hipError_tPvRmT3_T4_T5_T6_T7_T9_mT8_P12ihipStream_tbDpT10_ENKUlT_T0_E_clISt17integral_constantIbLb0EES15_IbLb1EEEEDaS11_S12_EUlS11_E_NS1_11comp_targetILNS1_3genE10ELNS1_11target_archE1200ELNS1_3gpuE4ELNS1_3repE0EEENS1_30default_config_static_selectorELNS0_4arch9wavefront6targetE0EEEvT1_,comdat
	.protected	_ZN7rocprim17ROCPRIM_400000_NS6detail17trampoline_kernelINS0_14default_configENS1_25partition_config_selectorILNS1_17partition_subalgoE5ElNS0_10empty_typeEbEEZZNS1_14partition_implILS5_5ELb0ES3_mN6hipcub16HIPCUB_304000_NS21CountingInputIteratorIllEEPS6_NSA_22TransformInputIteratorIb7NonZeroIaEPalEENS0_5tupleIJPlS6_EEENSJ_IJSD_SD_EEES6_SK_JS6_EEE10hipError_tPvRmT3_T4_T5_T6_T7_T9_mT8_P12ihipStream_tbDpT10_ENKUlT_T0_E_clISt17integral_constantIbLb0EES15_IbLb1EEEEDaS11_S12_EUlS11_E_NS1_11comp_targetILNS1_3genE10ELNS1_11target_archE1200ELNS1_3gpuE4ELNS1_3repE0EEENS1_30default_config_static_selectorELNS0_4arch9wavefront6targetE0EEEvT1_ ; -- Begin function _ZN7rocprim17ROCPRIM_400000_NS6detail17trampoline_kernelINS0_14default_configENS1_25partition_config_selectorILNS1_17partition_subalgoE5ElNS0_10empty_typeEbEEZZNS1_14partition_implILS5_5ELb0ES3_mN6hipcub16HIPCUB_304000_NS21CountingInputIteratorIllEEPS6_NSA_22TransformInputIteratorIb7NonZeroIaEPalEENS0_5tupleIJPlS6_EEENSJ_IJSD_SD_EEES6_SK_JS6_EEE10hipError_tPvRmT3_T4_T5_T6_T7_T9_mT8_P12ihipStream_tbDpT10_ENKUlT_T0_E_clISt17integral_constantIbLb0EES15_IbLb1EEEEDaS11_S12_EUlS11_E_NS1_11comp_targetILNS1_3genE10ELNS1_11target_archE1200ELNS1_3gpuE4ELNS1_3repE0EEENS1_30default_config_static_selectorELNS0_4arch9wavefront6targetE0EEEvT1_
	.globl	_ZN7rocprim17ROCPRIM_400000_NS6detail17trampoline_kernelINS0_14default_configENS1_25partition_config_selectorILNS1_17partition_subalgoE5ElNS0_10empty_typeEbEEZZNS1_14partition_implILS5_5ELb0ES3_mN6hipcub16HIPCUB_304000_NS21CountingInputIteratorIllEEPS6_NSA_22TransformInputIteratorIb7NonZeroIaEPalEENS0_5tupleIJPlS6_EEENSJ_IJSD_SD_EEES6_SK_JS6_EEE10hipError_tPvRmT3_T4_T5_T6_T7_T9_mT8_P12ihipStream_tbDpT10_ENKUlT_T0_E_clISt17integral_constantIbLb0EES15_IbLb1EEEEDaS11_S12_EUlS11_E_NS1_11comp_targetILNS1_3genE10ELNS1_11target_archE1200ELNS1_3gpuE4ELNS1_3repE0EEENS1_30default_config_static_selectorELNS0_4arch9wavefront6targetE0EEEvT1_
	.p2align	8
	.type	_ZN7rocprim17ROCPRIM_400000_NS6detail17trampoline_kernelINS0_14default_configENS1_25partition_config_selectorILNS1_17partition_subalgoE5ElNS0_10empty_typeEbEEZZNS1_14partition_implILS5_5ELb0ES3_mN6hipcub16HIPCUB_304000_NS21CountingInputIteratorIllEEPS6_NSA_22TransformInputIteratorIb7NonZeroIaEPalEENS0_5tupleIJPlS6_EEENSJ_IJSD_SD_EEES6_SK_JS6_EEE10hipError_tPvRmT3_T4_T5_T6_T7_T9_mT8_P12ihipStream_tbDpT10_ENKUlT_T0_E_clISt17integral_constantIbLb0EES15_IbLb1EEEEDaS11_S12_EUlS11_E_NS1_11comp_targetILNS1_3genE10ELNS1_11target_archE1200ELNS1_3gpuE4ELNS1_3repE0EEENS1_30default_config_static_selectorELNS0_4arch9wavefront6targetE0EEEvT1_,@function
_ZN7rocprim17ROCPRIM_400000_NS6detail17trampoline_kernelINS0_14default_configENS1_25partition_config_selectorILNS1_17partition_subalgoE5ElNS0_10empty_typeEbEEZZNS1_14partition_implILS5_5ELb0ES3_mN6hipcub16HIPCUB_304000_NS21CountingInputIteratorIllEEPS6_NSA_22TransformInputIteratorIb7NonZeroIaEPalEENS0_5tupleIJPlS6_EEENSJ_IJSD_SD_EEES6_SK_JS6_EEE10hipError_tPvRmT3_T4_T5_T6_T7_T9_mT8_P12ihipStream_tbDpT10_ENKUlT_T0_E_clISt17integral_constantIbLb0EES15_IbLb1EEEEDaS11_S12_EUlS11_E_NS1_11comp_targetILNS1_3genE10ELNS1_11target_archE1200ELNS1_3gpuE4ELNS1_3repE0EEENS1_30default_config_static_selectorELNS0_4arch9wavefront6targetE0EEEvT1_: ; @_ZN7rocprim17ROCPRIM_400000_NS6detail17trampoline_kernelINS0_14default_configENS1_25partition_config_selectorILNS1_17partition_subalgoE5ElNS0_10empty_typeEbEEZZNS1_14partition_implILS5_5ELb0ES3_mN6hipcub16HIPCUB_304000_NS21CountingInputIteratorIllEEPS6_NSA_22TransformInputIteratorIb7NonZeroIaEPalEENS0_5tupleIJPlS6_EEENSJ_IJSD_SD_EEES6_SK_JS6_EEE10hipError_tPvRmT3_T4_T5_T6_T7_T9_mT8_P12ihipStream_tbDpT10_ENKUlT_T0_E_clISt17integral_constantIbLb0EES15_IbLb1EEEEDaS11_S12_EUlS11_E_NS1_11comp_targetILNS1_3genE10ELNS1_11target_archE1200ELNS1_3gpuE4ELNS1_3repE0EEENS1_30default_config_static_selectorELNS0_4arch9wavefront6targetE0EEEvT1_
; %bb.0:
	.section	.rodata,"a",@progbits
	.p2align	6, 0x0
	.amdhsa_kernel _ZN7rocprim17ROCPRIM_400000_NS6detail17trampoline_kernelINS0_14default_configENS1_25partition_config_selectorILNS1_17partition_subalgoE5ElNS0_10empty_typeEbEEZZNS1_14partition_implILS5_5ELb0ES3_mN6hipcub16HIPCUB_304000_NS21CountingInputIteratorIllEEPS6_NSA_22TransformInputIteratorIb7NonZeroIaEPalEENS0_5tupleIJPlS6_EEENSJ_IJSD_SD_EEES6_SK_JS6_EEE10hipError_tPvRmT3_T4_T5_T6_T7_T9_mT8_P12ihipStream_tbDpT10_ENKUlT_T0_E_clISt17integral_constantIbLb0EES15_IbLb1EEEEDaS11_S12_EUlS11_E_NS1_11comp_targetILNS1_3genE10ELNS1_11target_archE1200ELNS1_3gpuE4ELNS1_3repE0EEENS1_30default_config_static_selectorELNS0_4arch9wavefront6targetE0EEEvT1_
		.amdhsa_group_segment_fixed_size 0
		.amdhsa_private_segment_fixed_size 0
		.amdhsa_kernarg_size 136
		.amdhsa_user_sgpr_count 15
		.amdhsa_user_sgpr_dispatch_ptr 0
		.amdhsa_user_sgpr_queue_ptr 0
		.amdhsa_user_sgpr_kernarg_segment_ptr 1
		.amdhsa_user_sgpr_dispatch_id 0
		.amdhsa_user_sgpr_private_segment_size 0
		.amdhsa_wavefront_size32 1
		.amdhsa_uses_dynamic_stack 0
		.amdhsa_enable_private_segment 0
		.amdhsa_system_sgpr_workgroup_id_x 1
		.amdhsa_system_sgpr_workgroup_id_y 0
		.amdhsa_system_sgpr_workgroup_id_z 0
		.amdhsa_system_sgpr_workgroup_info 0
		.amdhsa_system_vgpr_workitem_id 0
		.amdhsa_next_free_vgpr 1
		.amdhsa_next_free_sgpr 1
		.amdhsa_reserve_vcc 0
		.amdhsa_float_round_mode_32 0
		.amdhsa_float_round_mode_16_64 0
		.amdhsa_float_denorm_mode_32 3
		.amdhsa_float_denorm_mode_16_64 3
		.amdhsa_dx10_clamp 1
		.amdhsa_ieee_mode 1
		.amdhsa_fp16_overflow 0
		.amdhsa_workgroup_processor_mode 1
		.amdhsa_memory_ordered 1
		.amdhsa_forward_progress 0
		.amdhsa_shared_vgpr_count 0
		.amdhsa_exception_fp_ieee_invalid_op 0
		.amdhsa_exception_fp_denorm_src 0
		.amdhsa_exception_fp_ieee_div_zero 0
		.amdhsa_exception_fp_ieee_overflow 0
		.amdhsa_exception_fp_ieee_underflow 0
		.amdhsa_exception_fp_ieee_inexact 0
		.amdhsa_exception_int_div_zero 0
	.end_amdhsa_kernel
	.section	.text._ZN7rocprim17ROCPRIM_400000_NS6detail17trampoline_kernelINS0_14default_configENS1_25partition_config_selectorILNS1_17partition_subalgoE5ElNS0_10empty_typeEbEEZZNS1_14partition_implILS5_5ELb0ES3_mN6hipcub16HIPCUB_304000_NS21CountingInputIteratorIllEEPS6_NSA_22TransformInputIteratorIb7NonZeroIaEPalEENS0_5tupleIJPlS6_EEENSJ_IJSD_SD_EEES6_SK_JS6_EEE10hipError_tPvRmT3_T4_T5_T6_T7_T9_mT8_P12ihipStream_tbDpT10_ENKUlT_T0_E_clISt17integral_constantIbLb0EES15_IbLb1EEEEDaS11_S12_EUlS11_E_NS1_11comp_targetILNS1_3genE10ELNS1_11target_archE1200ELNS1_3gpuE4ELNS1_3repE0EEENS1_30default_config_static_selectorELNS0_4arch9wavefront6targetE0EEEvT1_,"axG",@progbits,_ZN7rocprim17ROCPRIM_400000_NS6detail17trampoline_kernelINS0_14default_configENS1_25partition_config_selectorILNS1_17partition_subalgoE5ElNS0_10empty_typeEbEEZZNS1_14partition_implILS5_5ELb0ES3_mN6hipcub16HIPCUB_304000_NS21CountingInputIteratorIllEEPS6_NSA_22TransformInputIteratorIb7NonZeroIaEPalEENS0_5tupleIJPlS6_EEENSJ_IJSD_SD_EEES6_SK_JS6_EEE10hipError_tPvRmT3_T4_T5_T6_T7_T9_mT8_P12ihipStream_tbDpT10_ENKUlT_T0_E_clISt17integral_constantIbLb0EES15_IbLb1EEEEDaS11_S12_EUlS11_E_NS1_11comp_targetILNS1_3genE10ELNS1_11target_archE1200ELNS1_3gpuE4ELNS1_3repE0EEENS1_30default_config_static_selectorELNS0_4arch9wavefront6targetE0EEEvT1_,comdat
.Lfunc_end77:
	.size	_ZN7rocprim17ROCPRIM_400000_NS6detail17trampoline_kernelINS0_14default_configENS1_25partition_config_selectorILNS1_17partition_subalgoE5ElNS0_10empty_typeEbEEZZNS1_14partition_implILS5_5ELb0ES3_mN6hipcub16HIPCUB_304000_NS21CountingInputIteratorIllEEPS6_NSA_22TransformInputIteratorIb7NonZeroIaEPalEENS0_5tupleIJPlS6_EEENSJ_IJSD_SD_EEES6_SK_JS6_EEE10hipError_tPvRmT3_T4_T5_T6_T7_T9_mT8_P12ihipStream_tbDpT10_ENKUlT_T0_E_clISt17integral_constantIbLb0EES15_IbLb1EEEEDaS11_S12_EUlS11_E_NS1_11comp_targetILNS1_3genE10ELNS1_11target_archE1200ELNS1_3gpuE4ELNS1_3repE0EEENS1_30default_config_static_selectorELNS0_4arch9wavefront6targetE0EEEvT1_, .Lfunc_end77-_ZN7rocprim17ROCPRIM_400000_NS6detail17trampoline_kernelINS0_14default_configENS1_25partition_config_selectorILNS1_17partition_subalgoE5ElNS0_10empty_typeEbEEZZNS1_14partition_implILS5_5ELb0ES3_mN6hipcub16HIPCUB_304000_NS21CountingInputIteratorIllEEPS6_NSA_22TransformInputIteratorIb7NonZeroIaEPalEENS0_5tupleIJPlS6_EEENSJ_IJSD_SD_EEES6_SK_JS6_EEE10hipError_tPvRmT3_T4_T5_T6_T7_T9_mT8_P12ihipStream_tbDpT10_ENKUlT_T0_E_clISt17integral_constantIbLb0EES15_IbLb1EEEEDaS11_S12_EUlS11_E_NS1_11comp_targetILNS1_3genE10ELNS1_11target_archE1200ELNS1_3gpuE4ELNS1_3repE0EEENS1_30default_config_static_selectorELNS0_4arch9wavefront6targetE0EEEvT1_
                                        ; -- End function
	.section	.AMDGPU.csdata,"",@progbits
; Kernel info:
; codeLenInByte = 0
; NumSgprs: 0
; NumVgprs: 0
; ScratchSize: 0
; MemoryBound: 0
; FloatMode: 240
; IeeeMode: 1
; LDSByteSize: 0 bytes/workgroup (compile time only)
; SGPRBlocks: 0
; VGPRBlocks: 0
; NumSGPRsForWavesPerEU: 1
; NumVGPRsForWavesPerEU: 1
; Occupancy: 16
; WaveLimiterHint : 0
; COMPUTE_PGM_RSRC2:SCRATCH_EN: 0
; COMPUTE_PGM_RSRC2:USER_SGPR: 15
; COMPUTE_PGM_RSRC2:TRAP_HANDLER: 0
; COMPUTE_PGM_RSRC2:TGID_X_EN: 1
; COMPUTE_PGM_RSRC2:TGID_Y_EN: 0
; COMPUTE_PGM_RSRC2:TGID_Z_EN: 0
; COMPUTE_PGM_RSRC2:TIDIG_COMP_CNT: 0
	.section	.text._ZN7rocprim17ROCPRIM_400000_NS6detail17trampoline_kernelINS0_14default_configENS1_25partition_config_selectorILNS1_17partition_subalgoE5ElNS0_10empty_typeEbEEZZNS1_14partition_implILS5_5ELb0ES3_mN6hipcub16HIPCUB_304000_NS21CountingInputIteratorIllEEPS6_NSA_22TransformInputIteratorIb7NonZeroIaEPalEENS0_5tupleIJPlS6_EEENSJ_IJSD_SD_EEES6_SK_JS6_EEE10hipError_tPvRmT3_T4_T5_T6_T7_T9_mT8_P12ihipStream_tbDpT10_ENKUlT_T0_E_clISt17integral_constantIbLb0EES15_IbLb1EEEEDaS11_S12_EUlS11_E_NS1_11comp_targetILNS1_3genE9ELNS1_11target_archE1100ELNS1_3gpuE3ELNS1_3repE0EEENS1_30default_config_static_selectorELNS0_4arch9wavefront6targetE0EEEvT1_,"axG",@progbits,_ZN7rocprim17ROCPRIM_400000_NS6detail17trampoline_kernelINS0_14default_configENS1_25partition_config_selectorILNS1_17partition_subalgoE5ElNS0_10empty_typeEbEEZZNS1_14partition_implILS5_5ELb0ES3_mN6hipcub16HIPCUB_304000_NS21CountingInputIteratorIllEEPS6_NSA_22TransformInputIteratorIb7NonZeroIaEPalEENS0_5tupleIJPlS6_EEENSJ_IJSD_SD_EEES6_SK_JS6_EEE10hipError_tPvRmT3_T4_T5_T6_T7_T9_mT8_P12ihipStream_tbDpT10_ENKUlT_T0_E_clISt17integral_constantIbLb0EES15_IbLb1EEEEDaS11_S12_EUlS11_E_NS1_11comp_targetILNS1_3genE9ELNS1_11target_archE1100ELNS1_3gpuE3ELNS1_3repE0EEENS1_30default_config_static_selectorELNS0_4arch9wavefront6targetE0EEEvT1_,comdat
	.protected	_ZN7rocprim17ROCPRIM_400000_NS6detail17trampoline_kernelINS0_14default_configENS1_25partition_config_selectorILNS1_17partition_subalgoE5ElNS0_10empty_typeEbEEZZNS1_14partition_implILS5_5ELb0ES3_mN6hipcub16HIPCUB_304000_NS21CountingInputIteratorIllEEPS6_NSA_22TransformInputIteratorIb7NonZeroIaEPalEENS0_5tupleIJPlS6_EEENSJ_IJSD_SD_EEES6_SK_JS6_EEE10hipError_tPvRmT3_T4_T5_T6_T7_T9_mT8_P12ihipStream_tbDpT10_ENKUlT_T0_E_clISt17integral_constantIbLb0EES15_IbLb1EEEEDaS11_S12_EUlS11_E_NS1_11comp_targetILNS1_3genE9ELNS1_11target_archE1100ELNS1_3gpuE3ELNS1_3repE0EEENS1_30default_config_static_selectorELNS0_4arch9wavefront6targetE0EEEvT1_ ; -- Begin function _ZN7rocprim17ROCPRIM_400000_NS6detail17trampoline_kernelINS0_14default_configENS1_25partition_config_selectorILNS1_17partition_subalgoE5ElNS0_10empty_typeEbEEZZNS1_14partition_implILS5_5ELb0ES3_mN6hipcub16HIPCUB_304000_NS21CountingInputIteratorIllEEPS6_NSA_22TransformInputIteratorIb7NonZeroIaEPalEENS0_5tupleIJPlS6_EEENSJ_IJSD_SD_EEES6_SK_JS6_EEE10hipError_tPvRmT3_T4_T5_T6_T7_T9_mT8_P12ihipStream_tbDpT10_ENKUlT_T0_E_clISt17integral_constantIbLb0EES15_IbLb1EEEEDaS11_S12_EUlS11_E_NS1_11comp_targetILNS1_3genE9ELNS1_11target_archE1100ELNS1_3gpuE3ELNS1_3repE0EEENS1_30default_config_static_selectorELNS0_4arch9wavefront6targetE0EEEvT1_
	.globl	_ZN7rocprim17ROCPRIM_400000_NS6detail17trampoline_kernelINS0_14default_configENS1_25partition_config_selectorILNS1_17partition_subalgoE5ElNS0_10empty_typeEbEEZZNS1_14partition_implILS5_5ELb0ES3_mN6hipcub16HIPCUB_304000_NS21CountingInputIteratorIllEEPS6_NSA_22TransformInputIteratorIb7NonZeroIaEPalEENS0_5tupleIJPlS6_EEENSJ_IJSD_SD_EEES6_SK_JS6_EEE10hipError_tPvRmT3_T4_T5_T6_T7_T9_mT8_P12ihipStream_tbDpT10_ENKUlT_T0_E_clISt17integral_constantIbLb0EES15_IbLb1EEEEDaS11_S12_EUlS11_E_NS1_11comp_targetILNS1_3genE9ELNS1_11target_archE1100ELNS1_3gpuE3ELNS1_3repE0EEENS1_30default_config_static_selectorELNS0_4arch9wavefront6targetE0EEEvT1_
	.p2align	8
	.type	_ZN7rocprim17ROCPRIM_400000_NS6detail17trampoline_kernelINS0_14default_configENS1_25partition_config_selectorILNS1_17partition_subalgoE5ElNS0_10empty_typeEbEEZZNS1_14partition_implILS5_5ELb0ES3_mN6hipcub16HIPCUB_304000_NS21CountingInputIteratorIllEEPS6_NSA_22TransformInputIteratorIb7NonZeroIaEPalEENS0_5tupleIJPlS6_EEENSJ_IJSD_SD_EEES6_SK_JS6_EEE10hipError_tPvRmT3_T4_T5_T6_T7_T9_mT8_P12ihipStream_tbDpT10_ENKUlT_T0_E_clISt17integral_constantIbLb0EES15_IbLb1EEEEDaS11_S12_EUlS11_E_NS1_11comp_targetILNS1_3genE9ELNS1_11target_archE1100ELNS1_3gpuE3ELNS1_3repE0EEENS1_30default_config_static_selectorELNS0_4arch9wavefront6targetE0EEEvT1_,@function
_ZN7rocprim17ROCPRIM_400000_NS6detail17trampoline_kernelINS0_14default_configENS1_25partition_config_selectorILNS1_17partition_subalgoE5ElNS0_10empty_typeEbEEZZNS1_14partition_implILS5_5ELb0ES3_mN6hipcub16HIPCUB_304000_NS21CountingInputIteratorIllEEPS6_NSA_22TransformInputIteratorIb7NonZeroIaEPalEENS0_5tupleIJPlS6_EEENSJ_IJSD_SD_EEES6_SK_JS6_EEE10hipError_tPvRmT3_T4_T5_T6_T7_T9_mT8_P12ihipStream_tbDpT10_ENKUlT_T0_E_clISt17integral_constantIbLb0EES15_IbLb1EEEEDaS11_S12_EUlS11_E_NS1_11comp_targetILNS1_3genE9ELNS1_11target_archE1100ELNS1_3gpuE3ELNS1_3repE0EEENS1_30default_config_static_selectorELNS0_4arch9wavefront6targetE0EEEvT1_: ; @_ZN7rocprim17ROCPRIM_400000_NS6detail17trampoline_kernelINS0_14default_configENS1_25partition_config_selectorILNS1_17partition_subalgoE5ElNS0_10empty_typeEbEEZZNS1_14partition_implILS5_5ELb0ES3_mN6hipcub16HIPCUB_304000_NS21CountingInputIteratorIllEEPS6_NSA_22TransformInputIteratorIb7NonZeroIaEPalEENS0_5tupleIJPlS6_EEENSJ_IJSD_SD_EEES6_SK_JS6_EEE10hipError_tPvRmT3_T4_T5_T6_T7_T9_mT8_P12ihipStream_tbDpT10_ENKUlT_T0_E_clISt17integral_constantIbLb0EES15_IbLb1EEEEDaS11_S12_EUlS11_E_NS1_11comp_targetILNS1_3genE9ELNS1_11target_archE1100ELNS1_3gpuE3ELNS1_3repE0EEENS1_30default_config_static_selectorELNS0_4arch9wavefront6targetE0EEEvT1_
; %bb.0:
	s_clause 0x4
	s_load_b64 s[18:19], s[0:1], 0x20
	s_load_b64 s[12:13], s[0:1], 0x30
	;; [unrolled: 1-line block ×3, first 2 shown]
	s_load_b128 s[4:7], s[0:1], 0x48
	s_load_b64 s[14:15], s[0:1], 0x68
	v_cmp_eq_u32_e64 s2, 0, v0
	s_delay_alu instid0(VALU_DEP_1)
	s_and_saveexec_b32 s3, s2
	s_cbranch_execz .LBB78_4
; %bb.1:
	s_mov_b32 s9, exec_lo
	s_mov_b32 s8, exec_lo
	v_mbcnt_lo_u32_b32 v1, s9, 0
                                        ; implicit-def: $vgpr2
	s_delay_alu instid0(VALU_DEP_1)
	v_cmpx_eq_u32_e32 0, v1
	s_cbranch_execz .LBB78_3
; %bb.2:
	s_load_b64 s[10:11], s[0:1], 0x78
	s_bcnt1_i32_b32 s9, s9
	s_delay_alu instid0(SALU_CYCLE_1)
	v_dual_mov_b32 v2, 0 :: v_dual_mov_b32 v3, s9
	s_waitcnt lgkmcnt(0)
	global_atomic_add_u32 v2, v2, v3, s[10:11] glc
.LBB78_3:
	s_or_b32 exec_lo, exec_lo, s8
	s_waitcnt vmcnt(0)
	v_readfirstlane_b32 s8, v2
	s_delay_alu instid0(VALU_DEP_1)
	v_dual_mov_b32 v2, 0 :: v_dual_add_nc_u32 v1, s8, v1
	ds_store_b32 v2, v1
.LBB78_4:
	s_or_b32 exec_lo, exec_lo, s3
	v_mov_b32_e32 v1, 0
	s_clause 0x1
	s_load_b128 s[8:11], s[0:1], 0x8
	s_load_b32 s0, s[0:1], 0x70
	s_waitcnt lgkmcnt(0)
	s_barrier
	buffer_gl0_inv
	ds_load_b32 v3, v1
	s_waitcnt lgkmcnt(0)
	s_barrier
	buffer_gl0_inv
	global_load_b64 v[1:2], v1, s[6:7]
	s_add_u32 s1, s10, s8
	s_mul_i32 s20, s0, 0x300
	s_addc_u32 s21, s11, s9
	s_add_i32 s0, s0, -1
	s_add_u32 s6, s10, s20
	v_readfirstlane_b32 s9, v3
	s_addc_u32 s7, s11, 0
	s_delay_alu instid0(SALU_CYCLE_1) | instskip(SKIP_1) | instid1(VALU_DEP_2)
	v_cmp_ge_u64_e64 s6, s[6:7], s[16:17]
	s_mov_b32 s17, -1
	s_cmp_eq_u32 s9, s0
	s_mul_i32 s0, s9, 0x300
	s_cselect_b32 s3, -1, 0
	s_delay_alu instid0(VALU_DEP_1) | instid1(SALU_CYCLE_1)
	s_and_b32 s6, s6, s3
	s_delay_alu instid0(SALU_CYCLE_1) | instskip(NEXT) | instid1(SALU_CYCLE_1)
	s_xor_b32 s8, s6, -1
	s_and_b32 vcc_lo, exec_lo, s8
	s_waitcnt vmcnt(0)
	v_readfirstlane_b32 s6, v1
	v_readfirstlane_b32 s7, v2
	s_cbranch_vccz .LBB78_6
; %bb.5:
	s_add_u32 s17, s0, s1
	s_addc_u32 s22, 0, s21
	v_add_co_u32 v1, s17, s17, v0
	s_delay_alu instid0(VALU_DEP_1) | instskip(SKIP_1) | instid1(VALU_DEP_3)
	v_add_co_ci_u32_e64 v2, null, s22, 0, s17
	v_lshlrev_b32_e32 v13, 3, v0
	v_add_co_u32 v3, vcc_lo, 0x80, v1
	s_delay_alu instid0(VALU_DEP_3)
	v_add_co_ci_u32_e32 v4, vcc_lo, 0, v2, vcc_lo
	v_add_co_u32 v5, vcc_lo, 0x100, v1
	v_add_co_ci_u32_e32 v6, vcc_lo, 0, v2, vcc_lo
	v_add_co_u32 v7, vcc_lo, 0x180, v1
	;; [unrolled: 2-line block ×4, first 2 shown]
	v_add_co_ci_u32_e32 v12, vcc_lo, 0, v2, vcc_lo
	ds_store_2addr_stride64_b64 v13, v[1:2], v[3:4] offset1:2
	ds_store_2addr_stride64_b64 v13, v[5:6], v[7:8] offset0:4 offset1:6
	ds_store_2addr_stride64_b64 v13, v[9:10], v[11:12] offset0:8 offset1:10
	s_waitcnt lgkmcnt(0)
	s_mov_b32 s17, 0
	s_barrier
.LBB78_6:
	v_or_b32_e32 v17, 0x100, v0
	v_or_b32_e32 v16, 0x180, v0
	;; [unrolled: 1-line block ×4, first 2 shown]
	s_and_not1_b32 vcc_lo, exec_lo, s17
	s_cbranch_vccnz .LBB78_8
; %bb.7:
	v_or_b32_e32 v3, 0x80, v0
	s_add_u32 s1, s1, s0
	s_addc_u32 s17, s21, 0
	v_add_co_u32 v1, s21, s1, v0
	s_delay_alu instid0(VALU_DEP_1) | instskip(SKIP_1) | instid1(VALU_DEP_1)
	v_add_co_ci_u32_e64 v2, null, s17, 0, s21
	v_add_co_u32 v3, s21, s1, v3
	v_add_co_ci_u32_e64 v4, null, s17, 0, s21
	v_add_co_u32 v5, s21, s1, v17
	s_delay_alu instid0(VALU_DEP_1) | instskip(SKIP_1) | instid1(VALU_DEP_1)
	v_add_co_ci_u32_e64 v6, null, s17, 0, s21
	v_add_co_u32 v7, s21, s1, v16
	v_add_co_ci_u32_e64 v8, null, s17, 0, s21
	v_add_co_u32 v9, s21, s1, v14
	v_lshlrev_b32_e32 v15, 3, v0
	v_add_co_u32 v11, s1, s1, v13
	v_add_co_ci_u32_e64 v10, null, s17, 0, s21
	v_add_co_ci_u32_e64 v12, null, s17, 0, s1
	ds_store_2addr_stride64_b64 v15, v[1:2], v[3:4] offset1:2
	ds_store_2addr_stride64_b64 v15, v[5:6], v[7:8] offset0:4 offset1:6
	ds_store_2addr_stride64_b64 v15, v[9:10], v[11:12] offset0:8 offset1:10
	s_waitcnt lgkmcnt(0)
	s_barrier
.LBB78_8:
	v_mul_u32_u24_e32 v1, 6, v0
	buffer_gl0_inv
	s_add_u32 s1, s18, s10
	s_addc_u32 s11, s19, s11
	s_add_u32 s0, s1, s0
	v_lshlrev_b32_e32 v15, 3, v1
	s_addc_u32 s1, s11, 0
	s_and_b32 vcc_lo, exec_lo, s8
	s_mov_b32 s11, -1
	ds_load_b128 v[9:12], v15
	ds_load_b128 v[5:8], v15 offset:16
	ds_load_b128 v[1:4], v15 offset:32
	s_waitcnt lgkmcnt(0)
	s_barrier
	buffer_gl0_inv
	s_cbranch_vccz .LBB78_10
; %bb.9:
	s_clause 0x5
	global_load_u8 v18, v0, s[0:1]
	global_load_u8 v19, v0, s[0:1] offset:128
	global_load_u8 v20, v0, s[0:1] offset:256
	;; [unrolled: 1-line block ×5, first 2 shown]
	s_mov_b32 s11, 0
	s_waitcnt vmcnt(5)
	v_cmp_ne_u16_e32 vcc_lo, 0, v18
	v_cndmask_b32_e64 v18, 0, 1, vcc_lo
	s_waitcnt vmcnt(4)
	v_cmp_ne_u16_e32 vcc_lo, 0, v19
	v_cndmask_b32_e64 v19, 0, 1, vcc_lo
	;; [unrolled: 3-line block ×6, first 2 shown]
	ds_store_b8 v0, v18
	ds_store_b8 v0, v19 offset:128
	ds_store_b8 v0, v20 offset:256
	;; [unrolled: 1-line block ×5, first 2 shown]
	s_waitcnt lgkmcnt(0)
	s_barrier
.LBB78_10:
	s_and_not1_b32 vcc_lo, exec_lo, s11
	s_cbranch_vccnz .LBB78_24
; %bb.11:
	s_add_i32 s20, s20, s10
	v_dual_mov_b32 v18, 0 :: v_dual_mov_b32 v19, 0
	s_sub_i32 s10, s16, s20
	s_mov_b32 s11, exec_lo
	s_addk_i32 s10, 0x300
	s_delay_alu instid0(SALU_CYCLE_1)
	v_cmpx_gt_u32_e64 s10, v0
	s_cbranch_execz .LBB78_13
; %bb.12:
	global_load_u8 v19, v0, s[0:1]
	s_waitcnt vmcnt(0)
	v_cmp_ne_u16_e32 vcc_lo, 0, v19
	v_cndmask_b32_e64 v19, 0, 1, vcc_lo
.LBB78_13:
	s_or_b32 exec_lo, exec_lo, s11
	v_or_b32_e32 v20, 0x80, v0
	s_mov_b32 s11, exec_lo
	s_delay_alu instid0(VALU_DEP_1)
	v_cmpx_gt_u32_e64 s10, v20
	s_cbranch_execz .LBB78_15
; %bb.14:
	global_load_u8 v18, v0, s[0:1] offset:128
	s_waitcnt vmcnt(0)
	v_cmp_ne_u16_e32 vcc_lo, 0, v18
	v_cndmask_b32_e64 v18, 0, 1, vcc_lo
.LBB78_15:
	s_or_b32 exec_lo, exec_lo, s11
	v_cmp_gt_u32_e32 vcc_lo, s10, v17
	v_dual_mov_b32 v17, 0 :: v_dual_mov_b32 v20, 0
	s_and_saveexec_b32 s11, vcc_lo
	s_cbranch_execz .LBB78_17
; %bb.16:
	global_load_u8 v20, v0, s[0:1] offset:256
	s_waitcnt vmcnt(0)
	v_cmp_ne_u16_e32 vcc_lo, 0, v20
	v_cndmask_b32_e64 v20, 0, 1, vcc_lo
.LBB78_17:
	s_or_b32 exec_lo, exec_lo, s11
	s_delay_alu instid0(SALU_CYCLE_1)
	s_mov_b32 s11, exec_lo
	v_cmpx_gt_u32_e64 s10, v16
	s_cbranch_execz .LBB78_19
; %bb.18:
	global_load_u8 v16, v0, s[0:1] offset:384
	s_waitcnt vmcnt(0)
	v_cmp_ne_u16_e32 vcc_lo, 0, v16
	v_cndmask_b32_e64 v17, 0, 1, vcc_lo
.LBB78_19:
	s_or_b32 exec_lo, exec_lo, s11
	v_cmp_gt_u32_e32 vcc_lo, s10, v14
	v_mov_b32_e32 v14, 0
	v_mov_b32_e32 v16, 0
	s_and_saveexec_b32 s11, vcc_lo
	s_cbranch_execz .LBB78_21
; %bb.20:
	global_load_u8 v16, v0, s[0:1] offset:512
	s_waitcnt vmcnt(0)
	v_cmp_ne_u16_e32 vcc_lo, 0, v16
	v_cndmask_b32_e64 v16, 0, 1, vcc_lo
.LBB78_21:
	s_or_b32 exec_lo, exec_lo, s11
	v_cmp_gt_u32_e32 vcc_lo, s10, v13
	s_and_saveexec_b32 s10, vcc_lo
	s_cbranch_execz .LBB78_23
; %bb.22:
	global_load_u8 v13, v0, s[0:1] offset:640
	s_waitcnt vmcnt(0)
	v_cmp_ne_u16_e32 vcc_lo, 0, v13
	v_cndmask_b32_e64 v14, 0, 1, vcc_lo
.LBB78_23:
	s_or_b32 exec_lo, exec_lo, s10
	ds_store_b8 v0, v19
	ds_store_b8 v0, v18 offset:128
	ds_store_b8 v0, v20 offset:256
	;; [unrolled: 1-line block ×5, first 2 shown]
	s_waitcnt lgkmcnt(0)
	s_barrier
.LBB78_24:
	v_mad_i32_i24 v43, 0xffffffd6, v0, v15
	buffer_gl0_inv
	v_mbcnt_lo_u32_b32 v42, -1, 0
	s_cmp_lg_u32 s9, 0
	s_mov_b32 s1, -1
	ds_load_u16 v36, v43
	ds_load_u16 v33, v43 offset:2
	ds_load_u16 v31, v43 offset:4
	v_mov_b32_e32 v14, 0
	v_and_b32_e32 v44, 15, v42
	s_waitcnt lgkmcnt(0)
	s_barrier
	buffer_gl0_inv
	v_and_b32_e32 v41, 0xff, v36
	v_lshrrev_b16 v34, 8, v36
	v_lshrrev_b16 v35, 8, v33
	v_and_b32_e32 v39, 0xff, v33
	v_lshrrev_b16 v32, 8, v31
	v_and_b32_e32 v37, 0xff, v31
	v_and_b32_e32 v40, 0xffff, v34
	;; [unrolled: 1-line block ×3, first 2 shown]
	s_delay_alu instid0(VALU_DEP_4) | instskip(NEXT) | instid1(VALU_DEP_3)
	v_and_b32_e32 v16, 0xffff, v32
	v_add_co_u32 v13, s0, v40, v41
	s_delay_alu instid0(VALU_DEP_1) | instskip(SKIP_1) | instid1(VALU_DEP_3)
	v_add_co_ci_u32_e64 v15, null, 0, 0, s0
	v_cmp_ne_u32_e64 s0, 0, v44
	v_add_co_u32 v13, vcc_lo, v13, v39
	s_delay_alu instid0(VALU_DEP_3) | instskip(NEXT) | instid1(VALU_DEP_2)
	v_add_co_ci_u32_e32 v15, vcc_lo, 0, v15, vcc_lo
	v_add_co_u32 v13, vcc_lo, v13, v38
	s_delay_alu instid0(VALU_DEP_2) | instskip(NEXT) | instid1(VALU_DEP_2)
	v_add_co_ci_u32_e32 v15, vcc_lo, 0, v15, vcc_lo
	v_add_co_u32 v13, vcc_lo, v13, v37
	s_delay_alu instid0(VALU_DEP_2) | instskip(NEXT) | instid1(VALU_DEP_2)
	v_add_co_ci_u32_e32 v15, vcc_lo, 0, v15, vcc_lo
	v_add_co_u32 v21, vcc_lo, v13, v16
	s_delay_alu instid0(VALU_DEP_2)
	v_add_co_ci_u32_e32 v22, vcc_lo, 0, v15, vcc_lo
	s_cbranch_scc0 .LBB78_88
; %bb.25:
	s_delay_alu instid0(VALU_DEP_2)
	v_mov_b32_e32 v15, v21
	v_mov_b32_dpp v13, v21 row_shr:1 row_mask:0xf bank_mask:0xf
	v_mov_b32_dpp v18, v14 row_shr:1 row_mask:0xf bank_mask:0xf
	v_dual_mov_b32 v17, v21 :: v_dual_mov_b32 v16, v22
	s_and_saveexec_b32 s1, s0
; %bb.26:
	s_delay_alu instid0(VALU_DEP_3) | instskip(SKIP_1) | instid1(VALU_DEP_2)
	v_add_co_u32 v17, vcc_lo, v21, v13
	v_add_co_ci_u32_e32 v14, vcc_lo, 0, v22, vcc_lo
	v_add_co_u32 v13, vcc_lo, 0, v17
	s_delay_alu instid0(VALU_DEP_2) | instskip(NEXT) | instid1(VALU_DEP_1)
	v_add_co_ci_u32_e32 v14, vcc_lo, v18, v14, vcc_lo
	v_dual_mov_b32 v16, v14 :: v_dual_mov_b32 v15, v13
; %bb.27:
	s_or_b32 exec_lo, exec_lo, s1
	v_mov_b32_dpp v13, v17 row_shr:2 row_mask:0xf bank_mask:0xf
	v_mov_b32_dpp v18, v14 row_shr:2 row_mask:0xf bank_mask:0xf
	s_mov_b32 s1, exec_lo
	v_cmpx_lt_u32_e32 1, v44
; %bb.28:
	s_delay_alu instid0(VALU_DEP_3) | instskip(SKIP_1) | instid1(VALU_DEP_2)
	v_add_co_u32 v17, vcc_lo, v15, v13
	v_add_co_ci_u32_e32 v14, vcc_lo, 0, v16, vcc_lo
	v_add_co_u32 v13, vcc_lo, 0, v17
	s_delay_alu instid0(VALU_DEP_2) | instskip(NEXT) | instid1(VALU_DEP_1)
	v_add_co_ci_u32_e32 v14, vcc_lo, v18, v14, vcc_lo
	v_dual_mov_b32 v16, v14 :: v_dual_mov_b32 v15, v13
; %bb.29:
	s_or_b32 exec_lo, exec_lo, s1
	v_mov_b32_dpp v13, v17 row_shr:4 row_mask:0xf bank_mask:0xf
	v_mov_b32_dpp v18, v14 row_shr:4 row_mask:0xf bank_mask:0xf
	s_mov_b32 s1, exec_lo
	v_cmpx_lt_u32_e32 3, v44
	;; [unrolled: 14-line block ×3, first 2 shown]
; %bb.32:
	s_delay_alu instid0(VALU_DEP_3) | instskip(SKIP_1) | instid1(VALU_DEP_2)
	v_add_co_u32 v17, vcc_lo, v15, v18
	v_add_co_ci_u32_e32 v14, vcc_lo, 0, v16, vcc_lo
	v_add_co_u32 v15, vcc_lo, 0, v17
	s_delay_alu instid0(VALU_DEP_2) | instskip(NEXT) | instid1(VALU_DEP_1)
	v_add_co_ci_u32_e32 v16, vcc_lo, v13, v14, vcc_lo
	v_mov_b32_e32 v14, v16
; %bb.33:
	s_or_b32 exec_lo, exec_lo, s1
	ds_swizzle_b32 v13, v17 offset:swizzle(BROADCAST,32,15)
	ds_swizzle_b32 v18, v14 offset:swizzle(BROADCAST,32,15)
	v_and_b32_e32 v19, 16, v42
	s_mov_b32 s1, exec_lo
	s_delay_alu instid0(VALU_DEP_1)
	v_cmpx_ne_u32_e32 0, v19
	s_cbranch_execz .LBB78_35
; %bb.34:
	s_waitcnt lgkmcnt(1)
	v_add_co_u32 v17, vcc_lo, v15, v13
	v_add_co_ci_u32_e32 v14, vcc_lo, 0, v16, vcc_lo
	s_delay_alu instid0(VALU_DEP_2) | instskip(SKIP_1) | instid1(VALU_DEP_2)
	v_add_co_u32 v13, vcc_lo, 0, v17
	s_waitcnt lgkmcnt(0)
	v_add_co_ci_u32_e32 v14, vcc_lo, v18, v14, vcc_lo
	s_delay_alu instid0(VALU_DEP_1)
	v_dual_mov_b32 v16, v14 :: v_dual_mov_b32 v15, v13
.LBB78_35:
	s_or_b32 exec_lo, exec_lo, s1
	s_waitcnt lgkmcnt(0)
	v_or_b32_e32 v18, 31, v0
	v_lshrrev_b32_e32 v13, 5, v0
	s_mov_b32 s1, exec_lo
	s_delay_alu instid0(VALU_DEP_2)
	v_cmpx_eq_u32_e64 v18, v0
	s_cbranch_execz .LBB78_37
; %bb.36:
	s_delay_alu instid0(VALU_DEP_2)
	v_lshlrev_b32_e32 v18, 3, v13
	ds_store_b64 v18, v[15:16]
.LBB78_37:
	s_or_b32 exec_lo, exec_lo, s1
	s_delay_alu instid0(SALU_CYCLE_1)
	s_mov_b32 s1, exec_lo
	s_waitcnt lgkmcnt(0)
	s_barrier
	buffer_gl0_inv
	v_cmpx_gt_u32_e32 4, v0
	s_cbranch_execz .LBB78_43
; %bb.38:
	v_lshlrev_b32_e32 v18, 3, v0
	s_mov_b32 s10, exec_lo
	ds_load_b64 v[15:16], v18
	s_waitcnt lgkmcnt(0)
	v_dual_mov_b32 v20, v15 :: v_dual_and_b32 v19, 3, v42
	v_mov_b32_dpp v24, v15 row_shr:1 row_mask:0xf bank_mask:0xf
	v_mov_b32_dpp v23, v16 row_shr:1 row_mask:0xf bank_mask:0xf
	s_delay_alu instid0(VALU_DEP_3)
	v_cmpx_ne_u32_e32 0, v19
; %bb.39:
	s_delay_alu instid0(VALU_DEP_3) | instskip(SKIP_1) | instid1(VALU_DEP_2)
	v_add_co_u32 v20, vcc_lo, v15, v24
	v_add_co_ci_u32_e32 v16, vcc_lo, 0, v16, vcc_lo
	v_add_co_u32 v15, vcc_lo, 0, v20
	s_delay_alu instid0(VALU_DEP_2)
	v_add_co_ci_u32_e32 v16, vcc_lo, v23, v16, vcc_lo
; %bb.40:
	s_or_b32 exec_lo, exec_lo, s10
	v_mov_b32_dpp v23, v20 row_shr:2 row_mask:0xf bank_mask:0xf
	s_delay_alu instid0(VALU_DEP_2)
	v_mov_b32_dpp v20, v16 row_shr:2 row_mask:0xf bank_mask:0xf
	s_mov_b32 s10, exec_lo
	v_cmpx_lt_u32_e32 1, v19
; %bb.41:
	s_delay_alu instid0(VALU_DEP_3) | instskip(SKIP_1) | instid1(VALU_DEP_2)
	v_add_co_u32 v15, vcc_lo, v15, v23
	v_add_co_ci_u32_e32 v16, vcc_lo, 0, v16, vcc_lo
	v_add_co_u32 v15, vcc_lo, v15, 0
	s_delay_alu instid0(VALU_DEP_2)
	v_add_co_ci_u32_e32 v16, vcc_lo, v16, v20, vcc_lo
; %bb.42:
	s_or_b32 exec_lo, exec_lo, s10
	ds_store_b64 v18, v[15:16]
.LBB78_43:
	s_or_b32 exec_lo, exec_lo, s1
	v_cmp_gt_u32_e32 vcc_lo, 32, v0
	s_mov_b32 s10, exec_lo
	s_waitcnt lgkmcnt(0)
	s_barrier
	buffer_gl0_inv
                                        ; implicit-def: $vgpr23_vgpr24
	v_cmpx_lt_u32_e32 31, v0
	s_cbranch_execz .LBB78_45
; %bb.44:
	v_lshl_add_u32 v13, v13, 3, -8
	ds_load_b64 v[23:24], v13
	s_waitcnt lgkmcnt(0)
	v_add_co_u32 v17, s1, v17, v23
	s_delay_alu instid0(VALU_DEP_1)
	v_add_co_ci_u32_e64 v14, s1, v14, v24, s1
.LBB78_45:
	s_or_b32 exec_lo, exec_lo, s10
	v_add_nc_u32_e32 v13, -1, v42
	s_delay_alu instid0(VALU_DEP_1) | instskip(NEXT) | instid1(VALU_DEP_1)
	v_cmp_gt_i32_e64 s1, 0, v13
	v_cndmask_b32_e64 v13, v13, v42, s1
	v_cmp_eq_u32_e64 s1, 0, v42
	s_delay_alu instid0(VALU_DEP_2)
	v_lshlrev_b32_e32 v13, 2, v13
	ds_bpermute_b32 v29, v13, v17
	ds_bpermute_b32 v30, v13, v14
	s_and_saveexec_b32 s10, vcc_lo
	s_cbranch_execz .LBB78_83
; %bb.46:
	v_mov_b32_e32 v16, 0
	ds_load_b64 v[13:14], v16 offset:24
	s_and_saveexec_b32 s11, s1
	s_cbranch_execz .LBB78_48
; %bb.47:
	s_add_i32 s16, s9, 32
	s_mov_b32 s17, 0
	s_delay_alu instid0(SALU_CYCLE_1) | instskip(NEXT) | instid1(SALU_CYCLE_1)
	s_lshl_b64 s[16:17], s[16:17], 4
	s_add_u32 s16, s14, s16
	s_addc_u32 s17, s15, s17
	s_delay_alu instid0(SALU_CYCLE_1)
	v_dual_mov_b32 v15, 1 :: v_dual_mov_b32 v18, s17
	v_mov_b32_e32 v17, s16
	s_waitcnt lgkmcnt(0)
	;;#ASMSTART
	global_store_dwordx4 v[17:18], v[13:16] off	
s_waitcnt vmcnt(0)
	;;#ASMEND
.LBB78_48:
	s_or_b32 exec_lo, exec_lo, s11
	v_xad_u32 v25, v42, -1, s9
	s_mov_b32 s16, 0
	s_mov_b32 s11, exec_lo
	s_delay_alu instid0(VALU_DEP_1) | instskip(NEXT) | instid1(VALU_DEP_1)
	v_add_nc_u32_e32 v15, 32, v25
	v_lshlrev_b64 v[15:16], 4, v[15:16]
	s_delay_alu instid0(VALU_DEP_1) | instskip(NEXT) | instid1(VALU_DEP_2)
	v_add_co_u32 v15, vcc_lo, s14, v15
	v_add_co_ci_u32_e32 v16, vcc_lo, s15, v16, vcc_lo
	;;#ASMSTART
	global_load_dwordx4 v[17:20], v[15:16] off glc	
s_waitcnt vmcnt(0)
	;;#ASMEND
	v_and_b32_e32 v20, 0xff, v18
	v_and_b32_e32 v26, 0xff00, v18
	;; [unrolled: 1-line block ×3, first 2 shown]
	v_or3_b32 v17, v17, 0, 0
	v_and_b32_e32 v18, 0xff000000, v18
	s_delay_alu instid0(VALU_DEP_4) | instskip(SKIP_1) | instid1(VALU_DEP_4)
	v_or3_b32 v20, 0, v20, v26
	v_and_b32_e32 v26, 0xff, v19
	v_or3_b32 v17, v17, 0, 0
	s_delay_alu instid0(VALU_DEP_3) | instskip(NEXT) | instid1(VALU_DEP_3)
	v_or3_b32 v18, v20, v27, v18
	v_cmpx_eq_u16_e32 0, v26
	s_cbranch_execz .LBB78_51
.LBB78_49:                              ; =>This Inner Loop Header: Depth=1
	;;#ASMSTART
	global_load_dwordx4 v[17:20], v[15:16] off glc	
s_waitcnt vmcnt(0)
	;;#ASMEND
	v_and_b32_e32 v20, 0xff, v19
	s_delay_alu instid0(VALU_DEP_1) | instskip(SKIP_1) | instid1(SALU_CYCLE_1)
	v_cmp_ne_u16_e32 vcc_lo, 0, v20
	s_or_b32 s16, vcc_lo, s16
	s_and_not1_b32 exec_lo, exec_lo, s16
	s_cbranch_execnz .LBB78_49
; %bb.50:
	s_or_b32 exec_lo, exec_lo, s16
.LBB78_51:
	s_delay_alu instid0(SALU_CYCLE_1)
	s_or_b32 exec_lo, exec_lo, s11
	v_cmp_ne_u32_e32 vcc_lo, 31, v42
	v_and_b32_e32 v16, 0xff, v19
	v_lshlrev_b32_e64 v46, v42, -1
	s_mov_b32 s11, exec_lo
	v_add_co_ci_u32_e32 v15, vcc_lo, 0, v42, vcc_lo
	s_delay_alu instid0(VALU_DEP_3) | instskip(NEXT) | instid1(VALU_DEP_2)
	v_cmp_eq_u16_e32 vcc_lo, 2, v16
	v_dual_mov_b32 v16, v17 :: v_dual_lshlrev_b32 v45, 2, v15
	v_and_or_b32 v15, vcc_lo, v46, 0x80000000
	ds_bpermute_b32 v26, v45, v17
	ds_bpermute_b32 v20, v45, v18
	v_ctz_i32_b32_e32 v15, v15
	s_delay_alu instid0(VALU_DEP_1)
	v_cmpx_lt_u32_e64 v42, v15
	s_cbranch_execz .LBB78_53
; %bb.52:
	s_waitcnt lgkmcnt(1)
	v_add_co_u32 v16, vcc_lo, v17, v26
	v_add_co_ci_u32_e32 v18, vcc_lo, 0, v18, vcc_lo
	s_delay_alu instid0(VALU_DEP_2) | instskip(SKIP_1) | instid1(VALU_DEP_2)
	v_add_co_u32 v17, vcc_lo, 0, v16
	s_waitcnt lgkmcnt(0)
	v_add_co_ci_u32_e32 v18, vcc_lo, v20, v18, vcc_lo
.LBB78_53:
	s_or_b32 exec_lo, exec_lo, s11
	v_cmp_gt_u32_e32 vcc_lo, 30, v42
	v_add_nc_u32_e32 v48, 2, v42
	s_mov_b32 s11, exec_lo
	s_waitcnt lgkmcnt(0)
	v_cndmask_b32_e64 v20, 0, 1, vcc_lo
	s_delay_alu instid0(VALU_DEP_1) | instskip(NEXT) | instid1(VALU_DEP_1)
	v_lshlrev_b32_e32 v20, 1, v20
	v_add_lshl_u32 v47, v20, v42, 2
	ds_bpermute_b32 v26, v47, v16
	ds_bpermute_b32 v20, v47, v18
	v_cmpx_le_u32_e64 v48, v15
	s_cbranch_execz .LBB78_55
; %bb.54:
	s_waitcnt lgkmcnt(1)
	v_add_co_u32 v16, vcc_lo, v17, v26
	v_add_co_ci_u32_e32 v18, vcc_lo, 0, v18, vcc_lo
	s_delay_alu instid0(VALU_DEP_2) | instskip(SKIP_1) | instid1(VALU_DEP_2)
	v_add_co_u32 v17, vcc_lo, 0, v16
	s_waitcnt lgkmcnt(0)
	v_add_co_ci_u32_e32 v18, vcc_lo, v20, v18, vcc_lo
.LBB78_55:
	s_or_b32 exec_lo, exec_lo, s11
	v_cmp_gt_u32_e32 vcc_lo, 28, v42
	v_add_nc_u32_e32 v50, 4, v42
	s_mov_b32 s11, exec_lo
	s_waitcnt lgkmcnt(0)
	v_cndmask_b32_e64 v20, 0, 1, vcc_lo
	s_delay_alu instid0(VALU_DEP_1) | instskip(NEXT) | instid1(VALU_DEP_1)
	v_lshlrev_b32_e32 v20, 2, v20
	v_add_lshl_u32 v49, v20, v42, 2
	ds_bpermute_b32 v26, v49, v16
	ds_bpermute_b32 v20, v49, v18
	v_cmpx_le_u32_e64 v50, v15
	;; [unrolled: 22-line block ×4, first 2 shown]
	s_cbranch_execz .LBB78_61
; %bb.60:
	s_waitcnt lgkmcnt(1)
	v_add_co_u32 v15, vcc_lo, v17, v20
	v_add_co_ci_u32_e32 v18, vcc_lo, 0, v18, vcc_lo
	s_delay_alu instid0(VALU_DEP_2) | instskip(SKIP_1) | instid1(VALU_DEP_2)
	v_add_co_u32 v17, vcc_lo, v15, 0
	s_waitcnt lgkmcnt(0)
	v_add_co_ci_u32_e32 v18, vcc_lo, v18, v16, vcc_lo
.LBB78_61:
	s_or_b32 exec_lo, exec_lo, s11
	v_mov_b32_e32 v26, 0
	s_branch .LBB78_63
.LBB78_62:                              ;   in Loop: Header=BB78_63 Depth=1
	s_or_b32 exec_lo, exec_lo, s11
	v_add_co_u32 v17, vcc_lo, v17, v15
	v_subrev_nc_u32_e32 v25, 32, v25
	v_add_co_ci_u32_e32 v18, vcc_lo, v18, v16, vcc_lo
.LBB78_63:                              ; =>This Loop Header: Depth=1
                                        ;     Child Loop BB78_66 Depth 2
	v_and_b32_e32 v15, 0xff, v19
	s_delay_alu instid0(VALU_DEP_1) | instskip(SKIP_2) | instid1(VALU_DEP_1)
	v_cmp_ne_u16_e32 vcc_lo, 2, v15
	v_cndmask_b32_e64 v15, 0, 1, vcc_lo
	;;#ASMSTART
	;;#ASMEND
	v_cmp_ne_u32_e32 vcc_lo, 0, v15
	s_waitcnt lgkmcnt(0)
	v_dual_mov_b32 v15, v17 :: v_dual_mov_b32 v16, v18
	s_cmp_lg_u32 vcc_lo, exec_lo
	s_cbranch_scc1 .LBB78_78
; %bb.64:                               ;   in Loop: Header=BB78_63 Depth=1
	v_lshlrev_b64 v[17:18], 4, v[25:26]
	s_mov_b32 s11, exec_lo
	s_delay_alu instid0(VALU_DEP_1) | instskip(NEXT) | instid1(VALU_DEP_2)
	v_add_co_u32 v27, vcc_lo, s14, v17
	v_add_co_ci_u32_e32 v28, vcc_lo, s15, v18, vcc_lo
	;;#ASMSTART
	global_load_dwordx4 v[17:20], v[27:28] off glc	
s_waitcnt vmcnt(0)
	;;#ASMEND
	v_and_b32_e32 v20, 0xff, v18
	v_and_b32_e32 v55, 0xff00, v18
	;; [unrolled: 1-line block ×3, first 2 shown]
	v_or3_b32 v17, v17, 0, 0
	v_and_b32_e32 v18, 0xff000000, v18
	s_delay_alu instid0(VALU_DEP_4) | instskip(SKIP_1) | instid1(VALU_DEP_4)
	v_or3_b32 v20, 0, v20, v55
	v_and_b32_e32 v55, 0xff, v19
	v_or3_b32 v17, v17, 0, 0
	s_delay_alu instid0(VALU_DEP_3) | instskip(NEXT) | instid1(VALU_DEP_3)
	v_or3_b32 v18, v20, v56, v18
	v_cmpx_eq_u16_e32 0, v55
	s_cbranch_execz .LBB78_68
; %bb.65:                               ;   in Loop: Header=BB78_63 Depth=1
	s_mov_b32 s16, 0
.LBB78_66:                              ;   Parent Loop BB78_63 Depth=1
                                        ; =>  This Inner Loop Header: Depth=2
	;;#ASMSTART
	global_load_dwordx4 v[17:20], v[27:28] off glc	
s_waitcnt vmcnt(0)
	;;#ASMEND
	v_and_b32_e32 v20, 0xff, v19
	s_delay_alu instid0(VALU_DEP_1) | instskip(SKIP_1) | instid1(SALU_CYCLE_1)
	v_cmp_ne_u16_e32 vcc_lo, 0, v20
	s_or_b32 s16, vcc_lo, s16
	s_and_not1_b32 exec_lo, exec_lo, s16
	s_cbranch_execnz .LBB78_66
; %bb.67:                               ;   in Loop: Header=BB78_63 Depth=1
	s_or_b32 exec_lo, exec_lo, s16
.LBB78_68:                              ;   in Loop: Header=BB78_63 Depth=1
	s_delay_alu instid0(SALU_CYCLE_1)
	s_or_b32 exec_lo, exec_lo, s11
	v_dual_mov_b32 v27, v17 :: v_dual_and_b32 v20, 0xff, v19
	ds_bpermute_b32 v55, v45, v17
	ds_bpermute_b32 v28, v45, v18
	s_mov_b32 s11, exec_lo
	v_cmp_eq_u16_e32 vcc_lo, 2, v20
	v_and_or_b32 v20, vcc_lo, v46, 0x80000000
	s_delay_alu instid0(VALU_DEP_1) | instskip(NEXT) | instid1(VALU_DEP_1)
	v_ctz_i32_b32_e32 v20, v20
	v_cmpx_lt_u32_e64 v42, v20
	s_cbranch_execz .LBB78_70
; %bb.69:                               ;   in Loop: Header=BB78_63 Depth=1
	s_waitcnt lgkmcnt(1)
	v_add_co_u32 v27, vcc_lo, v17, v55
	v_add_co_ci_u32_e32 v18, vcc_lo, 0, v18, vcc_lo
	s_delay_alu instid0(VALU_DEP_2) | instskip(SKIP_1) | instid1(VALU_DEP_2)
	v_add_co_u32 v17, vcc_lo, 0, v27
	s_waitcnt lgkmcnt(0)
	v_add_co_ci_u32_e32 v18, vcc_lo, v28, v18, vcc_lo
.LBB78_70:                              ;   in Loop: Header=BB78_63 Depth=1
	s_or_b32 exec_lo, exec_lo, s11
	s_waitcnt lgkmcnt(1)
	ds_bpermute_b32 v55, v47, v27
	s_waitcnt lgkmcnt(1)
	ds_bpermute_b32 v28, v47, v18
	s_mov_b32 s11, exec_lo
	v_cmpx_le_u32_e64 v48, v20
	s_cbranch_execz .LBB78_72
; %bb.71:                               ;   in Loop: Header=BB78_63 Depth=1
	s_waitcnt lgkmcnt(1)
	v_add_co_u32 v27, vcc_lo, v17, v55
	v_add_co_ci_u32_e32 v18, vcc_lo, 0, v18, vcc_lo
	s_delay_alu instid0(VALU_DEP_2) | instskip(SKIP_1) | instid1(VALU_DEP_2)
	v_add_co_u32 v17, vcc_lo, 0, v27
	s_waitcnt lgkmcnt(0)
	v_add_co_ci_u32_e32 v18, vcc_lo, v28, v18, vcc_lo
.LBB78_72:                              ;   in Loop: Header=BB78_63 Depth=1
	s_or_b32 exec_lo, exec_lo, s11
	s_waitcnt lgkmcnt(1)
	ds_bpermute_b32 v55, v49, v27
	s_waitcnt lgkmcnt(1)
	ds_bpermute_b32 v28, v49, v18
	s_mov_b32 s11, exec_lo
	v_cmpx_le_u32_e64 v50, v20
	s_cbranch_execz .LBB78_74
; %bb.73:                               ;   in Loop: Header=BB78_63 Depth=1
	s_waitcnt lgkmcnt(1)
	v_add_co_u32 v27, vcc_lo, v17, v55
	v_add_co_ci_u32_e32 v18, vcc_lo, 0, v18, vcc_lo
	s_delay_alu instid0(VALU_DEP_2) | instskip(SKIP_1) | instid1(VALU_DEP_2)
	v_add_co_u32 v17, vcc_lo, 0, v27
	s_waitcnt lgkmcnt(0)
	v_add_co_ci_u32_e32 v18, vcc_lo, v28, v18, vcc_lo
.LBB78_74:                              ;   in Loop: Header=BB78_63 Depth=1
	s_or_b32 exec_lo, exec_lo, s11
	s_waitcnt lgkmcnt(1)
	ds_bpermute_b32 v55, v51, v27
	s_waitcnt lgkmcnt(1)
	ds_bpermute_b32 v28, v51, v18
	s_mov_b32 s11, exec_lo
	v_cmpx_le_u32_e64 v52, v20
	s_cbranch_execz .LBB78_76
; %bb.75:                               ;   in Loop: Header=BB78_63 Depth=1
	s_waitcnt lgkmcnt(1)
	v_add_co_u32 v27, vcc_lo, v17, v55
	v_add_co_ci_u32_e32 v18, vcc_lo, 0, v18, vcc_lo
	s_delay_alu instid0(VALU_DEP_2) | instskip(SKIP_1) | instid1(VALU_DEP_2)
	v_add_co_u32 v17, vcc_lo, 0, v27
	s_waitcnt lgkmcnt(0)
	v_add_co_ci_u32_e32 v18, vcc_lo, v28, v18, vcc_lo
.LBB78_76:                              ;   in Loop: Header=BB78_63 Depth=1
	s_or_b32 exec_lo, exec_lo, s11
	s_waitcnt lgkmcnt(0)
	ds_bpermute_b32 v28, v53, v27
	ds_bpermute_b32 v27, v53, v18
	s_mov_b32 s11, exec_lo
	v_cmpx_le_u32_e64 v54, v20
	s_cbranch_execz .LBB78_62
; %bb.77:                               ;   in Loop: Header=BB78_63 Depth=1
	s_waitcnt lgkmcnt(1)
	v_add_co_u32 v17, vcc_lo, v17, v28
	v_add_co_ci_u32_e32 v18, vcc_lo, 0, v18, vcc_lo
	s_delay_alu instid0(VALU_DEP_2) | instskip(SKIP_1) | instid1(VALU_DEP_2)
	v_add_co_u32 v17, vcc_lo, v17, 0
	s_waitcnt lgkmcnt(0)
	v_add_co_ci_u32_e32 v18, vcc_lo, v18, v27, vcc_lo
	s_branch .LBB78_62
.LBB78_78:                              ;   in Loop: Header=BB78_63 Depth=1
                                        ; implicit-def: $vgpr17_vgpr18
	s_cbranch_execz .LBB78_63
; %bb.79:
	s_and_saveexec_b32 s11, s1
	s_cbranch_execz .LBB78_81
; %bb.80:
	s_add_i32 s16, s9, 32
	s_mov_b32 s17, 0
	v_add_co_u32 v17, vcc_lo, v15, v13
	s_lshl_b64 s[16:17], s[16:17], 4
	v_dual_mov_b32 v19, 2 :: v_dual_mov_b32 v20, 0
	s_add_u32 s16, s14, s16
	s_addc_u32 s17, s15, s17
	v_add_co_ci_u32_e32 v18, vcc_lo, v16, v14, vcc_lo
	v_dual_mov_b32 v26, s17 :: v_dual_mov_b32 v25, s16
	;;#ASMSTART
	global_store_dwordx4 v[25:26], v[17:20] off	
s_waitcnt vmcnt(0)
	;;#ASMEND
	ds_store_b128 v20, v[13:16] offset:6144
.LBB78_81:
	s_or_b32 exec_lo, exec_lo, s11
	s_delay_alu instid0(SALU_CYCLE_1)
	s_and_b32 exec_lo, exec_lo, s2
	s_cbranch_execz .LBB78_83
; %bb.82:
	v_mov_b32_e32 v13, 0
	ds_store_b64 v13, v[15:16] offset:24
.LBB78_83:
	s_or_b32 exec_lo, exec_lo, s10
	v_mov_b32_e32 v15, 0
	s_waitcnt lgkmcnt(0)
	s_barrier
	buffer_gl0_inv
	v_cndmask_b32_e64 v16, v29, v23, s1
	ds_load_b64 v[13:14], v15 offset:24
	v_cndmask_b32_e64 v17, v30, v24, s1
	s_waitcnt lgkmcnt(0)
	s_barrier
	v_cndmask_b32_e64 v16, v16, 0, s2
	buffer_gl0_inv
	v_cndmask_b32_e64 v17, v17, 0, s2
	v_add_co_u32 v29, vcc_lo, v13, v16
	s_delay_alu instid0(VALU_DEP_2) | instskip(SKIP_3) | instid1(VALU_DEP_2)
	v_add_co_ci_u32_e32 v30, vcc_lo, v14, v17, vcc_lo
	ds_load_b128 v[13:16], v15 offset:6144
	v_add_co_u32 v27, vcc_lo, v29, v41
	v_add_co_ci_u32_e32 v28, vcc_lo, 0, v30, vcc_lo
	v_add_co_u32 v25, vcc_lo, v27, v40
	s_delay_alu instid0(VALU_DEP_2) | instskip(NEXT) | instid1(VALU_DEP_2)
	v_add_co_ci_u32_e32 v26, vcc_lo, 0, v28, vcc_lo
	v_add_co_u32 v23, vcc_lo, v25, v39
	s_delay_alu instid0(VALU_DEP_2) | instskip(NEXT) | instid1(VALU_DEP_2)
	;; [unrolled: 3-line block ×3, first 2 shown]
	v_add_co_ci_u32_e32 v20, vcc_lo, 0, v24, vcc_lo
	v_add_co_u32 v17, vcc_lo, v19, v37
	s_delay_alu instid0(VALU_DEP_2)
	v_add_co_ci_u32_e32 v18, vcc_lo, 0, v20, vcc_lo
.LBB78_84:
	s_waitcnt lgkmcnt(0)
	v_cmp_gt_u64_e32 vcc_lo, 0x81, v[13:14]
	s_mov_b32 s0, -1
	s_cbranch_vccnz .LBB78_112
.LBB78_85:
	s_and_b32 vcc_lo, exec_lo, s0
	s_cbranch_vccnz .LBB78_131
.LBB78_86:
	s_and_b32 s0, s2, s3
	s_delay_alu instid0(SALU_CYCLE_1)
	s_and_saveexec_b32 s1, s0
	s_cbranch_execnz .LBB78_147
.LBB78_87:
	s_nop 0
	s_sendmsg sendmsg(MSG_DEALLOC_VGPRS)
	s_endpgm
.LBB78_88:
                                        ; kill: def $vgpr13_vgpr14 killed $sgpr0_sgpr1 killed $exec
                                        ; implicit-def: $vgpr17_vgpr18
                                        ; implicit-def: $vgpr19_vgpr20
                                        ; implicit-def: $vgpr23_vgpr24
                                        ; implicit-def: $vgpr25_vgpr26
                                        ; implicit-def: $vgpr27_vgpr28
                                        ; implicit-def: $vgpr29_vgpr30
                                        ; implicit-def: $vgpr15_vgpr16
	s_and_b32 vcc_lo, exec_lo, s1
	s_cbranch_vccz .LBB78_84
; %bb.89:
	s_waitcnt lgkmcnt(0)
	v_dual_mov_b32 v14, 0 :: v_dual_mov_b32 v15, v21
	v_mov_b32_dpp v16, v21 row_shr:1 row_mask:0xf bank_mask:0xf
	s_delay_alu instid0(VALU_DEP_2)
	v_mov_b32_dpp v13, v14 row_shr:1 row_mask:0xf bank_mask:0xf
	s_and_saveexec_b32 s1, s0
; %bb.90:
	s_delay_alu instid0(VALU_DEP_2) | instskip(SKIP_1) | instid1(VALU_DEP_2)
	v_add_co_u32 v15, vcc_lo, v21, v16
	v_add_co_ci_u32_e32 v14, vcc_lo, 0, v22, vcc_lo
	v_add_co_u32 v21, vcc_lo, 0, v15
	s_delay_alu instid0(VALU_DEP_2) | instskip(NEXT) | instid1(VALU_DEP_1)
	v_add_co_ci_u32_e32 v22, vcc_lo, v13, v14, vcc_lo
	v_mov_b32_e32 v14, v22
; %bb.91:
	s_or_b32 exec_lo, exec_lo, s1
	v_mov_b32_dpp v13, v15 row_shr:2 row_mask:0xf bank_mask:0xf
	s_delay_alu instid0(VALU_DEP_2)
	v_mov_b32_dpp v16, v14 row_shr:2 row_mask:0xf bank_mask:0xf
	s_mov_b32 s0, exec_lo
	v_cmpx_lt_u32_e32 1, v44
; %bb.92:
	s_delay_alu instid0(VALU_DEP_3) | instskip(SKIP_1) | instid1(VALU_DEP_2)
	v_add_co_u32 v15, vcc_lo, v21, v13
	v_add_co_ci_u32_e32 v14, vcc_lo, 0, v22, vcc_lo
	v_add_co_u32 v13, vcc_lo, 0, v15
	s_delay_alu instid0(VALU_DEP_2) | instskip(NEXT) | instid1(VALU_DEP_1)
	v_add_co_ci_u32_e32 v14, vcc_lo, v16, v14, vcc_lo
	v_dual_mov_b32 v22, v14 :: v_dual_mov_b32 v21, v13
; %bb.93:
	s_or_b32 exec_lo, exec_lo, s0
	v_mov_b32_dpp v13, v15 row_shr:4 row_mask:0xf bank_mask:0xf
	v_mov_b32_dpp v16, v14 row_shr:4 row_mask:0xf bank_mask:0xf
	s_mov_b32 s0, exec_lo
	v_cmpx_lt_u32_e32 3, v44
; %bb.94:
	s_delay_alu instid0(VALU_DEP_3) | instskip(SKIP_1) | instid1(VALU_DEP_2)
	v_add_co_u32 v15, vcc_lo, v21, v13
	v_add_co_ci_u32_e32 v14, vcc_lo, 0, v22, vcc_lo
	v_add_co_u32 v13, vcc_lo, 0, v15
	s_delay_alu instid0(VALU_DEP_2) | instskip(NEXT) | instid1(VALU_DEP_1)
	v_add_co_ci_u32_e32 v14, vcc_lo, v16, v14, vcc_lo
	v_dual_mov_b32 v22, v14 :: v_dual_mov_b32 v21, v13
; %bb.95:
	s_or_b32 exec_lo, exec_lo, s0
	v_mov_b32_dpp v16, v15 row_shr:8 row_mask:0xf bank_mask:0xf
	v_mov_b32_dpp v13, v14 row_shr:8 row_mask:0xf bank_mask:0xf
	s_mov_b32 s0, exec_lo
	v_cmpx_lt_u32_e32 7, v44
; %bb.96:
	s_delay_alu instid0(VALU_DEP_3) | instskip(SKIP_1) | instid1(VALU_DEP_2)
	v_add_co_u32 v15, vcc_lo, v21, v16
	v_add_co_ci_u32_e32 v14, vcc_lo, 0, v22, vcc_lo
	v_add_co_u32 v21, vcc_lo, 0, v15
	s_delay_alu instid0(VALU_DEP_2) | instskip(NEXT) | instid1(VALU_DEP_1)
	v_add_co_ci_u32_e32 v22, vcc_lo, v13, v14, vcc_lo
	v_mov_b32_e32 v14, v22
; %bb.97:
	s_or_b32 exec_lo, exec_lo, s0
	ds_swizzle_b32 v15, v15 offset:swizzle(BROADCAST,32,15)
	ds_swizzle_b32 v13, v14 offset:swizzle(BROADCAST,32,15)
	v_and_b32_e32 v14, 16, v42
	s_mov_b32 s0, exec_lo
	s_delay_alu instid0(VALU_DEP_1)
	v_cmpx_ne_u32_e32 0, v14
	s_cbranch_execz .LBB78_99
; %bb.98:
	s_waitcnt lgkmcnt(1)
	v_add_co_u32 v14, vcc_lo, v21, v15
	v_add_co_ci_u32_e32 v15, vcc_lo, 0, v22, vcc_lo
	s_delay_alu instid0(VALU_DEP_2) | instskip(SKIP_1) | instid1(VALU_DEP_2)
	v_add_co_u32 v21, vcc_lo, v14, 0
	s_waitcnt lgkmcnt(0)
	v_add_co_ci_u32_e32 v22, vcc_lo, v15, v13, vcc_lo
.LBB78_99:
	s_or_b32 exec_lo, exec_lo, s0
	s_waitcnt lgkmcnt(0)
	v_or_b32_e32 v13, 31, v0
	v_lshrrev_b32_e32 v15, 5, v0
	s_mov_b32 s0, exec_lo
	s_delay_alu instid0(VALU_DEP_2)
	v_cmpx_eq_u32_e64 v13, v0
	s_cbranch_execz .LBB78_101
; %bb.100:
	s_delay_alu instid0(VALU_DEP_2)
	v_lshlrev_b32_e32 v13, 3, v15
	ds_store_b64 v13, v[21:22]
.LBB78_101:
	s_or_b32 exec_lo, exec_lo, s0
	s_delay_alu instid0(SALU_CYCLE_1)
	s_mov_b32 s0, exec_lo
	s_waitcnt lgkmcnt(0)
	s_barrier
	buffer_gl0_inv
	v_cmpx_gt_u32_e32 4, v0
	s_cbranch_execz .LBB78_107
; %bb.102:
	v_lshlrev_b32_e32 v13, 1, v0
	s_mov_b32 s1, exec_lo
	s_delay_alu instid0(VALU_DEP_1)
	v_add_nc_u32_e32 v16, v43, v13
	ds_load_b64 v[13:14], v16
	s_waitcnt lgkmcnt(0)
	v_dual_mov_b32 v18, v13 :: v_dual_and_b32 v17, 3, v42
	v_mov_b32_dpp v20, v13 row_shr:1 row_mask:0xf bank_mask:0xf
	v_mov_b32_dpp v19, v14 row_shr:1 row_mask:0xf bank_mask:0xf
	s_delay_alu instid0(VALU_DEP_3)
	v_cmpx_ne_u32_e32 0, v17
; %bb.103:
	s_delay_alu instid0(VALU_DEP_3) | instskip(SKIP_1) | instid1(VALU_DEP_2)
	v_add_co_u32 v18, vcc_lo, v13, v20
	v_add_co_ci_u32_e32 v14, vcc_lo, 0, v14, vcc_lo
	v_add_co_u32 v13, vcc_lo, 0, v18
	s_delay_alu instid0(VALU_DEP_2)
	v_add_co_ci_u32_e32 v14, vcc_lo, v19, v14, vcc_lo
; %bb.104:
	s_or_b32 exec_lo, exec_lo, s1
	v_mov_b32_dpp v19, v18 row_shr:2 row_mask:0xf bank_mask:0xf
	s_delay_alu instid0(VALU_DEP_2)
	v_mov_b32_dpp v18, v14 row_shr:2 row_mask:0xf bank_mask:0xf
	s_mov_b32 s1, exec_lo
	v_cmpx_lt_u32_e32 1, v17
; %bb.105:
	s_delay_alu instid0(VALU_DEP_3) | instskip(SKIP_1) | instid1(VALU_DEP_2)
	v_add_co_u32 v13, vcc_lo, v13, v19
	v_add_co_ci_u32_e32 v14, vcc_lo, 0, v14, vcc_lo
	v_add_co_u32 v13, vcc_lo, v13, 0
	s_delay_alu instid0(VALU_DEP_2)
	v_add_co_ci_u32_e32 v14, vcc_lo, v14, v18, vcc_lo
; %bb.106:
	s_or_b32 exec_lo, exec_lo, s1
	ds_store_b64 v16, v[13:14]
.LBB78_107:
	s_or_b32 exec_lo, exec_lo, s0
	v_mov_b32_e32 v17, 0
	v_mov_b32_e32 v18, 0
	s_mov_b32 s0, exec_lo
	s_waitcnt lgkmcnt(0)
	s_barrier
	buffer_gl0_inv
	v_cmpx_lt_u32_e32 31, v0
	s_cbranch_execz .LBB78_109
; %bb.108:
	v_lshl_add_u32 v13, v15, 3, -8
	ds_load_b64 v[17:18], v13
.LBB78_109:
	s_or_b32 exec_lo, exec_lo, s0
	v_dual_mov_b32 v16, 0 :: v_dual_add_nc_u32 v13, -1, v42
	s_delay_alu instid0(VALU_DEP_1) | instskip(SKIP_4) | instid1(VALU_DEP_3)
	v_cmp_gt_i32_e32 vcc_lo, 0, v13
	v_cndmask_b32_e32 v13, v13, v42, vcc_lo
	s_waitcnt lgkmcnt(0)
	v_add_co_u32 v14, vcc_lo, v17, v21
	v_add_co_ci_u32_e32 v15, vcc_lo, v18, v22, vcc_lo
	v_lshlrev_b32_e32 v13, 2, v13
	ds_bpermute_b32 v19, v13, v14
	ds_bpermute_b32 v20, v13, v15
	ds_load_b64 v[13:14], v16 offset:24
	s_and_saveexec_b32 s0, s2
	s_cbranch_execz .LBB78_111
; %bb.110:
	s_add_u32 s10, s14, 0x200
	s_addc_u32 s11, s15, 0
	s_delay_alu instid0(SALU_CYCLE_1)
	v_dual_mov_b32 v15, 2 :: v_dual_mov_b32 v22, s11
	v_mov_b32_e32 v21, s10
	s_waitcnt lgkmcnt(0)
	;;#ASMSTART
	global_store_dwordx4 v[21:22], v[13:16] off	
s_waitcnt vmcnt(0)
	;;#ASMEND
.LBB78_111:
	s_or_b32 exec_lo, exec_lo, s0
	v_cmp_eq_u32_e32 vcc_lo, 0, v42
	s_waitcnt lgkmcnt(0)
	s_barrier
	buffer_gl0_inv
	v_dual_cndmask_b32 v15, v19, v17 :: v_dual_cndmask_b32 v16, v20, v18
	s_delay_alu instid0(VALU_DEP_1) | instskip(NEXT) | instid1(VALU_DEP_2)
	v_cndmask_b32_e64 v29, v15, 0, s2
	v_cndmask_b32_e64 v30, v16, 0, s2
	v_mov_b32_e32 v15, 0
	v_mov_b32_e32 v16, 0
	s_delay_alu instid0(VALU_DEP_4) | instskip(NEXT) | instid1(VALU_DEP_4)
	v_add_co_u32 v27, vcc_lo, v29, v41
	v_add_co_ci_u32_e32 v28, vcc_lo, 0, v30, vcc_lo
	s_delay_alu instid0(VALU_DEP_2) | instskip(NEXT) | instid1(VALU_DEP_2)
	v_add_co_u32 v25, vcc_lo, v27, v40
	v_add_co_ci_u32_e32 v26, vcc_lo, 0, v28, vcc_lo
	s_delay_alu instid0(VALU_DEP_2) | instskip(NEXT) | instid1(VALU_DEP_2)
	;; [unrolled: 3-line block ×4, first 2 shown]
	v_add_co_u32 v17, vcc_lo, v19, v37
	v_add_co_ci_u32_e32 v18, vcc_lo, 0, v20, vcc_lo
	v_cmp_gt_u64_e32 vcc_lo, 0x81, v[13:14]
	s_mov_b32 s0, -1
	s_cbranch_vccz .LBB78_85
.LBB78_112:
	v_add_co_u32 v21, vcc_lo, v15, v13
	v_add_co_ci_u32_e32 v22, vcc_lo, v16, v14, vcc_lo
	s_delay_alu instid0(VALU_DEP_1) | instskip(SKIP_1) | instid1(SALU_CYCLE_1)
	v_cmp_lt_u64_e32 vcc_lo, v[29:30], v[21:22]
	s_or_b32 s1, s8, vcc_lo
	s_and_saveexec_b32 s0, s1
	s_cbranch_execz .LBB78_115
; %bb.113:
	v_and_b32_e32 v37, 1, v36
	s_delay_alu instid0(VALU_DEP_1)
	v_cmp_eq_u32_e32 vcc_lo, 1, v37
	s_and_b32 exec_lo, exec_lo, vcc_lo
	s_cbranch_execz .LBB78_115
; %bb.114:
	v_lshlrev_b64 v[37:38], 3, v[29:30]
	s_lshl_b64 s[10:11], s[6:7], 3
	s_delay_alu instid0(SALU_CYCLE_1) | instskip(SKIP_1) | instid1(VALU_DEP_1)
	s_add_u32 s1, s12, s10
	s_addc_u32 s9, s13, s11
	v_add_co_u32 v37, vcc_lo, s1, v37
	s_delay_alu instid0(VALU_DEP_2)
	v_add_co_ci_u32_e32 v38, vcc_lo, s9, v38, vcc_lo
	global_store_b64 v[37:38], v[9:10], off
.LBB78_115:
	s_or_b32 exec_lo, exec_lo, s0
	v_cmp_lt_u64_e32 vcc_lo, v[27:28], v[21:22]
	s_or_b32 s1, s8, vcc_lo
	s_delay_alu instid0(SALU_CYCLE_1)
	s_and_saveexec_b32 s0, s1
	s_cbranch_execz .LBB78_118
; %bb.116:
	v_and_b32_e32 v30, 1, v34
	s_delay_alu instid0(VALU_DEP_1)
	v_cmp_eq_u32_e32 vcc_lo, 1, v30
	s_and_b32 exec_lo, exec_lo, vcc_lo
	s_cbranch_execz .LBB78_118
; %bb.117:
	v_lshlrev_b64 v[37:38], 3, v[27:28]
	s_lshl_b64 s[10:11], s[6:7], 3
	s_delay_alu instid0(SALU_CYCLE_1) | instskip(SKIP_1) | instid1(VALU_DEP_1)
	s_add_u32 s1, s12, s10
	s_addc_u32 s9, s13, s11
	v_add_co_u32 v37, vcc_lo, s1, v37
	s_delay_alu instid0(VALU_DEP_2)
	v_add_co_ci_u32_e32 v38, vcc_lo, s9, v38, vcc_lo
	global_store_b64 v[37:38], v[11:12], off
.LBB78_118:
	s_or_b32 exec_lo, exec_lo, s0
	v_cmp_lt_u64_e32 vcc_lo, v[25:26], v[21:22]
	s_or_b32 s1, s8, vcc_lo
	s_delay_alu instid0(SALU_CYCLE_1)
	;; [unrolled: 23-line block ×5, first 2 shown]
	s_and_saveexec_b32 s0, s1
	s_cbranch_execz .LBB78_130
; %bb.128:
	v_and_b32_e32 v20, 1, v32
	s_delay_alu instid0(VALU_DEP_1)
	v_cmp_eq_u32_e32 vcc_lo, 1, v20
	s_and_b32 exec_lo, exec_lo, vcc_lo
	s_cbranch_execz .LBB78_130
; %bb.129:
	v_lshlrev_b64 v[20:21], 3, v[17:18]
	s_lshl_b64 s[8:9], s[6:7], 3
	s_delay_alu instid0(SALU_CYCLE_1) | instskip(SKIP_1) | instid1(VALU_DEP_1)
	s_add_u32 s1, s12, s8
	s_addc_u32 s8, s13, s9
	v_add_co_u32 v20, vcc_lo, s1, v20
	s_delay_alu instid0(VALU_DEP_2)
	v_add_co_ci_u32_e32 v21, vcc_lo, s8, v21, vcc_lo
	global_store_b64 v[20:21], v[3:4], off
.LBB78_130:
	s_or_b32 exec_lo, exec_lo, s0
	s_branch .LBB78_86
.LBB78_131:
	v_and_b32_e32 v18, 1, v36
	s_mov_b32 s0, exec_lo
	s_delay_alu instid0(VALU_DEP_1)
	v_cmpx_eq_u32_e32 1, v18
	s_cbranch_execz .LBB78_133
; %bb.132:
	v_sub_nc_u32_e32 v18, v29, v15
	s_delay_alu instid0(VALU_DEP_1)
	v_lshlrev_b32_e32 v18, 3, v18
	ds_store_b64 v18, v[9:10]
.LBB78_133:
	s_or_b32 exec_lo, exec_lo, s0
	v_and_b32_e32 v9, 1, v34
	s_mov_b32 s0, exec_lo
	s_delay_alu instid0(VALU_DEP_1)
	v_cmpx_eq_u32_e32 1, v9
	s_cbranch_execz .LBB78_135
; %bb.134:
	v_sub_nc_u32_e32 v9, v27, v15
	s_delay_alu instid0(VALU_DEP_1)
	v_lshlrev_b32_e32 v9, 3, v9
	ds_store_b64 v9, v[11:12]
.LBB78_135:
	s_or_b32 exec_lo, exec_lo, s0
	;; [unrolled: 12-line block ×6, first 2 shown]
	v_mov_b32_e32 v1, 0
	s_mov_b32 s1, exec_lo
	s_waitcnt lgkmcnt(0)
	s_waitcnt_vscnt null, 0x0
	s_barrier
	buffer_gl0_inv
	v_cmpx_gt_u64_e64 v[13:14], v[0:1]
	s_cbranch_execz .LBB78_146
; %bb.144:
	v_lshlrev_b64 v[4:5], 3, v[15:16]
	s_lshl_b64 s[8:9], s[6:7], 3
	v_dual_mov_b32 v3, v1 :: v_dual_mov_b32 v2, v0
	v_or_b32_e32 v0, 0x80, v0
	s_delay_alu instid0(VALU_DEP_3) | instskip(NEXT) | instid1(VALU_DEP_4)
	v_add_co_u32 v4, vcc_lo, s12, v4
	v_add_co_ci_u32_e32 v5, vcc_lo, s13, v5, vcc_lo
	s_delay_alu instid0(VALU_DEP_2) | instskip(NEXT) | instid1(VALU_DEP_2)
	v_add_co_u32 v4, vcc_lo, v4, s8
	v_add_co_ci_u32_e32 v5, vcc_lo, s9, v5, vcc_lo
	s_mov_b32 s8, 0
	.p2align	6
.LBB78_145:                             ; =>This Inner Loop Header: Depth=1
	v_lshlrev_b32_e32 v6, 3, v2
	v_lshlrev_b64 v[8:9], 3, v[2:3]
	v_mov_b32_e32 v3, v1
	v_cmp_le_u64_e32 vcc_lo, v[13:14], v[0:1]
	v_mov_b32_e32 v2, v0
	ds_load_b64 v[6:7], v6
	v_add_nc_u32_e32 v0, 0x80, v0
	v_add_co_u32 v8, s0, v4, v8
	s_delay_alu instid0(VALU_DEP_1)
	v_add_co_ci_u32_e64 v9, s0, v5, v9, s0
	s_or_b32 s8, vcc_lo, s8
	s_waitcnt lgkmcnt(0)
	global_store_b64 v[8:9], v[6:7], off
	s_and_not1_b32 exec_lo, exec_lo, s8
	s_cbranch_execnz .LBB78_145
.LBB78_146:
	s_or_b32 exec_lo, exec_lo, s1
	s_and_b32 s0, s2, s3
	s_delay_alu instid0(SALU_CYCLE_1)
	s_and_saveexec_b32 s1, s0
	s_cbranch_execz .LBB78_87
.LBB78_147:
	v_add_co_u32 v0, vcc_lo, v15, v13
	v_add_co_ci_u32_e32 v1, vcc_lo, v16, v14, vcc_lo
	v_mov_b32_e32 v2, 0
	s_delay_alu instid0(VALU_DEP_3) | instskip(NEXT) | instid1(VALU_DEP_3)
	v_add_co_u32 v0, vcc_lo, v0, s6
	v_add_co_ci_u32_e32 v1, vcc_lo, s7, v1, vcc_lo
	global_store_b64 v2, v[0:1], s[4:5]
	s_nop 0
	s_sendmsg sendmsg(MSG_DEALLOC_VGPRS)
	s_endpgm
	.section	.rodata,"a",@progbits
	.p2align	6, 0x0
	.amdhsa_kernel _ZN7rocprim17ROCPRIM_400000_NS6detail17trampoline_kernelINS0_14default_configENS1_25partition_config_selectorILNS1_17partition_subalgoE5ElNS0_10empty_typeEbEEZZNS1_14partition_implILS5_5ELb0ES3_mN6hipcub16HIPCUB_304000_NS21CountingInputIteratorIllEEPS6_NSA_22TransformInputIteratorIb7NonZeroIaEPalEENS0_5tupleIJPlS6_EEENSJ_IJSD_SD_EEES6_SK_JS6_EEE10hipError_tPvRmT3_T4_T5_T6_T7_T9_mT8_P12ihipStream_tbDpT10_ENKUlT_T0_E_clISt17integral_constantIbLb0EES15_IbLb1EEEEDaS11_S12_EUlS11_E_NS1_11comp_targetILNS1_3genE9ELNS1_11target_archE1100ELNS1_3gpuE3ELNS1_3repE0EEENS1_30default_config_static_selectorELNS0_4arch9wavefront6targetE0EEEvT1_
		.amdhsa_group_segment_fixed_size 6160
		.amdhsa_private_segment_fixed_size 0
		.amdhsa_kernarg_size 136
		.amdhsa_user_sgpr_count 15
		.amdhsa_user_sgpr_dispatch_ptr 0
		.amdhsa_user_sgpr_queue_ptr 0
		.amdhsa_user_sgpr_kernarg_segment_ptr 1
		.amdhsa_user_sgpr_dispatch_id 0
		.amdhsa_user_sgpr_private_segment_size 0
		.amdhsa_wavefront_size32 1
		.amdhsa_uses_dynamic_stack 0
		.amdhsa_enable_private_segment 0
		.amdhsa_system_sgpr_workgroup_id_x 1
		.amdhsa_system_sgpr_workgroup_id_y 0
		.amdhsa_system_sgpr_workgroup_id_z 0
		.amdhsa_system_sgpr_workgroup_info 0
		.amdhsa_system_vgpr_workitem_id 0
		.amdhsa_next_free_vgpr 57
		.amdhsa_next_free_sgpr 23
		.amdhsa_reserve_vcc 1
		.amdhsa_float_round_mode_32 0
		.amdhsa_float_round_mode_16_64 0
		.amdhsa_float_denorm_mode_32 3
		.amdhsa_float_denorm_mode_16_64 3
		.amdhsa_dx10_clamp 1
		.amdhsa_ieee_mode 1
		.amdhsa_fp16_overflow 0
		.amdhsa_workgroup_processor_mode 1
		.amdhsa_memory_ordered 1
		.amdhsa_forward_progress 0
		.amdhsa_shared_vgpr_count 0
		.amdhsa_exception_fp_ieee_invalid_op 0
		.amdhsa_exception_fp_denorm_src 0
		.amdhsa_exception_fp_ieee_div_zero 0
		.amdhsa_exception_fp_ieee_overflow 0
		.amdhsa_exception_fp_ieee_underflow 0
		.amdhsa_exception_fp_ieee_inexact 0
		.amdhsa_exception_int_div_zero 0
	.end_amdhsa_kernel
	.section	.text._ZN7rocprim17ROCPRIM_400000_NS6detail17trampoline_kernelINS0_14default_configENS1_25partition_config_selectorILNS1_17partition_subalgoE5ElNS0_10empty_typeEbEEZZNS1_14partition_implILS5_5ELb0ES3_mN6hipcub16HIPCUB_304000_NS21CountingInputIteratorIllEEPS6_NSA_22TransformInputIteratorIb7NonZeroIaEPalEENS0_5tupleIJPlS6_EEENSJ_IJSD_SD_EEES6_SK_JS6_EEE10hipError_tPvRmT3_T4_T5_T6_T7_T9_mT8_P12ihipStream_tbDpT10_ENKUlT_T0_E_clISt17integral_constantIbLb0EES15_IbLb1EEEEDaS11_S12_EUlS11_E_NS1_11comp_targetILNS1_3genE9ELNS1_11target_archE1100ELNS1_3gpuE3ELNS1_3repE0EEENS1_30default_config_static_selectorELNS0_4arch9wavefront6targetE0EEEvT1_,"axG",@progbits,_ZN7rocprim17ROCPRIM_400000_NS6detail17trampoline_kernelINS0_14default_configENS1_25partition_config_selectorILNS1_17partition_subalgoE5ElNS0_10empty_typeEbEEZZNS1_14partition_implILS5_5ELb0ES3_mN6hipcub16HIPCUB_304000_NS21CountingInputIteratorIllEEPS6_NSA_22TransformInputIteratorIb7NonZeroIaEPalEENS0_5tupleIJPlS6_EEENSJ_IJSD_SD_EEES6_SK_JS6_EEE10hipError_tPvRmT3_T4_T5_T6_T7_T9_mT8_P12ihipStream_tbDpT10_ENKUlT_T0_E_clISt17integral_constantIbLb0EES15_IbLb1EEEEDaS11_S12_EUlS11_E_NS1_11comp_targetILNS1_3genE9ELNS1_11target_archE1100ELNS1_3gpuE3ELNS1_3repE0EEENS1_30default_config_static_selectorELNS0_4arch9wavefront6targetE0EEEvT1_,comdat
.Lfunc_end78:
	.size	_ZN7rocprim17ROCPRIM_400000_NS6detail17trampoline_kernelINS0_14default_configENS1_25partition_config_selectorILNS1_17partition_subalgoE5ElNS0_10empty_typeEbEEZZNS1_14partition_implILS5_5ELb0ES3_mN6hipcub16HIPCUB_304000_NS21CountingInputIteratorIllEEPS6_NSA_22TransformInputIteratorIb7NonZeroIaEPalEENS0_5tupleIJPlS6_EEENSJ_IJSD_SD_EEES6_SK_JS6_EEE10hipError_tPvRmT3_T4_T5_T6_T7_T9_mT8_P12ihipStream_tbDpT10_ENKUlT_T0_E_clISt17integral_constantIbLb0EES15_IbLb1EEEEDaS11_S12_EUlS11_E_NS1_11comp_targetILNS1_3genE9ELNS1_11target_archE1100ELNS1_3gpuE3ELNS1_3repE0EEENS1_30default_config_static_selectorELNS0_4arch9wavefront6targetE0EEEvT1_, .Lfunc_end78-_ZN7rocprim17ROCPRIM_400000_NS6detail17trampoline_kernelINS0_14default_configENS1_25partition_config_selectorILNS1_17partition_subalgoE5ElNS0_10empty_typeEbEEZZNS1_14partition_implILS5_5ELb0ES3_mN6hipcub16HIPCUB_304000_NS21CountingInputIteratorIllEEPS6_NSA_22TransformInputIteratorIb7NonZeroIaEPalEENS0_5tupleIJPlS6_EEENSJ_IJSD_SD_EEES6_SK_JS6_EEE10hipError_tPvRmT3_T4_T5_T6_T7_T9_mT8_P12ihipStream_tbDpT10_ENKUlT_T0_E_clISt17integral_constantIbLb0EES15_IbLb1EEEEDaS11_S12_EUlS11_E_NS1_11comp_targetILNS1_3genE9ELNS1_11target_archE1100ELNS1_3gpuE3ELNS1_3repE0EEENS1_30default_config_static_selectorELNS0_4arch9wavefront6targetE0EEEvT1_
                                        ; -- End function
	.section	.AMDGPU.csdata,"",@progbits
; Kernel info:
; codeLenInByte = 6468
; NumSgprs: 25
; NumVgprs: 57
; ScratchSize: 0
; MemoryBound: 0
; FloatMode: 240
; IeeeMode: 1
; LDSByteSize: 6160 bytes/workgroup (compile time only)
; SGPRBlocks: 3
; VGPRBlocks: 7
; NumSGPRsForWavesPerEU: 25
; NumVGPRsForWavesPerEU: 57
; Occupancy: 16
; WaveLimiterHint : 1
; COMPUTE_PGM_RSRC2:SCRATCH_EN: 0
; COMPUTE_PGM_RSRC2:USER_SGPR: 15
; COMPUTE_PGM_RSRC2:TRAP_HANDLER: 0
; COMPUTE_PGM_RSRC2:TGID_X_EN: 1
; COMPUTE_PGM_RSRC2:TGID_Y_EN: 0
; COMPUTE_PGM_RSRC2:TGID_Z_EN: 0
; COMPUTE_PGM_RSRC2:TIDIG_COMP_CNT: 0
	.section	.text._ZN7rocprim17ROCPRIM_400000_NS6detail17trampoline_kernelINS0_14default_configENS1_25partition_config_selectorILNS1_17partition_subalgoE5ElNS0_10empty_typeEbEEZZNS1_14partition_implILS5_5ELb0ES3_mN6hipcub16HIPCUB_304000_NS21CountingInputIteratorIllEEPS6_NSA_22TransformInputIteratorIb7NonZeroIaEPalEENS0_5tupleIJPlS6_EEENSJ_IJSD_SD_EEES6_SK_JS6_EEE10hipError_tPvRmT3_T4_T5_T6_T7_T9_mT8_P12ihipStream_tbDpT10_ENKUlT_T0_E_clISt17integral_constantIbLb0EES15_IbLb1EEEEDaS11_S12_EUlS11_E_NS1_11comp_targetILNS1_3genE8ELNS1_11target_archE1030ELNS1_3gpuE2ELNS1_3repE0EEENS1_30default_config_static_selectorELNS0_4arch9wavefront6targetE0EEEvT1_,"axG",@progbits,_ZN7rocprim17ROCPRIM_400000_NS6detail17trampoline_kernelINS0_14default_configENS1_25partition_config_selectorILNS1_17partition_subalgoE5ElNS0_10empty_typeEbEEZZNS1_14partition_implILS5_5ELb0ES3_mN6hipcub16HIPCUB_304000_NS21CountingInputIteratorIllEEPS6_NSA_22TransformInputIteratorIb7NonZeroIaEPalEENS0_5tupleIJPlS6_EEENSJ_IJSD_SD_EEES6_SK_JS6_EEE10hipError_tPvRmT3_T4_T5_T6_T7_T9_mT8_P12ihipStream_tbDpT10_ENKUlT_T0_E_clISt17integral_constantIbLb0EES15_IbLb1EEEEDaS11_S12_EUlS11_E_NS1_11comp_targetILNS1_3genE8ELNS1_11target_archE1030ELNS1_3gpuE2ELNS1_3repE0EEENS1_30default_config_static_selectorELNS0_4arch9wavefront6targetE0EEEvT1_,comdat
	.protected	_ZN7rocprim17ROCPRIM_400000_NS6detail17trampoline_kernelINS0_14default_configENS1_25partition_config_selectorILNS1_17partition_subalgoE5ElNS0_10empty_typeEbEEZZNS1_14partition_implILS5_5ELb0ES3_mN6hipcub16HIPCUB_304000_NS21CountingInputIteratorIllEEPS6_NSA_22TransformInputIteratorIb7NonZeroIaEPalEENS0_5tupleIJPlS6_EEENSJ_IJSD_SD_EEES6_SK_JS6_EEE10hipError_tPvRmT3_T4_T5_T6_T7_T9_mT8_P12ihipStream_tbDpT10_ENKUlT_T0_E_clISt17integral_constantIbLb0EES15_IbLb1EEEEDaS11_S12_EUlS11_E_NS1_11comp_targetILNS1_3genE8ELNS1_11target_archE1030ELNS1_3gpuE2ELNS1_3repE0EEENS1_30default_config_static_selectorELNS0_4arch9wavefront6targetE0EEEvT1_ ; -- Begin function _ZN7rocprim17ROCPRIM_400000_NS6detail17trampoline_kernelINS0_14default_configENS1_25partition_config_selectorILNS1_17partition_subalgoE5ElNS0_10empty_typeEbEEZZNS1_14partition_implILS5_5ELb0ES3_mN6hipcub16HIPCUB_304000_NS21CountingInputIteratorIllEEPS6_NSA_22TransformInputIteratorIb7NonZeroIaEPalEENS0_5tupleIJPlS6_EEENSJ_IJSD_SD_EEES6_SK_JS6_EEE10hipError_tPvRmT3_T4_T5_T6_T7_T9_mT8_P12ihipStream_tbDpT10_ENKUlT_T0_E_clISt17integral_constantIbLb0EES15_IbLb1EEEEDaS11_S12_EUlS11_E_NS1_11comp_targetILNS1_3genE8ELNS1_11target_archE1030ELNS1_3gpuE2ELNS1_3repE0EEENS1_30default_config_static_selectorELNS0_4arch9wavefront6targetE0EEEvT1_
	.globl	_ZN7rocprim17ROCPRIM_400000_NS6detail17trampoline_kernelINS0_14default_configENS1_25partition_config_selectorILNS1_17partition_subalgoE5ElNS0_10empty_typeEbEEZZNS1_14partition_implILS5_5ELb0ES3_mN6hipcub16HIPCUB_304000_NS21CountingInputIteratorIllEEPS6_NSA_22TransformInputIteratorIb7NonZeroIaEPalEENS0_5tupleIJPlS6_EEENSJ_IJSD_SD_EEES6_SK_JS6_EEE10hipError_tPvRmT3_T4_T5_T6_T7_T9_mT8_P12ihipStream_tbDpT10_ENKUlT_T0_E_clISt17integral_constantIbLb0EES15_IbLb1EEEEDaS11_S12_EUlS11_E_NS1_11comp_targetILNS1_3genE8ELNS1_11target_archE1030ELNS1_3gpuE2ELNS1_3repE0EEENS1_30default_config_static_selectorELNS0_4arch9wavefront6targetE0EEEvT1_
	.p2align	8
	.type	_ZN7rocprim17ROCPRIM_400000_NS6detail17trampoline_kernelINS0_14default_configENS1_25partition_config_selectorILNS1_17partition_subalgoE5ElNS0_10empty_typeEbEEZZNS1_14partition_implILS5_5ELb0ES3_mN6hipcub16HIPCUB_304000_NS21CountingInputIteratorIllEEPS6_NSA_22TransformInputIteratorIb7NonZeroIaEPalEENS0_5tupleIJPlS6_EEENSJ_IJSD_SD_EEES6_SK_JS6_EEE10hipError_tPvRmT3_T4_T5_T6_T7_T9_mT8_P12ihipStream_tbDpT10_ENKUlT_T0_E_clISt17integral_constantIbLb0EES15_IbLb1EEEEDaS11_S12_EUlS11_E_NS1_11comp_targetILNS1_3genE8ELNS1_11target_archE1030ELNS1_3gpuE2ELNS1_3repE0EEENS1_30default_config_static_selectorELNS0_4arch9wavefront6targetE0EEEvT1_,@function
_ZN7rocprim17ROCPRIM_400000_NS6detail17trampoline_kernelINS0_14default_configENS1_25partition_config_selectorILNS1_17partition_subalgoE5ElNS0_10empty_typeEbEEZZNS1_14partition_implILS5_5ELb0ES3_mN6hipcub16HIPCUB_304000_NS21CountingInputIteratorIllEEPS6_NSA_22TransformInputIteratorIb7NonZeroIaEPalEENS0_5tupleIJPlS6_EEENSJ_IJSD_SD_EEES6_SK_JS6_EEE10hipError_tPvRmT3_T4_T5_T6_T7_T9_mT8_P12ihipStream_tbDpT10_ENKUlT_T0_E_clISt17integral_constantIbLb0EES15_IbLb1EEEEDaS11_S12_EUlS11_E_NS1_11comp_targetILNS1_3genE8ELNS1_11target_archE1030ELNS1_3gpuE2ELNS1_3repE0EEENS1_30default_config_static_selectorELNS0_4arch9wavefront6targetE0EEEvT1_: ; @_ZN7rocprim17ROCPRIM_400000_NS6detail17trampoline_kernelINS0_14default_configENS1_25partition_config_selectorILNS1_17partition_subalgoE5ElNS0_10empty_typeEbEEZZNS1_14partition_implILS5_5ELb0ES3_mN6hipcub16HIPCUB_304000_NS21CountingInputIteratorIllEEPS6_NSA_22TransformInputIteratorIb7NonZeroIaEPalEENS0_5tupleIJPlS6_EEENSJ_IJSD_SD_EEES6_SK_JS6_EEE10hipError_tPvRmT3_T4_T5_T6_T7_T9_mT8_P12ihipStream_tbDpT10_ENKUlT_T0_E_clISt17integral_constantIbLb0EES15_IbLb1EEEEDaS11_S12_EUlS11_E_NS1_11comp_targetILNS1_3genE8ELNS1_11target_archE1030ELNS1_3gpuE2ELNS1_3repE0EEENS1_30default_config_static_selectorELNS0_4arch9wavefront6targetE0EEEvT1_
; %bb.0:
	.section	.rodata,"a",@progbits
	.p2align	6, 0x0
	.amdhsa_kernel _ZN7rocprim17ROCPRIM_400000_NS6detail17trampoline_kernelINS0_14default_configENS1_25partition_config_selectorILNS1_17partition_subalgoE5ElNS0_10empty_typeEbEEZZNS1_14partition_implILS5_5ELb0ES3_mN6hipcub16HIPCUB_304000_NS21CountingInputIteratorIllEEPS6_NSA_22TransformInputIteratorIb7NonZeroIaEPalEENS0_5tupleIJPlS6_EEENSJ_IJSD_SD_EEES6_SK_JS6_EEE10hipError_tPvRmT3_T4_T5_T6_T7_T9_mT8_P12ihipStream_tbDpT10_ENKUlT_T0_E_clISt17integral_constantIbLb0EES15_IbLb1EEEEDaS11_S12_EUlS11_E_NS1_11comp_targetILNS1_3genE8ELNS1_11target_archE1030ELNS1_3gpuE2ELNS1_3repE0EEENS1_30default_config_static_selectorELNS0_4arch9wavefront6targetE0EEEvT1_
		.amdhsa_group_segment_fixed_size 0
		.amdhsa_private_segment_fixed_size 0
		.amdhsa_kernarg_size 136
		.amdhsa_user_sgpr_count 15
		.amdhsa_user_sgpr_dispatch_ptr 0
		.amdhsa_user_sgpr_queue_ptr 0
		.amdhsa_user_sgpr_kernarg_segment_ptr 1
		.amdhsa_user_sgpr_dispatch_id 0
		.amdhsa_user_sgpr_private_segment_size 0
		.amdhsa_wavefront_size32 1
		.amdhsa_uses_dynamic_stack 0
		.amdhsa_enable_private_segment 0
		.amdhsa_system_sgpr_workgroup_id_x 1
		.amdhsa_system_sgpr_workgroup_id_y 0
		.amdhsa_system_sgpr_workgroup_id_z 0
		.amdhsa_system_sgpr_workgroup_info 0
		.amdhsa_system_vgpr_workitem_id 0
		.amdhsa_next_free_vgpr 1
		.amdhsa_next_free_sgpr 1
		.amdhsa_reserve_vcc 0
		.amdhsa_float_round_mode_32 0
		.amdhsa_float_round_mode_16_64 0
		.amdhsa_float_denorm_mode_32 3
		.amdhsa_float_denorm_mode_16_64 3
		.amdhsa_dx10_clamp 1
		.amdhsa_ieee_mode 1
		.amdhsa_fp16_overflow 0
		.amdhsa_workgroup_processor_mode 1
		.amdhsa_memory_ordered 1
		.amdhsa_forward_progress 0
		.amdhsa_shared_vgpr_count 0
		.amdhsa_exception_fp_ieee_invalid_op 0
		.amdhsa_exception_fp_denorm_src 0
		.amdhsa_exception_fp_ieee_div_zero 0
		.amdhsa_exception_fp_ieee_overflow 0
		.amdhsa_exception_fp_ieee_underflow 0
		.amdhsa_exception_fp_ieee_inexact 0
		.amdhsa_exception_int_div_zero 0
	.end_amdhsa_kernel
	.section	.text._ZN7rocprim17ROCPRIM_400000_NS6detail17trampoline_kernelINS0_14default_configENS1_25partition_config_selectorILNS1_17partition_subalgoE5ElNS0_10empty_typeEbEEZZNS1_14partition_implILS5_5ELb0ES3_mN6hipcub16HIPCUB_304000_NS21CountingInputIteratorIllEEPS6_NSA_22TransformInputIteratorIb7NonZeroIaEPalEENS0_5tupleIJPlS6_EEENSJ_IJSD_SD_EEES6_SK_JS6_EEE10hipError_tPvRmT3_T4_T5_T6_T7_T9_mT8_P12ihipStream_tbDpT10_ENKUlT_T0_E_clISt17integral_constantIbLb0EES15_IbLb1EEEEDaS11_S12_EUlS11_E_NS1_11comp_targetILNS1_3genE8ELNS1_11target_archE1030ELNS1_3gpuE2ELNS1_3repE0EEENS1_30default_config_static_selectorELNS0_4arch9wavefront6targetE0EEEvT1_,"axG",@progbits,_ZN7rocprim17ROCPRIM_400000_NS6detail17trampoline_kernelINS0_14default_configENS1_25partition_config_selectorILNS1_17partition_subalgoE5ElNS0_10empty_typeEbEEZZNS1_14partition_implILS5_5ELb0ES3_mN6hipcub16HIPCUB_304000_NS21CountingInputIteratorIllEEPS6_NSA_22TransformInputIteratorIb7NonZeroIaEPalEENS0_5tupleIJPlS6_EEENSJ_IJSD_SD_EEES6_SK_JS6_EEE10hipError_tPvRmT3_T4_T5_T6_T7_T9_mT8_P12ihipStream_tbDpT10_ENKUlT_T0_E_clISt17integral_constantIbLb0EES15_IbLb1EEEEDaS11_S12_EUlS11_E_NS1_11comp_targetILNS1_3genE8ELNS1_11target_archE1030ELNS1_3gpuE2ELNS1_3repE0EEENS1_30default_config_static_selectorELNS0_4arch9wavefront6targetE0EEEvT1_,comdat
.Lfunc_end79:
	.size	_ZN7rocprim17ROCPRIM_400000_NS6detail17trampoline_kernelINS0_14default_configENS1_25partition_config_selectorILNS1_17partition_subalgoE5ElNS0_10empty_typeEbEEZZNS1_14partition_implILS5_5ELb0ES3_mN6hipcub16HIPCUB_304000_NS21CountingInputIteratorIllEEPS6_NSA_22TransformInputIteratorIb7NonZeroIaEPalEENS0_5tupleIJPlS6_EEENSJ_IJSD_SD_EEES6_SK_JS6_EEE10hipError_tPvRmT3_T4_T5_T6_T7_T9_mT8_P12ihipStream_tbDpT10_ENKUlT_T0_E_clISt17integral_constantIbLb0EES15_IbLb1EEEEDaS11_S12_EUlS11_E_NS1_11comp_targetILNS1_3genE8ELNS1_11target_archE1030ELNS1_3gpuE2ELNS1_3repE0EEENS1_30default_config_static_selectorELNS0_4arch9wavefront6targetE0EEEvT1_, .Lfunc_end79-_ZN7rocprim17ROCPRIM_400000_NS6detail17trampoline_kernelINS0_14default_configENS1_25partition_config_selectorILNS1_17partition_subalgoE5ElNS0_10empty_typeEbEEZZNS1_14partition_implILS5_5ELb0ES3_mN6hipcub16HIPCUB_304000_NS21CountingInputIteratorIllEEPS6_NSA_22TransformInputIteratorIb7NonZeroIaEPalEENS0_5tupleIJPlS6_EEENSJ_IJSD_SD_EEES6_SK_JS6_EEE10hipError_tPvRmT3_T4_T5_T6_T7_T9_mT8_P12ihipStream_tbDpT10_ENKUlT_T0_E_clISt17integral_constantIbLb0EES15_IbLb1EEEEDaS11_S12_EUlS11_E_NS1_11comp_targetILNS1_3genE8ELNS1_11target_archE1030ELNS1_3gpuE2ELNS1_3repE0EEENS1_30default_config_static_selectorELNS0_4arch9wavefront6targetE0EEEvT1_
                                        ; -- End function
	.section	.AMDGPU.csdata,"",@progbits
; Kernel info:
; codeLenInByte = 0
; NumSgprs: 0
; NumVgprs: 0
; ScratchSize: 0
; MemoryBound: 0
; FloatMode: 240
; IeeeMode: 1
; LDSByteSize: 0 bytes/workgroup (compile time only)
; SGPRBlocks: 0
; VGPRBlocks: 0
; NumSGPRsForWavesPerEU: 1
; NumVGPRsForWavesPerEU: 1
; Occupancy: 16
; WaveLimiterHint : 0
; COMPUTE_PGM_RSRC2:SCRATCH_EN: 0
; COMPUTE_PGM_RSRC2:USER_SGPR: 15
; COMPUTE_PGM_RSRC2:TRAP_HANDLER: 0
; COMPUTE_PGM_RSRC2:TGID_X_EN: 1
; COMPUTE_PGM_RSRC2:TGID_Y_EN: 0
; COMPUTE_PGM_RSRC2:TGID_Z_EN: 0
; COMPUTE_PGM_RSRC2:TIDIG_COMP_CNT: 0
	.section	.text._Z13write_indicesIlEvPl10TensorDimsIT_EiS2_,"axG",@progbits,_Z13write_indicesIlEvPl10TensorDimsIT_EiS2_,comdat
	.protected	_Z13write_indicesIlEvPl10TensorDimsIT_EiS2_ ; -- Begin function _Z13write_indicesIlEvPl10TensorDimsIT_EiS2_
	.globl	_Z13write_indicesIlEvPl10TensorDimsIT_EiS2_
	.p2align	8
	.type	_Z13write_indicesIlEvPl10TensorDimsIT_EiS2_,@function
_Z13write_indicesIlEvPl10TensorDimsIT_EiS2_: ; @_Z13write_indicesIlEvPl10TensorDimsIT_EiS2_
; %bb.0:
	s_clause 0x1
	s_load_b32 s2, s[0:1], 0x34
	s_load_b64 s[6:7], s[0:1], 0x20
	s_waitcnt lgkmcnt(0)
	s_and_b32 s2, s2, 0xffff
	s_delay_alu instid0(SALU_CYCLE_1) | instskip(SKIP_2) | instid1(VALU_DEP_1)
	v_mad_u64_u32 v[1:2], null, s15, s2, v[0:1]
	v_mov_b32_e32 v2, 0
	s_mov_b32 s2, exec_lo
	v_cmpx_gt_i64_e64 s[6:7], v[1:2]
	s_cbranch_execz .LBB80_4
; %bb.1:
	s_clause 0x1
	s_load_b64 s[4:5], s[0:1], 0x0
	s_load_b32 s3, s[0:1], 0x18
	v_lshlrev_b64 v[0:1], 3, v[1:2]
	s_waitcnt lgkmcnt(0)
	s_delay_alu instid0(VALU_DEP_1) | instskip(NEXT) | instid1(VALU_DEP_2)
	v_add_co_u32 v0, vcc_lo, s4, v0
	v_add_co_ci_u32_e32 v1, vcc_lo, s5, v1, vcc_lo
	s_cmp_lt_i32 s3, 3
	s_mov_b64 s[4:5], 1
	global_load_b64 v[2:3], v[0:1], off
	s_cbranch_scc0 .LBB80_5
; %bb.2:
	s_cmp_lt_i32 s3, 2
	s_cbranch_scc0 .LBB80_10
.LBB80_3:
	s_cmp_lt_i32 s3, 1
	s_cbranch_scc0 .LBB80_19
.LBB80_4:
	s_nop 0
	s_sendmsg sendmsg(MSG_DEALLOC_VGPRS)
	s_endpgm
.LBB80_5:
	s_load_b64 s[4:5], s[0:1], 0x18
	v_mov_b32_e32 v4, 0
	s_waitcnt vmcnt(0) lgkmcnt(0)
	v_or_b32_e32 v5, s5, v3
	s_delay_alu instid0(VALU_DEP_1) | instskip(SKIP_1) | instid1(SALU_CYCLE_1)
	v_cmp_ne_u64_e32 vcc_lo, 0, v[4:5]
                                        ; implicit-def: $vgpr4_vgpr5
	s_and_saveexec_b32 s2, vcc_lo
	s_xor_b32 s10, exec_lo, s2
	s_cbranch_execz .LBB80_7
; %bb.6:
	s_ashr_i32 s8, s5, 31
	s_delay_alu instid0(SALU_CYCLE_1) | instskip(SKIP_2) | instid1(SALU_CYCLE_1)
	s_add_u32 s12, s4, s8
	s_mov_b32 s9, s8
	s_addc_u32 s13, s5, s8
	s_xor_b64 s[8:9], s[12:13], s[8:9]
	s_delay_alu instid0(SALU_CYCLE_1) | instskip(SKIP_3) | instid1(VALU_DEP_1)
	v_cvt_f32_u32_e32 v4, s8
	v_cvt_f32_u32_e32 v5, s9
	s_sub_u32 s2, 0, s8
	s_subb_u32 s11, 0, s9
	v_fmamk_f32 v4, v5, 0x4f800000, v4
	s_delay_alu instid0(VALU_DEP_1) | instskip(SKIP_2) | instid1(VALU_DEP_1)
	v_rcp_f32_e32 v4, v4
	s_waitcnt_depctr 0xfff
	v_mul_f32_e32 v4, 0x5f7ffffc, v4
	v_mul_f32_e32 v5, 0x2f800000, v4
	s_delay_alu instid0(VALU_DEP_1) | instskip(NEXT) | instid1(VALU_DEP_1)
	v_trunc_f32_e32 v5, v5
	v_fmamk_f32 v4, v5, 0xcf800000, v4
	v_cvt_u32_f32_e32 v5, v5
	s_delay_alu instid0(VALU_DEP_2) | instskip(NEXT) | instid1(VALU_DEP_2)
	v_cvt_u32_f32_e32 v4, v4
	v_mul_lo_u32 v6, s2, v5
	s_delay_alu instid0(VALU_DEP_2) | instskip(SKIP_1) | instid1(VALU_DEP_2)
	v_mul_hi_u32 v7, s2, v4
	v_mul_lo_u32 v8, s11, v4
	v_add_nc_u32_e32 v6, v7, v6
	v_mul_lo_u32 v7, s2, v4
	s_delay_alu instid0(VALU_DEP_2) | instskip(NEXT) | instid1(VALU_DEP_2)
	v_add_nc_u32_e32 v6, v6, v8
	v_mul_hi_u32 v8, v4, v7
	s_delay_alu instid0(VALU_DEP_2)
	v_mul_lo_u32 v9, v4, v6
	v_mul_hi_u32 v10, v4, v6
	v_mul_hi_u32 v11, v5, v7
	v_mul_lo_u32 v7, v5, v7
	v_mul_hi_u32 v12, v5, v6
	v_mul_lo_u32 v6, v5, v6
	v_add_co_u32 v8, vcc_lo, v8, v9
	v_add_co_ci_u32_e32 v9, vcc_lo, 0, v10, vcc_lo
	s_delay_alu instid0(VALU_DEP_2) | instskip(NEXT) | instid1(VALU_DEP_2)
	v_add_co_u32 v7, vcc_lo, v8, v7
	v_add_co_ci_u32_e32 v7, vcc_lo, v9, v11, vcc_lo
	v_add_co_ci_u32_e32 v8, vcc_lo, 0, v12, vcc_lo
	v_ashrrev_i32_e32 v11, 31, v3
	s_delay_alu instid0(VALU_DEP_3) | instskip(NEXT) | instid1(VALU_DEP_3)
	v_add_co_u32 v6, vcc_lo, v7, v6
	v_add_co_ci_u32_e32 v7, vcc_lo, 0, v8, vcc_lo
	s_delay_alu instid0(VALU_DEP_2) | instskip(NEXT) | instid1(VALU_DEP_2)
	v_add_co_u32 v4, vcc_lo, v4, v6
	v_add_co_ci_u32_e32 v5, vcc_lo, v5, v7, vcc_lo
	s_delay_alu instid0(VALU_DEP_2) | instskip(SKIP_1) | instid1(VALU_DEP_3)
	v_mul_hi_u32 v6, s2, v4
	v_mul_lo_u32 v8, s11, v4
	v_mul_lo_u32 v7, s2, v5
	s_delay_alu instid0(VALU_DEP_1) | instskip(SKIP_1) | instid1(VALU_DEP_2)
	v_add_nc_u32_e32 v6, v6, v7
	v_mul_lo_u32 v7, s2, v4
	v_add_nc_u32_e32 v6, v6, v8
	s_delay_alu instid0(VALU_DEP_2) | instskip(NEXT) | instid1(VALU_DEP_2)
	v_mul_hi_u32 v8, v4, v7
	v_mul_lo_u32 v9, v4, v6
	v_mul_hi_u32 v10, v4, v6
	v_mul_hi_u32 v12, v5, v7
	v_mul_lo_u32 v7, v5, v7
	v_mul_hi_u32 v13, v5, v6
	v_mul_lo_u32 v6, v5, v6
	v_add_co_u32 v8, vcc_lo, v8, v9
	v_add_co_ci_u32_e32 v9, vcc_lo, 0, v10, vcc_lo
	s_delay_alu instid0(VALU_DEP_2) | instskip(NEXT) | instid1(VALU_DEP_2)
	v_add_co_u32 v7, vcc_lo, v8, v7
	v_add_co_ci_u32_e32 v7, vcc_lo, v9, v12, vcc_lo
	v_add_co_ci_u32_e32 v8, vcc_lo, 0, v13, vcc_lo
	v_add_co_u32 v9, vcc_lo, v2, v11
	v_add_co_ci_u32_e32 v10, vcc_lo, v3, v11, vcc_lo
	s_delay_alu instid0(VALU_DEP_4) | instskip(NEXT) | instid1(VALU_DEP_4)
	v_add_co_u32 v6, vcc_lo, v7, v6
	v_add_co_ci_u32_e32 v7, vcc_lo, 0, v8, vcc_lo
	s_delay_alu instid0(VALU_DEP_4) | instskip(NEXT) | instid1(VALU_DEP_3)
	v_xor_b32_e32 v12, v9, v11
	v_add_co_u32 v8, vcc_lo, v4, v6
	s_delay_alu instid0(VALU_DEP_3) | instskip(SKIP_1) | instid1(VALU_DEP_3)
	v_add_co_ci_u32_e32 v13, vcc_lo, v5, v7, vcc_lo
	v_xor_b32_e32 v10, v10, v11
	v_mul_hi_u32 v14, v12, v8
	s_delay_alu instid0(VALU_DEP_3) | instskip(NEXT) | instid1(VALU_DEP_3)
	v_mad_u64_u32 v[4:5], null, v12, v13, 0
	v_mad_u64_u32 v[6:7], null, v10, v8, 0
	;; [unrolled: 1-line block ×3, first 2 shown]
	s_delay_alu instid0(VALU_DEP_3) | instskip(NEXT) | instid1(VALU_DEP_4)
	v_add_co_u32 v4, vcc_lo, v14, v4
	v_add_co_ci_u32_e32 v5, vcc_lo, 0, v5, vcc_lo
	s_delay_alu instid0(VALU_DEP_2) | instskip(NEXT) | instid1(VALU_DEP_2)
	v_add_co_u32 v4, vcc_lo, v4, v6
	v_add_co_ci_u32_e32 v4, vcc_lo, v5, v7, vcc_lo
	v_add_co_ci_u32_e32 v5, vcc_lo, 0, v9, vcc_lo
	s_delay_alu instid0(VALU_DEP_2) | instskip(NEXT) | instid1(VALU_DEP_2)
	v_add_co_u32 v6, vcc_lo, v4, v8
	v_add_co_ci_u32_e32 v7, vcc_lo, 0, v5, vcc_lo
	s_delay_alu instid0(VALU_DEP_2) | instskip(SKIP_1) | instid1(VALU_DEP_3)
	v_mul_lo_u32 v8, s9, v6
	v_mad_u64_u32 v[4:5], null, s8, v6, 0
	v_mul_lo_u32 v6, s8, v7
	s_delay_alu instid0(VALU_DEP_2) | instskip(NEXT) | instid1(VALU_DEP_2)
	v_sub_co_u32 v4, vcc_lo, v12, v4
	v_add3_u32 v5, v5, v6, v8
	s_delay_alu instid0(VALU_DEP_1) | instskip(NEXT) | instid1(VALU_DEP_1)
	v_sub_nc_u32_e32 v6, v10, v5
	v_subrev_co_ci_u32_e64 v6, s2, s9, v6, vcc_lo
	v_sub_co_ci_u32_e32 v5, vcc_lo, v10, v5, vcc_lo
	v_sub_co_u32 v7, vcc_lo, v4, s8
	s_delay_alu instid0(VALU_DEP_1) | instskip(SKIP_3) | instid1(VALU_DEP_3)
	v_subrev_co_ci_u32_e64 v8, s2, 0, v6, vcc_lo
	v_cmp_le_u32_e64 s2, s8, v4
	v_subrev_co_ci_u32_e32 v6, vcc_lo, s9, v6, vcc_lo
	v_cmp_le_u32_e32 vcc_lo, s9, v5
	v_cndmask_b32_e64 v9, 0, -1, s2
	v_cmp_le_u32_e64 s2, s8, v7
	v_cndmask_b32_e64 v13, 0, -1, vcc_lo
	v_cmp_eq_u32_e32 vcc_lo, s9, v8
	s_delay_alu instid0(VALU_DEP_3) | instskip(SKIP_1) | instid1(VALU_DEP_1)
	v_cndmask_b32_e64 v10, 0, -1, s2
	v_cmp_le_u32_e64 s2, s9, v8
	v_cndmask_b32_e64 v12, 0, -1, s2
	v_cmp_eq_u32_e64 s2, s9, v5
	s_delay_alu instid0(VALU_DEP_2) | instskip(SKIP_2) | instid1(VALU_DEP_3)
	v_cndmask_b32_e32 v10, v12, v10, vcc_lo
	v_sub_co_u32 v12, vcc_lo, v7, s8
	v_subrev_co_ci_u32_e32 v6, vcc_lo, 0, v6, vcc_lo
	v_cmp_ne_u32_e32 vcc_lo, 0, v10
	v_cndmask_b32_e64 v9, v13, v9, s2
	s_delay_alu instid0(VALU_DEP_3) | instskip(NEXT) | instid1(VALU_DEP_2)
	v_dual_cndmask_b32 v6, v8, v6 :: v_dual_cndmask_b32 v7, v7, v12
	v_cmp_ne_u32_e32 vcc_lo, 0, v9
	s_delay_alu instid0(VALU_DEP_2) | instskip(NEXT) | instid1(VALU_DEP_1)
	v_dual_cndmask_b32 v4, v4, v7 :: v_dual_cndmask_b32 v5, v5, v6
	v_xor_b32_e32 v4, v4, v11
	s_delay_alu instid0(VALU_DEP_2) | instskip(NEXT) | instid1(VALU_DEP_2)
	v_xor_b32_e32 v5, v5, v11
	v_sub_co_u32 v4, vcc_lo, v4, v11
	s_delay_alu instid0(VALU_DEP_2)
	v_sub_co_ci_u32_e32 v5, vcc_lo, v5, v11, vcc_lo
.LBB80_7:
	s_and_not1_saveexec_b32 s2, s10
	s_cbranch_execz .LBB80_9
; %bb.8:
	v_cvt_f32_u32_e32 v4, s4
	s_sub_i32 s8, 0, s4
	s_delay_alu instid0(VALU_DEP_1) | instskip(SKIP_2) | instid1(VALU_DEP_1)
	v_rcp_iflag_f32_e32 v4, v4
	s_waitcnt_depctr 0xfff
	v_mul_f32_e32 v4, 0x4f7ffffe, v4
	v_cvt_u32_f32_e32 v4, v4
	s_delay_alu instid0(VALU_DEP_1) | instskip(NEXT) | instid1(VALU_DEP_1)
	v_mul_lo_u32 v5, s8, v4
	v_mul_hi_u32 v5, v4, v5
	s_delay_alu instid0(VALU_DEP_1) | instskip(NEXT) | instid1(VALU_DEP_1)
	v_add_nc_u32_e32 v4, v4, v5
	v_mul_hi_u32 v4, v2, v4
	s_delay_alu instid0(VALU_DEP_1) | instskip(NEXT) | instid1(VALU_DEP_1)
	v_mul_lo_u32 v4, v4, s4
	v_sub_nc_u32_e32 v4, v2, v4
	s_delay_alu instid0(VALU_DEP_1) | instskip(SKIP_1) | instid1(VALU_DEP_2)
	v_subrev_nc_u32_e32 v5, s4, v4
	v_cmp_le_u32_e32 vcc_lo, s4, v4
	v_cndmask_b32_e32 v4, v4, v5, vcc_lo
	s_delay_alu instid0(VALU_DEP_1) | instskip(SKIP_1) | instid1(VALU_DEP_2)
	v_subrev_nc_u32_e32 v5, s4, v4
	v_cmp_le_u32_e32 vcc_lo, s4, v4
	v_dual_cndmask_b32 v4, v4, v5 :: v_dual_mov_b32 v5, 0
.LBB80_9:
	s_or_b32 exec_lo, exec_lo, s2
	s_lshl_b64 s[8:9], s[6:7], 4
	s_delay_alu instid0(SALU_CYCLE_1)
	v_add_co_u32 v6, vcc_lo, v0, s8
	v_add_co_ci_u32_e32 v7, vcc_lo, s9, v1, vcc_lo
	global_store_b64 v[6:7], v[4:5], off
	s_cmp_lt_i32 s3, 2
	s_cbranch_scc1 .LBB80_3
.LBB80_10:
	s_load_b64 s[8:9], s[0:1], 0x10
	s_waitcnt vmcnt(0)
	v_or_b32_e32 v5, s5, v3
	v_mov_b32_e32 v4, 0
	s_delay_alu instid0(VALU_DEP_1) | instskip(SKIP_1) | instid1(SALU_CYCLE_1)
	v_cmp_ne_u64_e32 vcc_lo, 0, v[4:5]
                                        ; implicit-def: $vgpr4_vgpr5
	s_and_saveexec_b32 s2, vcc_lo
	s_xor_b32 s14, exec_lo, s2
	s_cbranch_execz .LBB80_12
; %bb.11:
	s_ashr_i32 s10, s5, 31
	s_delay_alu instid0(SALU_CYCLE_1) | instskip(SKIP_2) | instid1(SALU_CYCLE_1)
	s_add_u32 s12, s4, s10
	s_mov_b32 s11, s10
	s_addc_u32 s13, s5, s10
	s_xor_b64 s[12:13], s[12:13], s[10:11]
	s_delay_alu instid0(SALU_CYCLE_1) | instskip(SKIP_3) | instid1(VALU_DEP_1)
	v_cvt_f32_u32_e32 v4, s12
	v_cvt_f32_u32_e32 v5, s13
	s_sub_u32 s2, 0, s12
	s_subb_u32 s11, 0, s13
	v_fmamk_f32 v4, v5, 0x4f800000, v4
	s_delay_alu instid0(VALU_DEP_1) | instskip(SKIP_2) | instid1(VALU_DEP_1)
	v_rcp_f32_e32 v4, v4
	s_waitcnt_depctr 0xfff
	v_mul_f32_e32 v4, 0x5f7ffffc, v4
	v_mul_f32_e32 v5, 0x2f800000, v4
	s_delay_alu instid0(VALU_DEP_1) | instskip(NEXT) | instid1(VALU_DEP_1)
	v_trunc_f32_e32 v5, v5
	v_fmamk_f32 v4, v5, 0xcf800000, v4
	v_cvt_u32_f32_e32 v5, v5
	s_delay_alu instid0(VALU_DEP_2) | instskip(NEXT) | instid1(VALU_DEP_2)
	v_cvt_u32_f32_e32 v4, v4
	v_mul_lo_u32 v6, s2, v5
	s_delay_alu instid0(VALU_DEP_2) | instskip(SKIP_1) | instid1(VALU_DEP_2)
	v_mul_hi_u32 v7, s2, v4
	v_mul_lo_u32 v8, s11, v4
	v_add_nc_u32_e32 v6, v7, v6
	v_mul_lo_u32 v7, s2, v4
	s_delay_alu instid0(VALU_DEP_2) | instskip(NEXT) | instid1(VALU_DEP_2)
	v_add_nc_u32_e32 v6, v6, v8
	v_mul_hi_u32 v8, v4, v7
	s_delay_alu instid0(VALU_DEP_2)
	v_mul_lo_u32 v9, v4, v6
	v_mul_hi_u32 v10, v4, v6
	v_mul_hi_u32 v11, v5, v7
	v_mul_lo_u32 v7, v5, v7
	v_mul_hi_u32 v12, v5, v6
	v_mul_lo_u32 v6, v5, v6
	v_add_co_u32 v8, vcc_lo, v8, v9
	v_add_co_ci_u32_e32 v9, vcc_lo, 0, v10, vcc_lo
	s_delay_alu instid0(VALU_DEP_2) | instskip(NEXT) | instid1(VALU_DEP_2)
	v_add_co_u32 v7, vcc_lo, v8, v7
	v_add_co_ci_u32_e32 v7, vcc_lo, v9, v11, vcc_lo
	v_add_co_ci_u32_e32 v8, vcc_lo, 0, v12, vcc_lo
	v_ashrrev_i32_e32 v11, 31, v3
	s_delay_alu instid0(VALU_DEP_3) | instskip(NEXT) | instid1(VALU_DEP_3)
	v_add_co_u32 v6, vcc_lo, v7, v6
	v_add_co_ci_u32_e32 v7, vcc_lo, 0, v8, vcc_lo
	s_delay_alu instid0(VALU_DEP_2) | instskip(NEXT) | instid1(VALU_DEP_2)
	v_add_co_u32 v4, vcc_lo, v4, v6
	v_add_co_ci_u32_e32 v5, vcc_lo, v5, v7, vcc_lo
	s_delay_alu instid0(VALU_DEP_2) | instskip(SKIP_1) | instid1(VALU_DEP_3)
	v_mul_hi_u32 v6, s2, v4
	v_mul_lo_u32 v8, s11, v4
	v_mul_lo_u32 v7, s2, v5
	s_delay_alu instid0(VALU_DEP_1) | instskip(SKIP_1) | instid1(VALU_DEP_2)
	v_add_nc_u32_e32 v6, v6, v7
	v_mul_lo_u32 v7, s2, v4
	v_add_nc_u32_e32 v6, v6, v8
	s_delay_alu instid0(VALU_DEP_2) | instskip(NEXT) | instid1(VALU_DEP_2)
	v_mul_hi_u32 v8, v4, v7
	v_mul_lo_u32 v9, v4, v6
	v_mul_hi_u32 v10, v4, v6
	v_mul_hi_u32 v12, v5, v7
	v_mul_lo_u32 v7, v5, v7
	v_mul_hi_u32 v13, v5, v6
	v_mul_lo_u32 v6, v5, v6
	v_add_co_u32 v8, vcc_lo, v8, v9
	v_add_co_ci_u32_e32 v9, vcc_lo, 0, v10, vcc_lo
	s_delay_alu instid0(VALU_DEP_2) | instskip(NEXT) | instid1(VALU_DEP_2)
	v_add_co_u32 v7, vcc_lo, v8, v7
	v_add_co_ci_u32_e32 v7, vcc_lo, v9, v12, vcc_lo
	v_add_co_ci_u32_e32 v8, vcc_lo, 0, v13, vcc_lo
	v_add_co_u32 v9, vcc_lo, v2, v11
	v_add_co_ci_u32_e32 v10, vcc_lo, v3, v11, vcc_lo
	s_delay_alu instid0(VALU_DEP_4) | instskip(NEXT) | instid1(VALU_DEP_4)
	v_add_co_u32 v6, vcc_lo, v7, v6
	v_add_co_ci_u32_e32 v7, vcc_lo, 0, v8, vcc_lo
	s_delay_alu instid0(VALU_DEP_4) | instskip(NEXT) | instid1(VALU_DEP_3)
	v_xor_b32_e32 v12, v9, v11
	v_add_co_u32 v8, vcc_lo, v4, v6
	s_delay_alu instid0(VALU_DEP_3) | instskip(SKIP_1) | instid1(VALU_DEP_3)
	v_add_co_ci_u32_e32 v13, vcc_lo, v5, v7, vcc_lo
	v_xor_b32_e32 v10, v10, v11
	v_mul_hi_u32 v14, v12, v8
	s_delay_alu instid0(VALU_DEP_3) | instskip(NEXT) | instid1(VALU_DEP_3)
	v_mad_u64_u32 v[4:5], null, v12, v13, 0
	v_mad_u64_u32 v[6:7], null, v10, v8, 0
	;; [unrolled: 1-line block ×3, first 2 shown]
	s_delay_alu instid0(VALU_DEP_3) | instskip(NEXT) | instid1(VALU_DEP_4)
	v_add_co_u32 v4, vcc_lo, v14, v4
	v_add_co_ci_u32_e32 v5, vcc_lo, 0, v5, vcc_lo
	s_delay_alu instid0(VALU_DEP_2) | instskip(NEXT) | instid1(VALU_DEP_2)
	v_add_co_u32 v4, vcc_lo, v4, v6
	v_add_co_ci_u32_e32 v4, vcc_lo, v5, v7, vcc_lo
	v_add_co_ci_u32_e32 v5, vcc_lo, 0, v9, vcc_lo
	s_delay_alu instid0(VALU_DEP_2) | instskip(NEXT) | instid1(VALU_DEP_2)
	v_add_co_u32 v6, vcc_lo, v4, v8
	v_add_co_ci_u32_e32 v7, vcc_lo, 0, v5, vcc_lo
	s_delay_alu instid0(VALU_DEP_2) | instskip(SKIP_1) | instid1(VALU_DEP_3)
	v_mul_lo_u32 v8, s13, v6
	v_mad_u64_u32 v[4:5], null, s12, v6, 0
	v_mul_lo_u32 v9, s12, v7
	s_delay_alu instid0(VALU_DEP_2) | instskip(NEXT) | instid1(VALU_DEP_2)
	v_sub_co_u32 v4, vcc_lo, v12, v4
	v_add3_u32 v5, v5, v9, v8
	s_delay_alu instid0(VALU_DEP_1) | instskip(NEXT) | instid1(VALU_DEP_1)
	v_sub_nc_u32_e32 v8, v10, v5
	v_subrev_co_ci_u32_e64 v8, s2, s13, v8, vcc_lo
	v_add_co_u32 v9, s2, v6, 2
	s_delay_alu instid0(VALU_DEP_1) | instskip(SKIP_3) | instid1(VALU_DEP_3)
	v_add_co_ci_u32_e64 v12, s2, 0, v7, s2
	v_sub_co_u32 v13, s2, v4, s12
	v_sub_co_ci_u32_e32 v5, vcc_lo, v10, v5, vcc_lo
	v_subrev_co_ci_u32_e64 v8, s2, 0, v8, s2
	v_cmp_le_u32_e32 vcc_lo, s12, v13
	s_delay_alu instid0(VALU_DEP_3) | instskip(SKIP_1) | instid1(VALU_DEP_4)
	v_cmp_eq_u32_e64 s2, s13, v5
	v_cndmask_b32_e64 v10, 0, -1, vcc_lo
	v_cmp_le_u32_e32 vcc_lo, s13, v8
	v_cndmask_b32_e64 v13, 0, -1, vcc_lo
	v_cmp_le_u32_e32 vcc_lo, s12, v4
	;; [unrolled: 2-line block ×3, first 2 shown]
	v_cndmask_b32_e64 v14, 0, -1, vcc_lo
	v_cmp_eq_u32_e32 vcc_lo, s13, v8
	s_delay_alu instid0(VALU_DEP_2) | instskip(SKIP_3) | instid1(VALU_DEP_3)
	v_cndmask_b32_e64 v4, v14, v4, s2
	v_cndmask_b32_e32 v8, v13, v10, vcc_lo
	v_add_co_u32 v10, vcc_lo, v6, 1
	v_add_co_ci_u32_e32 v13, vcc_lo, 0, v7, vcc_lo
	v_cmp_ne_u32_e32 vcc_lo, 0, v8
	s_delay_alu instid0(VALU_DEP_2) | instskip(SKIP_2) | instid1(VALU_DEP_3)
	v_dual_cndmask_b32 v5, v13, v12 :: v_dual_cndmask_b32 v8, v10, v9
	v_cmp_ne_u32_e32 vcc_lo, 0, v4
	v_xor_b32_e32 v9, s10, v11
	v_dual_cndmask_b32 v4, v7, v5 :: v_dual_cndmask_b32 v5, v6, v8
	s_delay_alu instid0(VALU_DEP_1) | instskip(NEXT) | instid1(VALU_DEP_2)
	v_xor_b32_e32 v6, v4, v9
	v_xor_b32_e32 v5, v5, v9
	s_delay_alu instid0(VALU_DEP_1) | instskip(NEXT) | instid1(VALU_DEP_3)
	v_sub_co_u32 v4, vcc_lo, v5, v9
	v_sub_co_ci_u32_e32 v5, vcc_lo, v6, v9, vcc_lo
.LBB80_12:
	s_and_not1_saveexec_b32 s2, s14
	s_cbranch_execz .LBB80_14
; %bb.13:
	v_cvt_f32_u32_e32 v4, s4
	s_sub_i32 s10, 0, s4
	s_delay_alu instid0(VALU_DEP_1) | instskip(SKIP_2) | instid1(VALU_DEP_1)
	v_rcp_iflag_f32_e32 v4, v4
	s_waitcnt_depctr 0xfff
	v_mul_f32_e32 v4, 0x4f7ffffe, v4
	v_cvt_u32_f32_e32 v4, v4
	s_delay_alu instid0(VALU_DEP_1) | instskip(NEXT) | instid1(VALU_DEP_1)
	v_mul_lo_u32 v5, s10, v4
	v_mul_hi_u32 v5, v4, v5
	s_delay_alu instid0(VALU_DEP_1) | instskip(NEXT) | instid1(VALU_DEP_1)
	v_add_nc_u32_e32 v4, v4, v5
	v_mul_hi_u32 v4, v2, v4
	s_delay_alu instid0(VALU_DEP_1) | instskip(SKIP_1) | instid1(VALU_DEP_2)
	v_mul_lo_u32 v5, v4, s4
	v_add_nc_u32_e32 v6, 1, v4
	v_sub_nc_u32_e32 v5, v2, v5
	s_delay_alu instid0(VALU_DEP_1) | instskip(SKIP_1) | instid1(VALU_DEP_2)
	v_subrev_nc_u32_e32 v7, s4, v5
	v_cmp_le_u32_e32 vcc_lo, s4, v5
	v_dual_cndmask_b32 v5, v5, v7 :: v_dual_cndmask_b32 v4, v4, v6
	s_delay_alu instid0(VALU_DEP_1) | instskip(NEXT) | instid1(VALU_DEP_2)
	v_cmp_le_u32_e32 vcc_lo, s4, v5
	v_dual_mov_b32 v5, 0 :: v_dual_add_nc_u32 v6, 1, v4
	s_delay_alu instid0(VALU_DEP_1)
	v_cndmask_b32_e32 v4, v4, v6, vcc_lo
.LBB80_14:
	s_or_b32 exec_lo, exec_lo, s2
	s_waitcnt lgkmcnt(0)
	s_delay_alu instid0(VALU_DEP_1) | instskip(SKIP_1) | instid1(VALU_DEP_1)
	v_or_b32_e32 v7, s9, v5
	v_mov_b32_e32 v6, 0
	v_cmp_ne_u64_e32 vcc_lo, 0, v[6:7]
                                        ; implicit-def: $vgpr6_vgpr7
	s_and_saveexec_b32 s2, vcc_lo
	s_delay_alu instid0(SALU_CYCLE_1)
	s_xor_b32 s12, exec_lo, s2
	s_cbranch_execz .LBB80_16
; %bb.15:
	s_ashr_i32 s10, s9, 31
	s_delay_alu instid0(SALU_CYCLE_1) | instskip(SKIP_2) | instid1(SALU_CYCLE_1)
	s_add_u32 s14, s8, s10
	s_mov_b32 s11, s10
	s_addc_u32 s15, s9, s10
	s_xor_b64 s[10:11], s[14:15], s[10:11]
	s_delay_alu instid0(SALU_CYCLE_1) | instskip(SKIP_3) | instid1(VALU_DEP_1)
	v_cvt_f32_u32_e32 v6, s10
	v_cvt_f32_u32_e32 v7, s11
	s_sub_u32 s2, 0, s10
	s_subb_u32 s13, 0, s11
	v_fmamk_f32 v6, v7, 0x4f800000, v6
	s_delay_alu instid0(VALU_DEP_1) | instskip(SKIP_2) | instid1(VALU_DEP_1)
	v_rcp_f32_e32 v6, v6
	s_waitcnt_depctr 0xfff
	v_mul_f32_e32 v6, 0x5f7ffffc, v6
	v_mul_f32_e32 v7, 0x2f800000, v6
	s_delay_alu instid0(VALU_DEP_1) | instskip(NEXT) | instid1(VALU_DEP_1)
	v_trunc_f32_e32 v7, v7
	v_fmamk_f32 v6, v7, 0xcf800000, v6
	v_cvt_u32_f32_e32 v7, v7
	s_delay_alu instid0(VALU_DEP_2) | instskip(NEXT) | instid1(VALU_DEP_2)
	v_cvt_u32_f32_e32 v6, v6
	v_mul_lo_u32 v8, s2, v7
	s_delay_alu instid0(VALU_DEP_2) | instskip(SKIP_1) | instid1(VALU_DEP_2)
	v_mul_hi_u32 v9, s2, v6
	v_mul_lo_u32 v10, s13, v6
	v_add_nc_u32_e32 v8, v9, v8
	v_mul_lo_u32 v9, s2, v6
	s_delay_alu instid0(VALU_DEP_2) | instskip(NEXT) | instid1(VALU_DEP_2)
	v_add_nc_u32_e32 v8, v8, v10
	v_mul_hi_u32 v10, v6, v9
	s_delay_alu instid0(VALU_DEP_2)
	v_mul_lo_u32 v11, v6, v8
	v_mul_hi_u32 v12, v6, v8
	v_mul_hi_u32 v13, v7, v9
	v_mul_lo_u32 v9, v7, v9
	v_mul_hi_u32 v14, v7, v8
	v_mul_lo_u32 v8, v7, v8
	v_add_co_u32 v10, vcc_lo, v10, v11
	v_add_co_ci_u32_e32 v11, vcc_lo, 0, v12, vcc_lo
	s_delay_alu instid0(VALU_DEP_2) | instskip(NEXT) | instid1(VALU_DEP_2)
	v_add_co_u32 v9, vcc_lo, v10, v9
	v_add_co_ci_u32_e32 v9, vcc_lo, v11, v13, vcc_lo
	v_add_co_ci_u32_e32 v10, vcc_lo, 0, v14, vcc_lo
	v_ashrrev_i32_e32 v13, 31, v5
	s_delay_alu instid0(VALU_DEP_3) | instskip(NEXT) | instid1(VALU_DEP_3)
	v_add_co_u32 v8, vcc_lo, v9, v8
	v_add_co_ci_u32_e32 v9, vcc_lo, 0, v10, vcc_lo
	s_delay_alu instid0(VALU_DEP_2) | instskip(NEXT) | instid1(VALU_DEP_2)
	v_add_co_u32 v6, vcc_lo, v6, v8
	v_add_co_ci_u32_e32 v7, vcc_lo, v7, v9, vcc_lo
	s_delay_alu instid0(VALU_DEP_2) | instskip(SKIP_1) | instid1(VALU_DEP_3)
	v_mul_hi_u32 v8, s2, v6
	v_mul_lo_u32 v10, s13, v6
	v_mul_lo_u32 v9, s2, v7
	s_delay_alu instid0(VALU_DEP_1) | instskip(SKIP_1) | instid1(VALU_DEP_2)
	v_add_nc_u32_e32 v8, v8, v9
	v_mul_lo_u32 v9, s2, v6
	v_add_nc_u32_e32 v8, v8, v10
	s_delay_alu instid0(VALU_DEP_2) | instskip(NEXT) | instid1(VALU_DEP_2)
	v_mul_hi_u32 v10, v6, v9
	v_mul_lo_u32 v11, v6, v8
	v_mul_hi_u32 v12, v6, v8
	v_mul_hi_u32 v14, v7, v9
	v_mul_lo_u32 v9, v7, v9
	v_mul_hi_u32 v15, v7, v8
	v_mul_lo_u32 v8, v7, v8
	v_add_co_u32 v10, vcc_lo, v10, v11
	v_add_co_ci_u32_e32 v11, vcc_lo, 0, v12, vcc_lo
	s_delay_alu instid0(VALU_DEP_2) | instskip(NEXT) | instid1(VALU_DEP_2)
	v_add_co_u32 v9, vcc_lo, v10, v9
	v_add_co_ci_u32_e32 v9, vcc_lo, v11, v14, vcc_lo
	v_add_co_ci_u32_e32 v10, vcc_lo, 0, v15, vcc_lo
	v_add_co_u32 v4, vcc_lo, v4, v13
	v_add_co_ci_u32_e32 v5, vcc_lo, v5, v13, vcc_lo
	s_delay_alu instid0(VALU_DEP_4) | instskip(NEXT) | instid1(VALU_DEP_4)
	v_add_co_u32 v8, vcc_lo, v9, v8
	v_add_co_ci_u32_e32 v9, vcc_lo, 0, v10, vcc_lo
	s_delay_alu instid0(VALU_DEP_4) | instskip(NEXT) | instid1(VALU_DEP_3)
	v_xor_b32_e32 v10, v4, v13
	v_add_co_u32 v8, vcc_lo, v6, v8
	s_delay_alu instid0(VALU_DEP_3) | instskip(SKIP_1) | instid1(VALU_DEP_3)
	v_add_co_ci_u32_e32 v11, vcc_lo, v7, v9, vcc_lo
	v_xor_b32_e32 v12, v5, v13
	v_mul_hi_u32 v14, v10, v8
	s_delay_alu instid0(VALU_DEP_3) | instskip(NEXT) | instid1(VALU_DEP_3)
	v_mad_u64_u32 v[4:5], null, v10, v11, 0
	v_mad_u64_u32 v[6:7], null, v12, v8, 0
	;; [unrolled: 1-line block ×3, first 2 shown]
	s_delay_alu instid0(VALU_DEP_3) | instskip(NEXT) | instid1(VALU_DEP_4)
	v_add_co_u32 v4, vcc_lo, v14, v4
	v_add_co_ci_u32_e32 v5, vcc_lo, 0, v5, vcc_lo
	s_delay_alu instid0(VALU_DEP_2) | instskip(NEXT) | instid1(VALU_DEP_2)
	v_add_co_u32 v4, vcc_lo, v4, v6
	v_add_co_ci_u32_e32 v4, vcc_lo, v5, v7, vcc_lo
	v_add_co_ci_u32_e32 v5, vcc_lo, 0, v9, vcc_lo
	s_delay_alu instid0(VALU_DEP_2) | instskip(NEXT) | instid1(VALU_DEP_2)
	v_add_co_u32 v6, vcc_lo, v4, v8
	v_add_co_ci_u32_e32 v7, vcc_lo, 0, v5, vcc_lo
	s_delay_alu instid0(VALU_DEP_2) | instskip(SKIP_1) | instid1(VALU_DEP_3)
	v_mul_lo_u32 v8, s11, v6
	v_mad_u64_u32 v[4:5], null, s10, v6, 0
	v_mul_lo_u32 v6, s10, v7
	s_delay_alu instid0(VALU_DEP_2) | instskip(NEXT) | instid1(VALU_DEP_2)
	v_sub_co_u32 v4, vcc_lo, v10, v4
	v_add3_u32 v5, v5, v6, v8
	s_delay_alu instid0(VALU_DEP_1) | instskip(NEXT) | instid1(VALU_DEP_1)
	v_sub_nc_u32_e32 v6, v12, v5
	v_subrev_co_ci_u32_e64 v6, s2, s11, v6, vcc_lo
	v_sub_co_ci_u32_e32 v5, vcc_lo, v12, v5, vcc_lo
	v_sub_co_u32 v7, vcc_lo, v4, s10
	s_delay_alu instid0(VALU_DEP_1) | instskip(SKIP_3) | instid1(VALU_DEP_3)
	v_subrev_co_ci_u32_e64 v8, s2, 0, v6, vcc_lo
	v_cmp_le_u32_e64 s2, s10, v4
	v_subrev_co_ci_u32_e32 v6, vcc_lo, s11, v6, vcc_lo
	v_cmp_le_u32_e32 vcc_lo, s11, v5
	v_cndmask_b32_e64 v9, 0, -1, s2
	v_cmp_le_u32_e64 s2, s10, v7
	v_cndmask_b32_e64 v12, 0, -1, vcc_lo
	v_cmp_eq_u32_e32 vcc_lo, s11, v8
	s_delay_alu instid0(VALU_DEP_3) | instskip(SKIP_1) | instid1(VALU_DEP_1)
	v_cndmask_b32_e64 v10, 0, -1, s2
	v_cmp_le_u32_e64 s2, s11, v8
	v_cndmask_b32_e64 v11, 0, -1, s2
	v_cmp_eq_u32_e64 s2, s11, v5
	s_delay_alu instid0(VALU_DEP_2) | instskip(SKIP_2) | instid1(VALU_DEP_3)
	v_cndmask_b32_e32 v10, v11, v10, vcc_lo
	v_sub_co_u32 v11, vcc_lo, v7, s10
	v_subrev_co_ci_u32_e32 v6, vcc_lo, 0, v6, vcc_lo
	v_cmp_ne_u32_e32 vcc_lo, 0, v10
	v_cndmask_b32_e64 v9, v12, v9, s2
	s_delay_alu instid0(VALU_DEP_3) | instskip(NEXT) | instid1(VALU_DEP_2)
	v_dual_cndmask_b32 v6, v8, v6 :: v_dual_cndmask_b32 v7, v7, v11
	v_cmp_ne_u32_e32 vcc_lo, 0, v9
	s_delay_alu instid0(VALU_DEP_2) | instskip(NEXT) | instid1(VALU_DEP_1)
	v_dual_cndmask_b32 v5, v5, v6 :: v_dual_cndmask_b32 v4, v4, v7
	v_xor_b32_e32 v5, v5, v13
	s_delay_alu instid0(VALU_DEP_2) | instskip(NEXT) | instid1(VALU_DEP_1)
	v_xor_b32_e32 v4, v4, v13
	v_sub_co_u32 v6, vcc_lo, v4, v13
	s_delay_alu instid0(VALU_DEP_3)
	v_sub_co_ci_u32_e32 v7, vcc_lo, v5, v13, vcc_lo
                                        ; implicit-def: $vgpr4_vgpr5
.LBB80_16:
	s_and_not1_saveexec_b32 s2, s12
	s_cbranch_execz .LBB80_18
; %bb.17:
	v_cvt_f32_u32_e32 v5, s8
	s_sub_i32 s10, 0, s8
	v_mov_b32_e32 v7, 0
	s_delay_alu instid0(VALU_DEP_2) | instskip(SKIP_2) | instid1(VALU_DEP_1)
	v_rcp_iflag_f32_e32 v5, v5
	s_waitcnt_depctr 0xfff
	v_mul_f32_e32 v5, 0x4f7ffffe, v5
	v_cvt_u32_f32_e32 v5, v5
	s_delay_alu instid0(VALU_DEP_1) | instskip(NEXT) | instid1(VALU_DEP_1)
	v_mul_lo_u32 v6, s10, v5
	v_mul_hi_u32 v6, v5, v6
	s_delay_alu instid0(VALU_DEP_1) | instskip(NEXT) | instid1(VALU_DEP_1)
	v_add_nc_u32_e32 v5, v5, v6
	v_mul_hi_u32 v5, v4, v5
	s_delay_alu instid0(VALU_DEP_1) | instskip(NEXT) | instid1(VALU_DEP_1)
	v_mul_lo_u32 v5, v5, s8
	v_sub_nc_u32_e32 v4, v4, v5
	s_delay_alu instid0(VALU_DEP_1) | instskip(SKIP_1) | instid1(VALU_DEP_2)
	v_subrev_nc_u32_e32 v5, s8, v4
	v_cmp_le_u32_e32 vcc_lo, s8, v4
	v_cndmask_b32_e32 v4, v4, v5, vcc_lo
	s_delay_alu instid0(VALU_DEP_1) | instskip(SKIP_1) | instid1(VALU_DEP_2)
	v_subrev_nc_u32_e32 v5, s8, v4
	v_cmp_le_u32_e32 vcc_lo, s8, v4
	v_cndmask_b32_e32 v6, v4, v5, vcc_lo
.LBB80_18:
	s_or_b32 exec_lo, exec_lo, s2
	s_lshl_b64 s[6:7], s[6:7], 3
	s_mul_i32 s2, s8, s5
	v_add_co_u32 v4, vcc_lo, v0, s6
	s_mul_hi_u32 s5, s8, s4
	v_add_co_ci_u32_e32 v5, vcc_lo, s7, v1, vcc_lo
	s_add_i32 s2, s5, s2
	s_mul_i32 s5, s9, s4
	s_mul_i32 s4, s8, s4
	s_add_i32 s5, s2, s5
	global_store_b64 v[4:5], v[6:7], off
	s_cmp_lt_i32 s3, 1
	s_cbranch_scc1 .LBB80_4
.LBB80_19:
	s_load_b64 s[2:3], s[0:1], 0x8
	s_waitcnt vmcnt(0)
	v_or_b32_e32 v5, s5, v3
	v_mov_b32_e32 v4, 0
	s_delay_alu instid0(VALU_DEP_1) | instskip(SKIP_1) | instid1(SALU_CYCLE_1)
	v_cmp_ne_u64_e32 vcc_lo, 0, v[4:5]
                                        ; implicit-def: $vgpr4_vgpr5
	s_and_saveexec_b32 s0, vcc_lo
	s_xor_b32 s1, exec_lo, s0
	s_cbranch_execz .LBB80_21
; %bb.20:
	s_ashr_i32 s6, s5, 31
	s_delay_alu instid0(SALU_CYCLE_1) | instskip(SKIP_2) | instid1(SALU_CYCLE_1)
	s_add_u32 s8, s4, s6
	s_mov_b32 s7, s6
	s_addc_u32 s9, s5, s6
	s_xor_b64 s[8:9], s[8:9], s[6:7]
	s_delay_alu instid0(SALU_CYCLE_1) | instskip(SKIP_3) | instid1(VALU_DEP_1)
	v_cvt_f32_u32_e32 v4, s8
	v_cvt_f32_u32_e32 v5, s9
	s_sub_u32 s0, 0, s8
	s_subb_u32 s5, 0, s9
	v_fmamk_f32 v4, v5, 0x4f800000, v4
	s_delay_alu instid0(VALU_DEP_1) | instskip(SKIP_2) | instid1(VALU_DEP_1)
	v_rcp_f32_e32 v4, v4
	s_waitcnt_depctr 0xfff
	v_mul_f32_e32 v4, 0x5f7ffffc, v4
	v_mul_f32_e32 v5, 0x2f800000, v4
	s_delay_alu instid0(VALU_DEP_1) | instskip(NEXT) | instid1(VALU_DEP_1)
	v_trunc_f32_e32 v5, v5
	v_fmamk_f32 v4, v5, 0xcf800000, v4
	v_cvt_u32_f32_e32 v5, v5
	s_delay_alu instid0(VALU_DEP_2) | instskip(NEXT) | instid1(VALU_DEP_2)
	v_cvt_u32_f32_e32 v4, v4
	v_mul_lo_u32 v6, s0, v5
	s_delay_alu instid0(VALU_DEP_2) | instskip(SKIP_1) | instid1(VALU_DEP_2)
	v_mul_hi_u32 v7, s0, v4
	v_mul_lo_u32 v8, s5, v4
	v_add_nc_u32_e32 v6, v7, v6
	v_mul_lo_u32 v7, s0, v4
	s_delay_alu instid0(VALU_DEP_2) | instskip(NEXT) | instid1(VALU_DEP_2)
	v_add_nc_u32_e32 v6, v6, v8
	v_mul_hi_u32 v8, v4, v7
	s_delay_alu instid0(VALU_DEP_2)
	v_mul_lo_u32 v9, v4, v6
	v_mul_hi_u32 v10, v4, v6
	v_mul_hi_u32 v11, v5, v7
	v_mul_lo_u32 v7, v5, v7
	v_mul_hi_u32 v12, v5, v6
	v_mul_lo_u32 v6, v5, v6
	v_add_co_u32 v8, vcc_lo, v8, v9
	v_add_co_ci_u32_e32 v9, vcc_lo, 0, v10, vcc_lo
	s_delay_alu instid0(VALU_DEP_2) | instskip(NEXT) | instid1(VALU_DEP_2)
	v_add_co_u32 v7, vcc_lo, v8, v7
	v_add_co_ci_u32_e32 v7, vcc_lo, v9, v11, vcc_lo
	v_add_co_ci_u32_e32 v8, vcc_lo, 0, v12, vcc_lo
	v_ashrrev_i32_e32 v11, 31, v3
	s_delay_alu instid0(VALU_DEP_3) | instskip(NEXT) | instid1(VALU_DEP_3)
	v_add_co_u32 v6, vcc_lo, v7, v6
	v_add_co_ci_u32_e32 v7, vcc_lo, 0, v8, vcc_lo
	s_delay_alu instid0(VALU_DEP_2) | instskip(NEXT) | instid1(VALU_DEP_2)
	v_add_co_u32 v4, vcc_lo, v4, v6
	v_add_co_ci_u32_e32 v5, vcc_lo, v5, v7, vcc_lo
	s_delay_alu instid0(VALU_DEP_2) | instskip(SKIP_1) | instid1(VALU_DEP_3)
	v_mul_hi_u32 v6, s0, v4
	v_mul_lo_u32 v8, s5, v4
	v_mul_lo_u32 v7, s0, v5
	s_delay_alu instid0(VALU_DEP_1) | instskip(SKIP_1) | instid1(VALU_DEP_2)
	v_add_nc_u32_e32 v6, v6, v7
	v_mul_lo_u32 v7, s0, v4
	v_add_nc_u32_e32 v6, v6, v8
	s_delay_alu instid0(VALU_DEP_2) | instskip(NEXT) | instid1(VALU_DEP_2)
	v_mul_hi_u32 v8, v4, v7
	v_mul_lo_u32 v9, v4, v6
	v_mul_hi_u32 v10, v4, v6
	v_mul_hi_u32 v12, v5, v7
	v_mul_lo_u32 v7, v5, v7
	v_mul_hi_u32 v13, v5, v6
	v_mul_lo_u32 v6, v5, v6
	v_add_co_u32 v8, vcc_lo, v8, v9
	v_add_co_ci_u32_e32 v9, vcc_lo, 0, v10, vcc_lo
	s_delay_alu instid0(VALU_DEP_2) | instskip(NEXT) | instid1(VALU_DEP_2)
	v_add_co_u32 v7, vcc_lo, v8, v7
	v_add_co_ci_u32_e32 v7, vcc_lo, v9, v12, vcc_lo
	v_add_co_ci_u32_e32 v8, vcc_lo, 0, v13, vcc_lo
	v_add_co_u32 v2, vcc_lo, v2, v11
	v_add_co_ci_u32_e32 v3, vcc_lo, v3, v11, vcc_lo
	s_delay_alu instid0(VALU_DEP_4) | instskip(NEXT) | instid1(VALU_DEP_4)
	v_add_co_u32 v6, vcc_lo, v7, v6
	v_add_co_ci_u32_e32 v7, vcc_lo, 0, v8, vcc_lo
	s_delay_alu instid0(VALU_DEP_4) | instskip(NEXT) | instid1(VALU_DEP_3)
	v_xor_b32_e32 v8, v2, v11
	v_add_co_u32 v6, vcc_lo, v4, v6
	s_delay_alu instid0(VALU_DEP_3) | instskip(SKIP_1) | instid1(VALU_DEP_3)
	v_add_co_ci_u32_e32 v9, vcc_lo, v5, v7, vcc_lo
	v_xor_b32_e32 v10, v3, v11
	v_mul_hi_u32 v12, v8, v6
	s_delay_alu instid0(VALU_DEP_3) | instskip(NEXT) | instid1(VALU_DEP_3)
	v_mad_u64_u32 v[2:3], null, v8, v9, 0
	v_mad_u64_u32 v[4:5], null, v10, v6, 0
	;; [unrolled: 1-line block ×3, first 2 shown]
	s_delay_alu instid0(VALU_DEP_3) | instskip(NEXT) | instid1(VALU_DEP_4)
	v_add_co_u32 v2, vcc_lo, v12, v2
	v_add_co_ci_u32_e32 v3, vcc_lo, 0, v3, vcc_lo
	s_delay_alu instid0(VALU_DEP_2) | instskip(NEXT) | instid1(VALU_DEP_2)
	v_add_co_u32 v2, vcc_lo, v2, v4
	v_add_co_ci_u32_e32 v2, vcc_lo, v3, v5, vcc_lo
	v_add_co_ci_u32_e32 v3, vcc_lo, 0, v7, vcc_lo
	s_delay_alu instid0(VALU_DEP_2) | instskip(NEXT) | instid1(VALU_DEP_2)
	v_add_co_u32 v4, vcc_lo, v2, v6
	v_add_co_ci_u32_e32 v5, vcc_lo, 0, v3, vcc_lo
	s_delay_alu instid0(VALU_DEP_2) | instskip(SKIP_1) | instid1(VALU_DEP_3)
	v_mul_lo_u32 v6, s9, v4
	v_mad_u64_u32 v[2:3], null, s8, v4, 0
	v_mul_lo_u32 v7, s8, v5
	s_delay_alu instid0(VALU_DEP_2) | instskip(NEXT) | instid1(VALU_DEP_2)
	v_sub_co_u32 v2, vcc_lo, v8, v2
	v_add3_u32 v3, v3, v7, v6
	s_delay_alu instid0(VALU_DEP_1) | instskip(NEXT) | instid1(VALU_DEP_1)
	v_sub_nc_u32_e32 v6, v10, v3
	v_subrev_co_ci_u32_e64 v6, s0, s9, v6, vcc_lo
	v_add_co_u32 v7, s0, v4, 2
	s_delay_alu instid0(VALU_DEP_1) | instskip(SKIP_3) | instid1(VALU_DEP_3)
	v_add_co_ci_u32_e64 v8, s0, 0, v5, s0
	v_sub_co_u32 v9, s0, v2, s8
	v_sub_co_ci_u32_e32 v3, vcc_lo, v10, v3, vcc_lo
	v_subrev_co_ci_u32_e64 v6, s0, 0, v6, s0
	v_cmp_le_u32_e32 vcc_lo, s8, v9
	s_delay_alu instid0(VALU_DEP_3) | instskip(SKIP_1) | instid1(VALU_DEP_4)
	v_cmp_eq_u32_e64 s0, s9, v3
	v_cndmask_b32_e64 v9, 0, -1, vcc_lo
	v_cmp_le_u32_e32 vcc_lo, s9, v6
	v_cndmask_b32_e64 v10, 0, -1, vcc_lo
	v_cmp_le_u32_e32 vcc_lo, s8, v2
	;; [unrolled: 2-line block ×3, first 2 shown]
	v_cndmask_b32_e64 v12, 0, -1, vcc_lo
	v_cmp_eq_u32_e32 vcc_lo, s9, v6
	s_delay_alu instid0(VALU_DEP_2) | instskip(SKIP_3) | instid1(VALU_DEP_3)
	v_cndmask_b32_e64 v2, v12, v2, s0
	v_cndmask_b32_e32 v6, v10, v9, vcc_lo
	v_add_co_u32 v9, vcc_lo, v4, 1
	v_add_co_ci_u32_e32 v10, vcc_lo, 0, v5, vcc_lo
	v_cmp_ne_u32_e32 vcc_lo, 0, v6
	s_delay_alu instid0(VALU_DEP_2) | instskip(SKIP_2) | instid1(VALU_DEP_3)
	v_dual_cndmask_b32 v3, v10, v8 :: v_dual_cndmask_b32 v6, v9, v7
	v_cmp_ne_u32_e32 vcc_lo, 0, v2
	v_xor_b32_e32 v2, s6, v11
	v_dual_cndmask_b32 v4, v4, v6 :: v_dual_cndmask_b32 v3, v5, v3
	s_delay_alu instid0(VALU_DEP_1) | instskip(NEXT) | instid1(VALU_DEP_2)
	v_xor_b32_e32 v4, v4, v2
	v_xor_b32_e32 v3, v3, v2
	s_delay_alu instid0(VALU_DEP_2) | instskip(NEXT) | instid1(VALU_DEP_2)
	v_sub_co_u32 v4, vcc_lo, v4, v2
	v_sub_co_ci_u32_e32 v5, vcc_lo, v3, v2, vcc_lo
                                        ; implicit-def: $vgpr2_vgpr3
.LBB80_21:
	s_and_not1_saveexec_b32 s0, s1
	s_cbranch_execz .LBB80_23
; %bb.22:
	v_cvt_f32_u32_e32 v3, s4
	s_sub_i32 s1, 0, s4
	s_delay_alu instid0(VALU_DEP_1) | instskip(SKIP_2) | instid1(VALU_DEP_1)
	v_rcp_iflag_f32_e32 v3, v3
	s_waitcnt_depctr 0xfff
	v_mul_f32_e32 v3, 0x4f7ffffe, v3
	v_cvt_u32_f32_e32 v3, v3
	s_delay_alu instid0(VALU_DEP_1) | instskip(NEXT) | instid1(VALU_DEP_1)
	v_mul_lo_u32 v4, s1, v3
	v_mul_hi_u32 v4, v3, v4
	s_delay_alu instid0(VALU_DEP_1) | instskip(NEXT) | instid1(VALU_DEP_1)
	v_add_nc_u32_e32 v3, v3, v4
	v_mul_hi_u32 v3, v2, v3
	s_delay_alu instid0(VALU_DEP_1) | instskip(NEXT) | instid1(VALU_DEP_1)
	v_mul_lo_u32 v4, v3, s4
	v_sub_nc_u32_e32 v2, v2, v4
	v_add_nc_u32_e32 v4, 1, v3
	s_delay_alu instid0(VALU_DEP_2) | instskip(SKIP_1) | instid1(VALU_DEP_2)
	v_subrev_nc_u32_e32 v5, s4, v2
	v_cmp_le_u32_e32 vcc_lo, s4, v2
	v_dual_cndmask_b32 v2, v2, v5 :: v_dual_mov_b32 v5, 0
	s_delay_alu instid0(VALU_DEP_4) | instskip(NEXT) | instid1(VALU_DEP_2)
	v_cndmask_b32_e32 v3, v3, v4, vcc_lo
	v_cmp_le_u32_e32 vcc_lo, s4, v2
	s_delay_alu instid0(VALU_DEP_2) | instskip(NEXT) | instid1(VALU_DEP_1)
	v_add_nc_u32_e32 v4, 1, v3
	v_cndmask_b32_e32 v4, v3, v4, vcc_lo
.LBB80_23:
	s_or_b32 exec_lo, exec_lo, s0
	s_waitcnt lgkmcnt(0)
	v_or_b32_e32 v3, s3, v5
	v_mov_b32_e32 v2, 0
	s_delay_alu instid0(VALU_DEP_1) | instskip(SKIP_1) | instid1(SALU_CYCLE_1)
	v_cmp_ne_u64_e32 vcc_lo, 0, v[2:3]
                                        ; implicit-def: $vgpr2_vgpr3
	s_and_saveexec_b32 s0, vcc_lo
	s_xor_b32 s1, exec_lo, s0
	s_cbranch_execz .LBB80_25
; %bb.24:
	s_ashr_i32 s4, s3, 31
	s_delay_alu instid0(SALU_CYCLE_1) | instskip(SKIP_2) | instid1(SALU_CYCLE_1)
	s_add_u32 s6, s2, s4
	s_mov_b32 s5, s4
	s_addc_u32 s7, s3, s4
	s_xor_b64 s[4:5], s[6:7], s[4:5]
	s_delay_alu instid0(SALU_CYCLE_1) | instskip(SKIP_3) | instid1(VALU_DEP_1)
	v_cvt_f32_u32_e32 v2, s4
	v_cvt_f32_u32_e32 v3, s5
	s_sub_u32 s0, 0, s4
	s_subb_u32 s3, 0, s5
	v_fmamk_f32 v2, v3, 0x4f800000, v2
	s_delay_alu instid0(VALU_DEP_1) | instskip(SKIP_2) | instid1(VALU_DEP_1)
	v_rcp_f32_e32 v2, v2
	s_waitcnt_depctr 0xfff
	v_mul_f32_e32 v2, 0x5f7ffffc, v2
	v_mul_f32_e32 v3, 0x2f800000, v2
	s_delay_alu instid0(VALU_DEP_1) | instskip(NEXT) | instid1(VALU_DEP_1)
	v_trunc_f32_e32 v3, v3
	v_fmamk_f32 v2, v3, 0xcf800000, v2
	v_cvt_u32_f32_e32 v3, v3
	s_delay_alu instid0(VALU_DEP_2) | instskip(NEXT) | instid1(VALU_DEP_2)
	v_cvt_u32_f32_e32 v2, v2
	v_mul_lo_u32 v6, s0, v3
	s_delay_alu instid0(VALU_DEP_2) | instskip(SKIP_1) | instid1(VALU_DEP_2)
	v_mul_hi_u32 v7, s0, v2
	v_mul_lo_u32 v8, s3, v2
	v_add_nc_u32_e32 v6, v7, v6
	v_mul_lo_u32 v7, s0, v2
	s_delay_alu instid0(VALU_DEP_2) | instskip(NEXT) | instid1(VALU_DEP_2)
	v_add_nc_u32_e32 v6, v6, v8
	v_mul_hi_u32 v8, v2, v7
	s_delay_alu instid0(VALU_DEP_2)
	v_mul_lo_u32 v9, v2, v6
	v_mul_hi_u32 v10, v2, v6
	v_mul_hi_u32 v11, v3, v7
	v_mul_lo_u32 v7, v3, v7
	v_mul_hi_u32 v12, v3, v6
	v_mul_lo_u32 v6, v3, v6
	v_add_co_u32 v8, vcc_lo, v8, v9
	v_add_co_ci_u32_e32 v9, vcc_lo, 0, v10, vcc_lo
	s_delay_alu instid0(VALU_DEP_2) | instskip(NEXT) | instid1(VALU_DEP_2)
	v_add_co_u32 v7, vcc_lo, v8, v7
	v_add_co_ci_u32_e32 v7, vcc_lo, v9, v11, vcc_lo
	v_add_co_ci_u32_e32 v8, vcc_lo, 0, v12, vcc_lo
	v_ashrrev_i32_e32 v11, 31, v5
	s_delay_alu instid0(VALU_DEP_3) | instskip(NEXT) | instid1(VALU_DEP_3)
	v_add_co_u32 v6, vcc_lo, v7, v6
	v_add_co_ci_u32_e32 v7, vcc_lo, 0, v8, vcc_lo
	s_delay_alu instid0(VALU_DEP_2) | instskip(NEXT) | instid1(VALU_DEP_2)
	v_add_co_u32 v2, vcc_lo, v2, v6
	v_add_co_ci_u32_e32 v3, vcc_lo, v3, v7, vcc_lo
	s_delay_alu instid0(VALU_DEP_2) | instskip(SKIP_1) | instid1(VALU_DEP_3)
	v_mul_hi_u32 v6, s0, v2
	v_mul_lo_u32 v8, s3, v2
	v_mul_lo_u32 v7, s0, v3
	s_delay_alu instid0(VALU_DEP_1) | instskip(SKIP_1) | instid1(VALU_DEP_2)
	v_add_nc_u32_e32 v6, v6, v7
	v_mul_lo_u32 v7, s0, v2
	v_add_nc_u32_e32 v6, v6, v8
	s_delay_alu instid0(VALU_DEP_2) | instskip(NEXT) | instid1(VALU_DEP_2)
	v_mul_hi_u32 v8, v2, v7
	v_mul_lo_u32 v9, v2, v6
	v_mul_hi_u32 v10, v2, v6
	v_mul_hi_u32 v12, v3, v7
	v_mul_lo_u32 v7, v3, v7
	v_mul_hi_u32 v13, v3, v6
	v_mul_lo_u32 v6, v3, v6
	v_add_co_u32 v8, vcc_lo, v8, v9
	v_add_co_ci_u32_e32 v9, vcc_lo, 0, v10, vcc_lo
	s_delay_alu instid0(VALU_DEP_2) | instskip(NEXT) | instid1(VALU_DEP_2)
	v_add_co_u32 v7, vcc_lo, v8, v7
	v_add_co_ci_u32_e32 v7, vcc_lo, v9, v12, vcc_lo
	v_add_co_ci_u32_e32 v8, vcc_lo, 0, v13, vcc_lo
	v_add_co_u32 v4, vcc_lo, v4, v11
	v_add_co_ci_u32_e32 v5, vcc_lo, v5, v11, vcc_lo
	s_delay_alu instid0(VALU_DEP_4) | instskip(NEXT) | instid1(VALU_DEP_4)
	v_add_co_u32 v6, vcc_lo, v7, v6
	v_add_co_ci_u32_e32 v7, vcc_lo, 0, v8, vcc_lo
	s_delay_alu instid0(VALU_DEP_4) | instskip(NEXT) | instid1(VALU_DEP_3)
	v_xor_b32_e32 v8, v4, v11
	v_add_co_u32 v6, vcc_lo, v2, v6
	s_delay_alu instid0(VALU_DEP_3) | instskip(SKIP_1) | instid1(VALU_DEP_3)
	v_add_co_ci_u32_e32 v9, vcc_lo, v3, v7, vcc_lo
	v_xor_b32_e32 v10, v5, v11
	v_mul_hi_u32 v12, v8, v6
	s_delay_alu instid0(VALU_DEP_3) | instskip(NEXT) | instid1(VALU_DEP_3)
	v_mad_u64_u32 v[2:3], null, v8, v9, 0
	v_mad_u64_u32 v[4:5], null, v10, v6, 0
	v_mad_u64_u32 v[6:7], null, v10, v9, 0
	s_delay_alu instid0(VALU_DEP_3) | instskip(NEXT) | instid1(VALU_DEP_4)
	v_add_co_u32 v2, vcc_lo, v12, v2
	v_add_co_ci_u32_e32 v3, vcc_lo, 0, v3, vcc_lo
	s_delay_alu instid0(VALU_DEP_2) | instskip(NEXT) | instid1(VALU_DEP_2)
	v_add_co_u32 v2, vcc_lo, v2, v4
	v_add_co_ci_u32_e32 v2, vcc_lo, v3, v5, vcc_lo
	v_add_co_ci_u32_e32 v3, vcc_lo, 0, v7, vcc_lo
	s_delay_alu instid0(VALU_DEP_2) | instskip(NEXT) | instid1(VALU_DEP_2)
	v_add_co_u32 v4, vcc_lo, v2, v6
	v_add_co_ci_u32_e32 v5, vcc_lo, 0, v3, vcc_lo
	s_delay_alu instid0(VALU_DEP_2) | instskip(SKIP_1) | instid1(VALU_DEP_3)
	v_mul_lo_u32 v6, s5, v4
	v_mad_u64_u32 v[2:3], null, s4, v4, 0
	v_mul_lo_u32 v4, s4, v5
	s_delay_alu instid0(VALU_DEP_2) | instskip(NEXT) | instid1(VALU_DEP_2)
	v_sub_co_u32 v2, vcc_lo, v8, v2
	v_add3_u32 v3, v3, v4, v6
	s_delay_alu instid0(VALU_DEP_1) | instskip(NEXT) | instid1(VALU_DEP_1)
	v_sub_nc_u32_e32 v4, v10, v3
	v_subrev_co_ci_u32_e64 v4, s0, s5, v4, vcc_lo
	v_sub_co_ci_u32_e32 v3, vcc_lo, v10, v3, vcc_lo
	v_sub_co_u32 v5, vcc_lo, v2, s4
	s_delay_alu instid0(VALU_DEP_1) | instskip(SKIP_3) | instid1(VALU_DEP_3)
	v_subrev_co_ci_u32_e64 v6, s0, 0, v4, vcc_lo
	v_cmp_le_u32_e64 s0, s4, v2
	v_subrev_co_ci_u32_e32 v4, vcc_lo, s5, v4, vcc_lo
	v_cmp_le_u32_e32 vcc_lo, s5, v3
	v_cndmask_b32_e64 v7, 0, -1, s0
	v_cmp_le_u32_e64 s0, s4, v5
	v_cndmask_b32_e64 v10, 0, -1, vcc_lo
	v_cmp_eq_u32_e32 vcc_lo, s5, v6
	s_delay_alu instid0(VALU_DEP_3) | instskip(SKIP_1) | instid1(VALU_DEP_1)
	v_cndmask_b32_e64 v8, 0, -1, s0
	v_cmp_le_u32_e64 s0, s5, v6
	v_cndmask_b32_e64 v9, 0, -1, s0
	v_cmp_eq_u32_e64 s0, s5, v3
	s_delay_alu instid0(VALU_DEP_2) | instskip(SKIP_2) | instid1(VALU_DEP_3)
	v_cndmask_b32_e32 v8, v9, v8, vcc_lo
	v_sub_co_u32 v9, vcc_lo, v5, s4
	v_subrev_co_ci_u32_e32 v4, vcc_lo, 0, v4, vcc_lo
	v_cmp_ne_u32_e32 vcc_lo, 0, v8
	v_cndmask_b32_e64 v7, v10, v7, s0
	s_delay_alu instid0(VALU_DEP_3) | instskip(NEXT) | instid1(VALU_DEP_2)
	v_dual_cndmask_b32 v4, v6, v4 :: v_dual_cndmask_b32 v5, v5, v9
	v_cmp_ne_u32_e32 vcc_lo, 0, v7
	s_delay_alu instid0(VALU_DEP_2) | instskip(NEXT) | instid1(VALU_DEP_1)
	v_dual_cndmask_b32 v2, v2, v5 :: v_dual_cndmask_b32 v3, v3, v4
                                        ; implicit-def: $vgpr4_vgpr5
	v_xor_b32_e32 v2, v2, v11
	s_delay_alu instid0(VALU_DEP_2) | instskip(NEXT) | instid1(VALU_DEP_2)
	v_xor_b32_e32 v3, v3, v11
	v_sub_co_u32 v2, vcc_lo, v2, v11
	s_delay_alu instid0(VALU_DEP_2)
	v_sub_co_ci_u32_e32 v3, vcc_lo, v3, v11, vcc_lo
.LBB80_25:
	s_and_not1_saveexec_b32 s0, s1
	s_cbranch_execz .LBB80_27
; %bb.26:
	v_cvt_f32_u32_e32 v2, s2
	s_sub_i32 s1, 0, s2
	s_delay_alu instid0(VALU_DEP_1) | instskip(SKIP_2) | instid1(VALU_DEP_1)
	v_rcp_iflag_f32_e32 v2, v2
	s_waitcnt_depctr 0xfff
	v_mul_f32_e32 v2, 0x4f7ffffe, v2
	v_cvt_u32_f32_e32 v2, v2
	s_delay_alu instid0(VALU_DEP_1) | instskip(NEXT) | instid1(VALU_DEP_1)
	v_mul_lo_u32 v3, s1, v2
	v_mul_hi_u32 v3, v2, v3
	s_delay_alu instid0(VALU_DEP_1) | instskip(NEXT) | instid1(VALU_DEP_1)
	v_add_nc_u32_e32 v2, v2, v3
	v_mul_hi_u32 v2, v4, v2
	s_delay_alu instid0(VALU_DEP_1) | instskip(NEXT) | instid1(VALU_DEP_1)
	v_mul_lo_u32 v2, v2, s2
	v_sub_nc_u32_e32 v2, v4, v2
	s_delay_alu instid0(VALU_DEP_1) | instskip(SKIP_1) | instid1(VALU_DEP_2)
	v_subrev_nc_u32_e32 v3, s2, v2
	v_cmp_le_u32_e32 vcc_lo, s2, v2
	v_cndmask_b32_e32 v2, v2, v3, vcc_lo
	s_delay_alu instid0(VALU_DEP_1) | instskip(SKIP_1) | instid1(VALU_DEP_2)
	v_subrev_nc_u32_e32 v3, s2, v2
	v_cmp_le_u32_e32 vcc_lo, s2, v2
	v_dual_cndmask_b32 v2, v2, v3 :: v_dual_mov_b32 v3, 0
.LBB80_27:
	s_or_b32 exec_lo, exec_lo, s0
	global_store_b64 v[0:1], v[2:3], off
	s_nop 0
	s_sendmsg sendmsg(MSG_DEALLOC_VGPRS)
	s_endpgm
	.section	.rodata,"a",@progbits
	.p2align	6, 0x0
	.amdhsa_kernel _Z13write_indicesIlEvPl10TensorDimsIT_EiS2_
		.amdhsa_group_segment_fixed_size 0
		.amdhsa_private_segment_fixed_size 0
		.amdhsa_kernarg_size 296
		.amdhsa_user_sgpr_count 15
		.amdhsa_user_sgpr_dispatch_ptr 0
		.amdhsa_user_sgpr_queue_ptr 0
		.amdhsa_user_sgpr_kernarg_segment_ptr 1
		.amdhsa_user_sgpr_dispatch_id 0
		.amdhsa_user_sgpr_private_segment_size 0
		.amdhsa_wavefront_size32 1
		.amdhsa_uses_dynamic_stack 0
		.amdhsa_enable_private_segment 0
		.amdhsa_system_sgpr_workgroup_id_x 1
		.amdhsa_system_sgpr_workgroup_id_y 0
		.amdhsa_system_sgpr_workgroup_id_z 0
		.amdhsa_system_sgpr_workgroup_info 0
		.amdhsa_system_vgpr_workitem_id 0
		.amdhsa_next_free_vgpr 16
		.amdhsa_next_free_sgpr 16
		.amdhsa_reserve_vcc 1
		.amdhsa_float_round_mode_32 0
		.amdhsa_float_round_mode_16_64 0
		.amdhsa_float_denorm_mode_32 3
		.amdhsa_float_denorm_mode_16_64 3
		.amdhsa_dx10_clamp 1
		.amdhsa_ieee_mode 1
		.amdhsa_fp16_overflow 0
		.amdhsa_workgroup_processor_mode 1
		.amdhsa_memory_ordered 1
		.amdhsa_forward_progress 0
		.amdhsa_shared_vgpr_count 0
		.amdhsa_exception_fp_ieee_invalid_op 0
		.amdhsa_exception_fp_denorm_src 0
		.amdhsa_exception_fp_ieee_div_zero 0
		.amdhsa_exception_fp_ieee_overflow 0
		.amdhsa_exception_fp_ieee_underflow 0
		.amdhsa_exception_fp_ieee_inexact 0
		.amdhsa_exception_int_div_zero 0
	.end_amdhsa_kernel
	.section	.text._Z13write_indicesIlEvPl10TensorDimsIT_EiS2_,"axG",@progbits,_Z13write_indicesIlEvPl10TensorDimsIT_EiS2_,comdat
.Lfunc_end80:
	.size	_Z13write_indicesIlEvPl10TensorDimsIT_EiS2_, .Lfunc_end80-_Z13write_indicesIlEvPl10TensorDimsIT_EiS2_
                                        ; -- End function
	.section	.AMDGPU.csdata,"",@progbits
; Kernel info:
; codeLenInByte = 5264
; NumSgprs: 18
; NumVgprs: 16
; ScratchSize: 0
; MemoryBound: 0
; FloatMode: 240
; IeeeMode: 1
; LDSByteSize: 0 bytes/workgroup (compile time only)
; SGPRBlocks: 2
; VGPRBlocks: 1
; NumSGPRsForWavesPerEU: 18
; NumVGPRsForWavesPerEU: 16
; Occupancy: 16
; WaveLimiterHint : 0
; COMPUTE_PGM_RSRC2:SCRATCH_EN: 0
; COMPUTE_PGM_RSRC2:USER_SGPR: 15
; COMPUTE_PGM_RSRC2:TRAP_HANDLER: 0
; COMPUTE_PGM_RSRC2:TGID_X_EN: 1
; COMPUTE_PGM_RSRC2:TGID_Y_EN: 0
; COMPUTE_PGM_RSRC2:TGID_Z_EN: 0
; COMPUTE_PGM_RSRC2:TIDIG_COMP_CNT: 0
	.section	.text._ZN7rocprim17ROCPRIM_400000_NS6detail17trampoline_kernelINS0_14default_configENS1_22reduce_config_selectorIlEEZNS1_11reduce_implILb1ES3_PlS7_lN6hipcub16HIPCUB_304000_NS6detail34convert_binary_result_type_wrapperINS9_3SumENS9_22TransformInputIteratorIb7NonZeroIsEPslEElEEEE10hipError_tPvRmT1_T2_T3_mT4_P12ihipStream_tbEUlT_E0_NS1_11comp_targetILNS1_3genE0ELNS1_11target_archE4294967295ELNS1_3gpuE0ELNS1_3repE0EEENS1_30default_config_static_selectorELNS0_4arch9wavefront6targetE0EEEvSM_,"axG",@progbits,_ZN7rocprim17ROCPRIM_400000_NS6detail17trampoline_kernelINS0_14default_configENS1_22reduce_config_selectorIlEEZNS1_11reduce_implILb1ES3_PlS7_lN6hipcub16HIPCUB_304000_NS6detail34convert_binary_result_type_wrapperINS9_3SumENS9_22TransformInputIteratorIb7NonZeroIsEPslEElEEEE10hipError_tPvRmT1_T2_T3_mT4_P12ihipStream_tbEUlT_E0_NS1_11comp_targetILNS1_3genE0ELNS1_11target_archE4294967295ELNS1_3gpuE0ELNS1_3repE0EEENS1_30default_config_static_selectorELNS0_4arch9wavefront6targetE0EEEvSM_,comdat
	.protected	_ZN7rocprim17ROCPRIM_400000_NS6detail17trampoline_kernelINS0_14default_configENS1_22reduce_config_selectorIlEEZNS1_11reduce_implILb1ES3_PlS7_lN6hipcub16HIPCUB_304000_NS6detail34convert_binary_result_type_wrapperINS9_3SumENS9_22TransformInputIteratorIb7NonZeroIsEPslEElEEEE10hipError_tPvRmT1_T2_T3_mT4_P12ihipStream_tbEUlT_E0_NS1_11comp_targetILNS1_3genE0ELNS1_11target_archE4294967295ELNS1_3gpuE0ELNS1_3repE0EEENS1_30default_config_static_selectorELNS0_4arch9wavefront6targetE0EEEvSM_ ; -- Begin function _ZN7rocprim17ROCPRIM_400000_NS6detail17trampoline_kernelINS0_14default_configENS1_22reduce_config_selectorIlEEZNS1_11reduce_implILb1ES3_PlS7_lN6hipcub16HIPCUB_304000_NS6detail34convert_binary_result_type_wrapperINS9_3SumENS9_22TransformInputIteratorIb7NonZeroIsEPslEElEEEE10hipError_tPvRmT1_T2_T3_mT4_P12ihipStream_tbEUlT_E0_NS1_11comp_targetILNS1_3genE0ELNS1_11target_archE4294967295ELNS1_3gpuE0ELNS1_3repE0EEENS1_30default_config_static_selectorELNS0_4arch9wavefront6targetE0EEEvSM_
	.globl	_ZN7rocprim17ROCPRIM_400000_NS6detail17trampoline_kernelINS0_14default_configENS1_22reduce_config_selectorIlEEZNS1_11reduce_implILb1ES3_PlS7_lN6hipcub16HIPCUB_304000_NS6detail34convert_binary_result_type_wrapperINS9_3SumENS9_22TransformInputIteratorIb7NonZeroIsEPslEElEEEE10hipError_tPvRmT1_T2_T3_mT4_P12ihipStream_tbEUlT_E0_NS1_11comp_targetILNS1_3genE0ELNS1_11target_archE4294967295ELNS1_3gpuE0ELNS1_3repE0EEENS1_30default_config_static_selectorELNS0_4arch9wavefront6targetE0EEEvSM_
	.p2align	8
	.type	_ZN7rocprim17ROCPRIM_400000_NS6detail17trampoline_kernelINS0_14default_configENS1_22reduce_config_selectorIlEEZNS1_11reduce_implILb1ES3_PlS7_lN6hipcub16HIPCUB_304000_NS6detail34convert_binary_result_type_wrapperINS9_3SumENS9_22TransformInputIteratorIb7NonZeroIsEPslEElEEEE10hipError_tPvRmT1_T2_T3_mT4_P12ihipStream_tbEUlT_E0_NS1_11comp_targetILNS1_3genE0ELNS1_11target_archE4294967295ELNS1_3gpuE0ELNS1_3repE0EEENS1_30default_config_static_selectorELNS0_4arch9wavefront6targetE0EEEvSM_,@function
_ZN7rocprim17ROCPRIM_400000_NS6detail17trampoline_kernelINS0_14default_configENS1_22reduce_config_selectorIlEEZNS1_11reduce_implILb1ES3_PlS7_lN6hipcub16HIPCUB_304000_NS6detail34convert_binary_result_type_wrapperINS9_3SumENS9_22TransformInputIteratorIb7NonZeroIsEPslEElEEEE10hipError_tPvRmT1_T2_T3_mT4_P12ihipStream_tbEUlT_E0_NS1_11comp_targetILNS1_3genE0ELNS1_11target_archE4294967295ELNS1_3gpuE0ELNS1_3repE0EEENS1_30default_config_static_selectorELNS0_4arch9wavefront6targetE0EEEvSM_: ; @_ZN7rocprim17ROCPRIM_400000_NS6detail17trampoline_kernelINS0_14default_configENS1_22reduce_config_selectorIlEEZNS1_11reduce_implILb1ES3_PlS7_lN6hipcub16HIPCUB_304000_NS6detail34convert_binary_result_type_wrapperINS9_3SumENS9_22TransformInputIteratorIb7NonZeroIsEPslEElEEEE10hipError_tPvRmT1_T2_T3_mT4_P12ihipStream_tbEUlT_E0_NS1_11comp_targetILNS1_3genE0ELNS1_11target_archE4294967295ELNS1_3gpuE0ELNS1_3repE0EEENS1_30default_config_static_selectorELNS0_4arch9wavefront6targetE0EEEvSM_
; %bb.0:
	.section	.rodata,"a",@progbits
	.p2align	6, 0x0
	.amdhsa_kernel _ZN7rocprim17ROCPRIM_400000_NS6detail17trampoline_kernelINS0_14default_configENS1_22reduce_config_selectorIlEEZNS1_11reduce_implILb1ES3_PlS7_lN6hipcub16HIPCUB_304000_NS6detail34convert_binary_result_type_wrapperINS9_3SumENS9_22TransformInputIteratorIb7NonZeroIsEPslEElEEEE10hipError_tPvRmT1_T2_T3_mT4_P12ihipStream_tbEUlT_E0_NS1_11comp_targetILNS1_3genE0ELNS1_11target_archE4294967295ELNS1_3gpuE0ELNS1_3repE0EEENS1_30default_config_static_selectorELNS0_4arch9wavefront6targetE0EEEvSM_
		.amdhsa_group_segment_fixed_size 0
		.amdhsa_private_segment_fixed_size 0
		.amdhsa_kernarg_size 64
		.amdhsa_user_sgpr_count 15
		.amdhsa_user_sgpr_dispatch_ptr 0
		.amdhsa_user_sgpr_queue_ptr 0
		.amdhsa_user_sgpr_kernarg_segment_ptr 1
		.amdhsa_user_sgpr_dispatch_id 0
		.amdhsa_user_sgpr_private_segment_size 0
		.amdhsa_wavefront_size32 1
		.amdhsa_uses_dynamic_stack 0
		.amdhsa_enable_private_segment 0
		.amdhsa_system_sgpr_workgroup_id_x 1
		.amdhsa_system_sgpr_workgroup_id_y 0
		.amdhsa_system_sgpr_workgroup_id_z 0
		.amdhsa_system_sgpr_workgroup_info 0
		.amdhsa_system_vgpr_workitem_id 0
		.amdhsa_next_free_vgpr 1
		.amdhsa_next_free_sgpr 1
		.amdhsa_reserve_vcc 0
		.amdhsa_float_round_mode_32 0
		.amdhsa_float_round_mode_16_64 0
		.amdhsa_float_denorm_mode_32 3
		.amdhsa_float_denorm_mode_16_64 3
		.amdhsa_dx10_clamp 1
		.amdhsa_ieee_mode 1
		.amdhsa_fp16_overflow 0
		.amdhsa_workgroup_processor_mode 1
		.amdhsa_memory_ordered 1
		.amdhsa_forward_progress 0
		.amdhsa_shared_vgpr_count 0
		.amdhsa_exception_fp_ieee_invalid_op 0
		.amdhsa_exception_fp_denorm_src 0
		.amdhsa_exception_fp_ieee_div_zero 0
		.amdhsa_exception_fp_ieee_overflow 0
		.amdhsa_exception_fp_ieee_underflow 0
		.amdhsa_exception_fp_ieee_inexact 0
		.amdhsa_exception_int_div_zero 0
	.end_amdhsa_kernel
	.section	.text._ZN7rocprim17ROCPRIM_400000_NS6detail17trampoline_kernelINS0_14default_configENS1_22reduce_config_selectorIlEEZNS1_11reduce_implILb1ES3_PlS7_lN6hipcub16HIPCUB_304000_NS6detail34convert_binary_result_type_wrapperINS9_3SumENS9_22TransformInputIteratorIb7NonZeroIsEPslEElEEEE10hipError_tPvRmT1_T2_T3_mT4_P12ihipStream_tbEUlT_E0_NS1_11comp_targetILNS1_3genE0ELNS1_11target_archE4294967295ELNS1_3gpuE0ELNS1_3repE0EEENS1_30default_config_static_selectorELNS0_4arch9wavefront6targetE0EEEvSM_,"axG",@progbits,_ZN7rocprim17ROCPRIM_400000_NS6detail17trampoline_kernelINS0_14default_configENS1_22reduce_config_selectorIlEEZNS1_11reduce_implILb1ES3_PlS7_lN6hipcub16HIPCUB_304000_NS6detail34convert_binary_result_type_wrapperINS9_3SumENS9_22TransformInputIteratorIb7NonZeroIsEPslEElEEEE10hipError_tPvRmT1_T2_T3_mT4_P12ihipStream_tbEUlT_E0_NS1_11comp_targetILNS1_3genE0ELNS1_11target_archE4294967295ELNS1_3gpuE0ELNS1_3repE0EEENS1_30default_config_static_selectorELNS0_4arch9wavefront6targetE0EEEvSM_,comdat
.Lfunc_end81:
	.size	_ZN7rocprim17ROCPRIM_400000_NS6detail17trampoline_kernelINS0_14default_configENS1_22reduce_config_selectorIlEEZNS1_11reduce_implILb1ES3_PlS7_lN6hipcub16HIPCUB_304000_NS6detail34convert_binary_result_type_wrapperINS9_3SumENS9_22TransformInputIteratorIb7NonZeroIsEPslEElEEEE10hipError_tPvRmT1_T2_T3_mT4_P12ihipStream_tbEUlT_E0_NS1_11comp_targetILNS1_3genE0ELNS1_11target_archE4294967295ELNS1_3gpuE0ELNS1_3repE0EEENS1_30default_config_static_selectorELNS0_4arch9wavefront6targetE0EEEvSM_, .Lfunc_end81-_ZN7rocprim17ROCPRIM_400000_NS6detail17trampoline_kernelINS0_14default_configENS1_22reduce_config_selectorIlEEZNS1_11reduce_implILb1ES3_PlS7_lN6hipcub16HIPCUB_304000_NS6detail34convert_binary_result_type_wrapperINS9_3SumENS9_22TransformInputIteratorIb7NonZeroIsEPslEElEEEE10hipError_tPvRmT1_T2_T3_mT4_P12ihipStream_tbEUlT_E0_NS1_11comp_targetILNS1_3genE0ELNS1_11target_archE4294967295ELNS1_3gpuE0ELNS1_3repE0EEENS1_30default_config_static_selectorELNS0_4arch9wavefront6targetE0EEEvSM_
                                        ; -- End function
	.section	.AMDGPU.csdata,"",@progbits
; Kernel info:
; codeLenInByte = 0
; NumSgprs: 0
; NumVgprs: 0
; ScratchSize: 0
; MemoryBound: 0
; FloatMode: 240
; IeeeMode: 1
; LDSByteSize: 0 bytes/workgroup (compile time only)
; SGPRBlocks: 0
; VGPRBlocks: 0
; NumSGPRsForWavesPerEU: 1
; NumVGPRsForWavesPerEU: 1
; Occupancy: 16
; WaveLimiterHint : 0
; COMPUTE_PGM_RSRC2:SCRATCH_EN: 0
; COMPUTE_PGM_RSRC2:USER_SGPR: 15
; COMPUTE_PGM_RSRC2:TRAP_HANDLER: 0
; COMPUTE_PGM_RSRC2:TGID_X_EN: 1
; COMPUTE_PGM_RSRC2:TGID_Y_EN: 0
; COMPUTE_PGM_RSRC2:TGID_Z_EN: 0
; COMPUTE_PGM_RSRC2:TIDIG_COMP_CNT: 0
	.section	.text._ZN7rocprim17ROCPRIM_400000_NS6detail17trampoline_kernelINS0_14default_configENS1_22reduce_config_selectorIlEEZNS1_11reduce_implILb1ES3_PlS7_lN6hipcub16HIPCUB_304000_NS6detail34convert_binary_result_type_wrapperINS9_3SumENS9_22TransformInputIteratorIb7NonZeroIsEPslEElEEEE10hipError_tPvRmT1_T2_T3_mT4_P12ihipStream_tbEUlT_E0_NS1_11comp_targetILNS1_3genE5ELNS1_11target_archE942ELNS1_3gpuE9ELNS1_3repE0EEENS1_30default_config_static_selectorELNS0_4arch9wavefront6targetE0EEEvSM_,"axG",@progbits,_ZN7rocprim17ROCPRIM_400000_NS6detail17trampoline_kernelINS0_14default_configENS1_22reduce_config_selectorIlEEZNS1_11reduce_implILb1ES3_PlS7_lN6hipcub16HIPCUB_304000_NS6detail34convert_binary_result_type_wrapperINS9_3SumENS9_22TransformInputIteratorIb7NonZeroIsEPslEElEEEE10hipError_tPvRmT1_T2_T3_mT4_P12ihipStream_tbEUlT_E0_NS1_11comp_targetILNS1_3genE5ELNS1_11target_archE942ELNS1_3gpuE9ELNS1_3repE0EEENS1_30default_config_static_selectorELNS0_4arch9wavefront6targetE0EEEvSM_,comdat
	.protected	_ZN7rocprim17ROCPRIM_400000_NS6detail17trampoline_kernelINS0_14default_configENS1_22reduce_config_selectorIlEEZNS1_11reduce_implILb1ES3_PlS7_lN6hipcub16HIPCUB_304000_NS6detail34convert_binary_result_type_wrapperINS9_3SumENS9_22TransformInputIteratorIb7NonZeroIsEPslEElEEEE10hipError_tPvRmT1_T2_T3_mT4_P12ihipStream_tbEUlT_E0_NS1_11comp_targetILNS1_3genE5ELNS1_11target_archE942ELNS1_3gpuE9ELNS1_3repE0EEENS1_30default_config_static_selectorELNS0_4arch9wavefront6targetE0EEEvSM_ ; -- Begin function _ZN7rocprim17ROCPRIM_400000_NS6detail17trampoline_kernelINS0_14default_configENS1_22reduce_config_selectorIlEEZNS1_11reduce_implILb1ES3_PlS7_lN6hipcub16HIPCUB_304000_NS6detail34convert_binary_result_type_wrapperINS9_3SumENS9_22TransformInputIteratorIb7NonZeroIsEPslEElEEEE10hipError_tPvRmT1_T2_T3_mT4_P12ihipStream_tbEUlT_E0_NS1_11comp_targetILNS1_3genE5ELNS1_11target_archE942ELNS1_3gpuE9ELNS1_3repE0EEENS1_30default_config_static_selectorELNS0_4arch9wavefront6targetE0EEEvSM_
	.globl	_ZN7rocprim17ROCPRIM_400000_NS6detail17trampoline_kernelINS0_14default_configENS1_22reduce_config_selectorIlEEZNS1_11reduce_implILb1ES3_PlS7_lN6hipcub16HIPCUB_304000_NS6detail34convert_binary_result_type_wrapperINS9_3SumENS9_22TransformInputIteratorIb7NonZeroIsEPslEElEEEE10hipError_tPvRmT1_T2_T3_mT4_P12ihipStream_tbEUlT_E0_NS1_11comp_targetILNS1_3genE5ELNS1_11target_archE942ELNS1_3gpuE9ELNS1_3repE0EEENS1_30default_config_static_selectorELNS0_4arch9wavefront6targetE0EEEvSM_
	.p2align	8
	.type	_ZN7rocprim17ROCPRIM_400000_NS6detail17trampoline_kernelINS0_14default_configENS1_22reduce_config_selectorIlEEZNS1_11reduce_implILb1ES3_PlS7_lN6hipcub16HIPCUB_304000_NS6detail34convert_binary_result_type_wrapperINS9_3SumENS9_22TransformInputIteratorIb7NonZeroIsEPslEElEEEE10hipError_tPvRmT1_T2_T3_mT4_P12ihipStream_tbEUlT_E0_NS1_11comp_targetILNS1_3genE5ELNS1_11target_archE942ELNS1_3gpuE9ELNS1_3repE0EEENS1_30default_config_static_selectorELNS0_4arch9wavefront6targetE0EEEvSM_,@function
_ZN7rocprim17ROCPRIM_400000_NS6detail17trampoline_kernelINS0_14default_configENS1_22reduce_config_selectorIlEEZNS1_11reduce_implILb1ES3_PlS7_lN6hipcub16HIPCUB_304000_NS6detail34convert_binary_result_type_wrapperINS9_3SumENS9_22TransformInputIteratorIb7NonZeroIsEPslEElEEEE10hipError_tPvRmT1_T2_T3_mT4_P12ihipStream_tbEUlT_E0_NS1_11comp_targetILNS1_3genE5ELNS1_11target_archE942ELNS1_3gpuE9ELNS1_3repE0EEENS1_30default_config_static_selectorELNS0_4arch9wavefront6targetE0EEEvSM_: ; @_ZN7rocprim17ROCPRIM_400000_NS6detail17trampoline_kernelINS0_14default_configENS1_22reduce_config_selectorIlEEZNS1_11reduce_implILb1ES3_PlS7_lN6hipcub16HIPCUB_304000_NS6detail34convert_binary_result_type_wrapperINS9_3SumENS9_22TransformInputIteratorIb7NonZeroIsEPslEElEEEE10hipError_tPvRmT1_T2_T3_mT4_P12ihipStream_tbEUlT_E0_NS1_11comp_targetILNS1_3genE5ELNS1_11target_archE942ELNS1_3gpuE9ELNS1_3repE0EEENS1_30default_config_static_selectorELNS0_4arch9wavefront6targetE0EEEvSM_
; %bb.0:
	.section	.rodata,"a",@progbits
	.p2align	6, 0x0
	.amdhsa_kernel _ZN7rocprim17ROCPRIM_400000_NS6detail17trampoline_kernelINS0_14default_configENS1_22reduce_config_selectorIlEEZNS1_11reduce_implILb1ES3_PlS7_lN6hipcub16HIPCUB_304000_NS6detail34convert_binary_result_type_wrapperINS9_3SumENS9_22TransformInputIteratorIb7NonZeroIsEPslEElEEEE10hipError_tPvRmT1_T2_T3_mT4_P12ihipStream_tbEUlT_E0_NS1_11comp_targetILNS1_3genE5ELNS1_11target_archE942ELNS1_3gpuE9ELNS1_3repE0EEENS1_30default_config_static_selectorELNS0_4arch9wavefront6targetE0EEEvSM_
		.amdhsa_group_segment_fixed_size 0
		.amdhsa_private_segment_fixed_size 0
		.amdhsa_kernarg_size 64
		.amdhsa_user_sgpr_count 15
		.amdhsa_user_sgpr_dispatch_ptr 0
		.amdhsa_user_sgpr_queue_ptr 0
		.amdhsa_user_sgpr_kernarg_segment_ptr 1
		.amdhsa_user_sgpr_dispatch_id 0
		.amdhsa_user_sgpr_private_segment_size 0
		.amdhsa_wavefront_size32 1
		.amdhsa_uses_dynamic_stack 0
		.amdhsa_enable_private_segment 0
		.amdhsa_system_sgpr_workgroup_id_x 1
		.amdhsa_system_sgpr_workgroup_id_y 0
		.amdhsa_system_sgpr_workgroup_id_z 0
		.amdhsa_system_sgpr_workgroup_info 0
		.amdhsa_system_vgpr_workitem_id 0
		.amdhsa_next_free_vgpr 1
		.amdhsa_next_free_sgpr 1
		.amdhsa_reserve_vcc 0
		.amdhsa_float_round_mode_32 0
		.amdhsa_float_round_mode_16_64 0
		.amdhsa_float_denorm_mode_32 3
		.amdhsa_float_denorm_mode_16_64 3
		.amdhsa_dx10_clamp 1
		.amdhsa_ieee_mode 1
		.amdhsa_fp16_overflow 0
		.amdhsa_workgroup_processor_mode 1
		.amdhsa_memory_ordered 1
		.amdhsa_forward_progress 0
		.amdhsa_shared_vgpr_count 0
		.amdhsa_exception_fp_ieee_invalid_op 0
		.amdhsa_exception_fp_denorm_src 0
		.amdhsa_exception_fp_ieee_div_zero 0
		.amdhsa_exception_fp_ieee_overflow 0
		.amdhsa_exception_fp_ieee_underflow 0
		.amdhsa_exception_fp_ieee_inexact 0
		.amdhsa_exception_int_div_zero 0
	.end_amdhsa_kernel
	.section	.text._ZN7rocprim17ROCPRIM_400000_NS6detail17trampoline_kernelINS0_14default_configENS1_22reduce_config_selectorIlEEZNS1_11reduce_implILb1ES3_PlS7_lN6hipcub16HIPCUB_304000_NS6detail34convert_binary_result_type_wrapperINS9_3SumENS9_22TransformInputIteratorIb7NonZeroIsEPslEElEEEE10hipError_tPvRmT1_T2_T3_mT4_P12ihipStream_tbEUlT_E0_NS1_11comp_targetILNS1_3genE5ELNS1_11target_archE942ELNS1_3gpuE9ELNS1_3repE0EEENS1_30default_config_static_selectorELNS0_4arch9wavefront6targetE0EEEvSM_,"axG",@progbits,_ZN7rocprim17ROCPRIM_400000_NS6detail17trampoline_kernelINS0_14default_configENS1_22reduce_config_selectorIlEEZNS1_11reduce_implILb1ES3_PlS7_lN6hipcub16HIPCUB_304000_NS6detail34convert_binary_result_type_wrapperINS9_3SumENS9_22TransformInputIteratorIb7NonZeroIsEPslEElEEEE10hipError_tPvRmT1_T2_T3_mT4_P12ihipStream_tbEUlT_E0_NS1_11comp_targetILNS1_3genE5ELNS1_11target_archE942ELNS1_3gpuE9ELNS1_3repE0EEENS1_30default_config_static_selectorELNS0_4arch9wavefront6targetE0EEEvSM_,comdat
.Lfunc_end82:
	.size	_ZN7rocprim17ROCPRIM_400000_NS6detail17trampoline_kernelINS0_14default_configENS1_22reduce_config_selectorIlEEZNS1_11reduce_implILb1ES3_PlS7_lN6hipcub16HIPCUB_304000_NS6detail34convert_binary_result_type_wrapperINS9_3SumENS9_22TransformInputIteratorIb7NonZeroIsEPslEElEEEE10hipError_tPvRmT1_T2_T3_mT4_P12ihipStream_tbEUlT_E0_NS1_11comp_targetILNS1_3genE5ELNS1_11target_archE942ELNS1_3gpuE9ELNS1_3repE0EEENS1_30default_config_static_selectorELNS0_4arch9wavefront6targetE0EEEvSM_, .Lfunc_end82-_ZN7rocprim17ROCPRIM_400000_NS6detail17trampoline_kernelINS0_14default_configENS1_22reduce_config_selectorIlEEZNS1_11reduce_implILb1ES3_PlS7_lN6hipcub16HIPCUB_304000_NS6detail34convert_binary_result_type_wrapperINS9_3SumENS9_22TransformInputIteratorIb7NonZeroIsEPslEElEEEE10hipError_tPvRmT1_T2_T3_mT4_P12ihipStream_tbEUlT_E0_NS1_11comp_targetILNS1_3genE5ELNS1_11target_archE942ELNS1_3gpuE9ELNS1_3repE0EEENS1_30default_config_static_selectorELNS0_4arch9wavefront6targetE0EEEvSM_
                                        ; -- End function
	.section	.AMDGPU.csdata,"",@progbits
; Kernel info:
; codeLenInByte = 0
; NumSgprs: 0
; NumVgprs: 0
; ScratchSize: 0
; MemoryBound: 0
; FloatMode: 240
; IeeeMode: 1
; LDSByteSize: 0 bytes/workgroup (compile time only)
; SGPRBlocks: 0
; VGPRBlocks: 0
; NumSGPRsForWavesPerEU: 1
; NumVGPRsForWavesPerEU: 1
; Occupancy: 16
; WaveLimiterHint : 0
; COMPUTE_PGM_RSRC2:SCRATCH_EN: 0
; COMPUTE_PGM_RSRC2:USER_SGPR: 15
; COMPUTE_PGM_RSRC2:TRAP_HANDLER: 0
; COMPUTE_PGM_RSRC2:TGID_X_EN: 1
; COMPUTE_PGM_RSRC2:TGID_Y_EN: 0
; COMPUTE_PGM_RSRC2:TGID_Z_EN: 0
; COMPUTE_PGM_RSRC2:TIDIG_COMP_CNT: 0
	.section	.text._ZN7rocprim17ROCPRIM_400000_NS6detail17trampoline_kernelINS0_14default_configENS1_22reduce_config_selectorIlEEZNS1_11reduce_implILb1ES3_PlS7_lN6hipcub16HIPCUB_304000_NS6detail34convert_binary_result_type_wrapperINS9_3SumENS9_22TransformInputIteratorIb7NonZeroIsEPslEElEEEE10hipError_tPvRmT1_T2_T3_mT4_P12ihipStream_tbEUlT_E0_NS1_11comp_targetILNS1_3genE4ELNS1_11target_archE910ELNS1_3gpuE8ELNS1_3repE0EEENS1_30default_config_static_selectorELNS0_4arch9wavefront6targetE0EEEvSM_,"axG",@progbits,_ZN7rocprim17ROCPRIM_400000_NS6detail17trampoline_kernelINS0_14default_configENS1_22reduce_config_selectorIlEEZNS1_11reduce_implILb1ES3_PlS7_lN6hipcub16HIPCUB_304000_NS6detail34convert_binary_result_type_wrapperINS9_3SumENS9_22TransformInputIteratorIb7NonZeroIsEPslEElEEEE10hipError_tPvRmT1_T2_T3_mT4_P12ihipStream_tbEUlT_E0_NS1_11comp_targetILNS1_3genE4ELNS1_11target_archE910ELNS1_3gpuE8ELNS1_3repE0EEENS1_30default_config_static_selectorELNS0_4arch9wavefront6targetE0EEEvSM_,comdat
	.protected	_ZN7rocprim17ROCPRIM_400000_NS6detail17trampoline_kernelINS0_14default_configENS1_22reduce_config_selectorIlEEZNS1_11reduce_implILb1ES3_PlS7_lN6hipcub16HIPCUB_304000_NS6detail34convert_binary_result_type_wrapperINS9_3SumENS9_22TransformInputIteratorIb7NonZeroIsEPslEElEEEE10hipError_tPvRmT1_T2_T3_mT4_P12ihipStream_tbEUlT_E0_NS1_11comp_targetILNS1_3genE4ELNS1_11target_archE910ELNS1_3gpuE8ELNS1_3repE0EEENS1_30default_config_static_selectorELNS0_4arch9wavefront6targetE0EEEvSM_ ; -- Begin function _ZN7rocprim17ROCPRIM_400000_NS6detail17trampoline_kernelINS0_14default_configENS1_22reduce_config_selectorIlEEZNS1_11reduce_implILb1ES3_PlS7_lN6hipcub16HIPCUB_304000_NS6detail34convert_binary_result_type_wrapperINS9_3SumENS9_22TransformInputIteratorIb7NonZeroIsEPslEElEEEE10hipError_tPvRmT1_T2_T3_mT4_P12ihipStream_tbEUlT_E0_NS1_11comp_targetILNS1_3genE4ELNS1_11target_archE910ELNS1_3gpuE8ELNS1_3repE0EEENS1_30default_config_static_selectorELNS0_4arch9wavefront6targetE0EEEvSM_
	.globl	_ZN7rocprim17ROCPRIM_400000_NS6detail17trampoline_kernelINS0_14default_configENS1_22reduce_config_selectorIlEEZNS1_11reduce_implILb1ES3_PlS7_lN6hipcub16HIPCUB_304000_NS6detail34convert_binary_result_type_wrapperINS9_3SumENS9_22TransformInputIteratorIb7NonZeroIsEPslEElEEEE10hipError_tPvRmT1_T2_T3_mT4_P12ihipStream_tbEUlT_E0_NS1_11comp_targetILNS1_3genE4ELNS1_11target_archE910ELNS1_3gpuE8ELNS1_3repE0EEENS1_30default_config_static_selectorELNS0_4arch9wavefront6targetE0EEEvSM_
	.p2align	8
	.type	_ZN7rocprim17ROCPRIM_400000_NS6detail17trampoline_kernelINS0_14default_configENS1_22reduce_config_selectorIlEEZNS1_11reduce_implILb1ES3_PlS7_lN6hipcub16HIPCUB_304000_NS6detail34convert_binary_result_type_wrapperINS9_3SumENS9_22TransformInputIteratorIb7NonZeroIsEPslEElEEEE10hipError_tPvRmT1_T2_T3_mT4_P12ihipStream_tbEUlT_E0_NS1_11comp_targetILNS1_3genE4ELNS1_11target_archE910ELNS1_3gpuE8ELNS1_3repE0EEENS1_30default_config_static_selectorELNS0_4arch9wavefront6targetE0EEEvSM_,@function
_ZN7rocprim17ROCPRIM_400000_NS6detail17trampoline_kernelINS0_14default_configENS1_22reduce_config_selectorIlEEZNS1_11reduce_implILb1ES3_PlS7_lN6hipcub16HIPCUB_304000_NS6detail34convert_binary_result_type_wrapperINS9_3SumENS9_22TransformInputIteratorIb7NonZeroIsEPslEElEEEE10hipError_tPvRmT1_T2_T3_mT4_P12ihipStream_tbEUlT_E0_NS1_11comp_targetILNS1_3genE4ELNS1_11target_archE910ELNS1_3gpuE8ELNS1_3repE0EEENS1_30default_config_static_selectorELNS0_4arch9wavefront6targetE0EEEvSM_: ; @_ZN7rocprim17ROCPRIM_400000_NS6detail17trampoline_kernelINS0_14default_configENS1_22reduce_config_selectorIlEEZNS1_11reduce_implILb1ES3_PlS7_lN6hipcub16HIPCUB_304000_NS6detail34convert_binary_result_type_wrapperINS9_3SumENS9_22TransformInputIteratorIb7NonZeroIsEPslEElEEEE10hipError_tPvRmT1_T2_T3_mT4_P12ihipStream_tbEUlT_E0_NS1_11comp_targetILNS1_3genE4ELNS1_11target_archE910ELNS1_3gpuE8ELNS1_3repE0EEENS1_30default_config_static_selectorELNS0_4arch9wavefront6targetE0EEEvSM_
; %bb.0:
	.section	.rodata,"a",@progbits
	.p2align	6, 0x0
	.amdhsa_kernel _ZN7rocprim17ROCPRIM_400000_NS6detail17trampoline_kernelINS0_14default_configENS1_22reduce_config_selectorIlEEZNS1_11reduce_implILb1ES3_PlS7_lN6hipcub16HIPCUB_304000_NS6detail34convert_binary_result_type_wrapperINS9_3SumENS9_22TransformInputIteratorIb7NonZeroIsEPslEElEEEE10hipError_tPvRmT1_T2_T3_mT4_P12ihipStream_tbEUlT_E0_NS1_11comp_targetILNS1_3genE4ELNS1_11target_archE910ELNS1_3gpuE8ELNS1_3repE0EEENS1_30default_config_static_selectorELNS0_4arch9wavefront6targetE0EEEvSM_
		.amdhsa_group_segment_fixed_size 0
		.amdhsa_private_segment_fixed_size 0
		.amdhsa_kernarg_size 64
		.amdhsa_user_sgpr_count 15
		.amdhsa_user_sgpr_dispatch_ptr 0
		.amdhsa_user_sgpr_queue_ptr 0
		.amdhsa_user_sgpr_kernarg_segment_ptr 1
		.amdhsa_user_sgpr_dispatch_id 0
		.amdhsa_user_sgpr_private_segment_size 0
		.amdhsa_wavefront_size32 1
		.amdhsa_uses_dynamic_stack 0
		.amdhsa_enable_private_segment 0
		.amdhsa_system_sgpr_workgroup_id_x 1
		.amdhsa_system_sgpr_workgroup_id_y 0
		.amdhsa_system_sgpr_workgroup_id_z 0
		.amdhsa_system_sgpr_workgroup_info 0
		.amdhsa_system_vgpr_workitem_id 0
		.amdhsa_next_free_vgpr 1
		.amdhsa_next_free_sgpr 1
		.amdhsa_reserve_vcc 0
		.amdhsa_float_round_mode_32 0
		.amdhsa_float_round_mode_16_64 0
		.amdhsa_float_denorm_mode_32 3
		.amdhsa_float_denorm_mode_16_64 3
		.amdhsa_dx10_clamp 1
		.amdhsa_ieee_mode 1
		.amdhsa_fp16_overflow 0
		.amdhsa_workgroup_processor_mode 1
		.amdhsa_memory_ordered 1
		.amdhsa_forward_progress 0
		.amdhsa_shared_vgpr_count 0
		.amdhsa_exception_fp_ieee_invalid_op 0
		.amdhsa_exception_fp_denorm_src 0
		.amdhsa_exception_fp_ieee_div_zero 0
		.amdhsa_exception_fp_ieee_overflow 0
		.amdhsa_exception_fp_ieee_underflow 0
		.amdhsa_exception_fp_ieee_inexact 0
		.amdhsa_exception_int_div_zero 0
	.end_amdhsa_kernel
	.section	.text._ZN7rocprim17ROCPRIM_400000_NS6detail17trampoline_kernelINS0_14default_configENS1_22reduce_config_selectorIlEEZNS1_11reduce_implILb1ES3_PlS7_lN6hipcub16HIPCUB_304000_NS6detail34convert_binary_result_type_wrapperINS9_3SumENS9_22TransformInputIteratorIb7NonZeroIsEPslEElEEEE10hipError_tPvRmT1_T2_T3_mT4_P12ihipStream_tbEUlT_E0_NS1_11comp_targetILNS1_3genE4ELNS1_11target_archE910ELNS1_3gpuE8ELNS1_3repE0EEENS1_30default_config_static_selectorELNS0_4arch9wavefront6targetE0EEEvSM_,"axG",@progbits,_ZN7rocprim17ROCPRIM_400000_NS6detail17trampoline_kernelINS0_14default_configENS1_22reduce_config_selectorIlEEZNS1_11reduce_implILb1ES3_PlS7_lN6hipcub16HIPCUB_304000_NS6detail34convert_binary_result_type_wrapperINS9_3SumENS9_22TransformInputIteratorIb7NonZeroIsEPslEElEEEE10hipError_tPvRmT1_T2_T3_mT4_P12ihipStream_tbEUlT_E0_NS1_11comp_targetILNS1_3genE4ELNS1_11target_archE910ELNS1_3gpuE8ELNS1_3repE0EEENS1_30default_config_static_selectorELNS0_4arch9wavefront6targetE0EEEvSM_,comdat
.Lfunc_end83:
	.size	_ZN7rocprim17ROCPRIM_400000_NS6detail17trampoline_kernelINS0_14default_configENS1_22reduce_config_selectorIlEEZNS1_11reduce_implILb1ES3_PlS7_lN6hipcub16HIPCUB_304000_NS6detail34convert_binary_result_type_wrapperINS9_3SumENS9_22TransformInputIteratorIb7NonZeroIsEPslEElEEEE10hipError_tPvRmT1_T2_T3_mT4_P12ihipStream_tbEUlT_E0_NS1_11comp_targetILNS1_3genE4ELNS1_11target_archE910ELNS1_3gpuE8ELNS1_3repE0EEENS1_30default_config_static_selectorELNS0_4arch9wavefront6targetE0EEEvSM_, .Lfunc_end83-_ZN7rocprim17ROCPRIM_400000_NS6detail17trampoline_kernelINS0_14default_configENS1_22reduce_config_selectorIlEEZNS1_11reduce_implILb1ES3_PlS7_lN6hipcub16HIPCUB_304000_NS6detail34convert_binary_result_type_wrapperINS9_3SumENS9_22TransformInputIteratorIb7NonZeroIsEPslEElEEEE10hipError_tPvRmT1_T2_T3_mT4_P12ihipStream_tbEUlT_E0_NS1_11comp_targetILNS1_3genE4ELNS1_11target_archE910ELNS1_3gpuE8ELNS1_3repE0EEENS1_30default_config_static_selectorELNS0_4arch9wavefront6targetE0EEEvSM_
                                        ; -- End function
	.section	.AMDGPU.csdata,"",@progbits
; Kernel info:
; codeLenInByte = 0
; NumSgprs: 0
; NumVgprs: 0
; ScratchSize: 0
; MemoryBound: 0
; FloatMode: 240
; IeeeMode: 1
; LDSByteSize: 0 bytes/workgroup (compile time only)
; SGPRBlocks: 0
; VGPRBlocks: 0
; NumSGPRsForWavesPerEU: 1
; NumVGPRsForWavesPerEU: 1
; Occupancy: 16
; WaveLimiterHint : 0
; COMPUTE_PGM_RSRC2:SCRATCH_EN: 0
; COMPUTE_PGM_RSRC2:USER_SGPR: 15
; COMPUTE_PGM_RSRC2:TRAP_HANDLER: 0
; COMPUTE_PGM_RSRC2:TGID_X_EN: 1
; COMPUTE_PGM_RSRC2:TGID_Y_EN: 0
; COMPUTE_PGM_RSRC2:TGID_Z_EN: 0
; COMPUTE_PGM_RSRC2:TIDIG_COMP_CNT: 0
	.section	.text._ZN7rocprim17ROCPRIM_400000_NS6detail17trampoline_kernelINS0_14default_configENS1_22reduce_config_selectorIlEEZNS1_11reduce_implILb1ES3_PlS7_lN6hipcub16HIPCUB_304000_NS6detail34convert_binary_result_type_wrapperINS9_3SumENS9_22TransformInputIteratorIb7NonZeroIsEPslEElEEEE10hipError_tPvRmT1_T2_T3_mT4_P12ihipStream_tbEUlT_E0_NS1_11comp_targetILNS1_3genE3ELNS1_11target_archE908ELNS1_3gpuE7ELNS1_3repE0EEENS1_30default_config_static_selectorELNS0_4arch9wavefront6targetE0EEEvSM_,"axG",@progbits,_ZN7rocprim17ROCPRIM_400000_NS6detail17trampoline_kernelINS0_14default_configENS1_22reduce_config_selectorIlEEZNS1_11reduce_implILb1ES3_PlS7_lN6hipcub16HIPCUB_304000_NS6detail34convert_binary_result_type_wrapperINS9_3SumENS9_22TransformInputIteratorIb7NonZeroIsEPslEElEEEE10hipError_tPvRmT1_T2_T3_mT4_P12ihipStream_tbEUlT_E0_NS1_11comp_targetILNS1_3genE3ELNS1_11target_archE908ELNS1_3gpuE7ELNS1_3repE0EEENS1_30default_config_static_selectorELNS0_4arch9wavefront6targetE0EEEvSM_,comdat
	.protected	_ZN7rocprim17ROCPRIM_400000_NS6detail17trampoline_kernelINS0_14default_configENS1_22reduce_config_selectorIlEEZNS1_11reduce_implILb1ES3_PlS7_lN6hipcub16HIPCUB_304000_NS6detail34convert_binary_result_type_wrapperINS9_3SumENS9_22TransformInputIteratorIb7NonZeroIsEPslEElEEEE10hipError_tPvRmT1_T2_T3_mT4_P12ihipStream_tbEUlT_E0_NS1_11comp_targetILNS1_3genE3ELNS1_11target_archE908ELNS1_3gpuE7ELNS1_3repE0EEENS1_30default_config_static_selectorELNS0_4arch9wavefront6targetE0EEEvSM_ ; -- Begin function _ZN7rocprim17ROCPRIM_400000_NS6detail17trampoline_kernelINS0_14default_configENS1_22reduce_config_selectorIlEEZNS1_11reduce_implILb1ES3_PlS7_lN6hipcub16HIPCUB_304000_NS6detail34convert_binary_result_type_wrapperINS9_3SumENS9_22TransformInputIteratorIb7NonZeroIsEPslEElEEEE10hipError_tPvRmT1_T2_T3_mT4_P12ihipStream_tbEUlT_E0_NS1_11comp_targetILNS1_3genE3ELNS1_11target_archE908ELNS1_3gpuE7ELNS1_3repE0EEENS1_30default_config_static_selectorELNS0_4arch9wavefront6targetE0EEEvSM_
	.globl	_ZN7rocprim17ROCPRIM_400000_NS6detail17trampoline_kernelINS0_14default_configENS1_22reduce_config_selectorIlEEZNS1_11reduce_implILb1ES3_PlS7_lN6hipcub16HIPCUB_304000_NS6detail34convert_binary_result_type_wrapperINS9_3SumENS9_22TransformInputIteratorIb7NonZeroIsEPslEElEEEE10hipError_tPvRmT1_T2_T3_mT4_P12ihipStream_tbEUlT_E0_NS1_11comp_targetILNS1_3genE3ELNS1_11target_archE908ELNS1_3gpuE7ELNS1_3repE0EEENS1_30default_config_static_selectorELNS0_4arch9wavefront6targetE0EEEvSM_
	.p2align	8
	.type	_ZN7rocprim17ROCPRIM_400000_NS6detail17trampoline_kernelINS0_14default_configENS1_22reduce_config_selectorIlEEZNS1_11reduce_implILb1ES3_PlS7_lN6hipcub16HIPCUB_304000_NS6detail34convert_binary_result_type_wrapperINS9_3SumENS9_22TransformInputIteratorIb7NonZeroIsEPslEElEEEE10hipError_tPvRmT1_T2_T3_mT4_P12ihipStream_tbEUlT_E0_NS1_11comp_targetILNS1_3genE3ELNS1_11target_archE908ELNS1_3gpuE7ELNS1_3repE0EEENS1_30default_config_static_selectorELNS0_4arch9wavefront6targetE0EEEvSM_,@function
_ZN7rocprim17ROCPRIM_400000_NS6detail17trampoline_kernelINS0_14default_configENS1_22reduce_config_selectorIlEEZNS1_11reduce_implILb1ES3_PlS7_lN6hipcub16HIPCUB_304000_NS6detail34convert_binary_result_type_wrapperINS9_3SumENS9_22TransformInputIteratorIb7NonZeroIsEPslEElEEEE10hipError_tPvRmT1_T2_T3_mT4_P12ihipStream_tbEUlT_E0_NS1_11comp_targetILNS1_3genE3ELNS1_11target_archE908ELNS1_3gpuE7ELNS1_3repE0EEENS1_30default_config_static_selectorELNS0_4arch9wavefront6targetE0EEEvSM_: ; @_ZN7rocprim17ROCPRIM_400000_NS6detail17trampoline_kernelINS0_14default_configENS1_22reduce_config_selectorIlEEZNS1_11reduce_implILb1ES3_PlS7_lN6hipcub16HIPCUB_304000_NS6detail34convert_binary_result_type_wrapperINS9_3SumENS9_22TransformInputIteratorIb7NonZeroIsEPslEElEEEE10hipError_tPvRmT1_T2_T3_mT4_P12ihipStream_tbEUlT_E0_NS1_11comp_targetILNS1_3genE3ELNS1_11target_archE908ELNS1_3gpuE7ELNS1_3repE0EEENS1_30default_config_static_selectorELNS0_4arch9wavefront6targetE0EEEvSM_
; %bb.0:
	.section	.rodata,"a",@progbits
	.p2align	6, 0x0
	.amdhsa_kernel _ZN7rocprim17ROCPRIM_400000_NS6detail17trampoline_kernelINS0_14default_configENS1_22reduce_config_selectorIlEEZNS1_11reduce_implILb1ES3_PlS7_lN6hipcub16HIPCUB_304000_NS6detail34convert_binary_result_type_wrapperINS9_3SumENS9_22TransformInputIteratorIb7NonZeroIsEPslEElEEEE10hipError_tPvRmT1_T2_T3_mT4_P12ihipStream_tbEUlT_E0_NS1_11comp_targetILNS1_3genE3ELNS1_11target_archE908ELNS1_3gpuE7ELNS1_3repE0EEENS1_30default_config_static_selectorELNS0_4arch9wavefront6targetE0EEEvSM_
		.amdhsa_group_segment_fixed_size 0
		.amdhsa_private_segment_fixed_size 0
		.amdhsa_kernarg_size 64
		.amdhsa_user_sgpr_count 15
		.amdhsa_user_sgpr_dispatch_ptr 0
		.amdhsa_user_sgpr_queue_ptr 0
		.amdhsa_user_sgpr_kernarg_segment_ptr 1
		.amdhsa_user_sgpr_dispatch_id 0
		.amdhsa_user_sgpr_private_segment_size 0
		.amdhsa_wavefront_size32 1
		.amdhsa_uses_dynamic_stack 0
		.amdhsa_enable_private_segment 0
		.amdhsa_system_sgpr_workgroup_id_x 1
		.amdhsa_system_sgpr_workgroup_id_y 0
		.amdhsa_system_sgpr_workgroup_id_z 0
		.amdhsa_system_sgpr_workgroup_info 0
		.amdhsa_system_vgpr_workitem_id 0
		.amdhsa_next_free_vgpr 1
		.amdhsa_next_free_sgpr 1
		.amdhsa_reserve_vcc 0
		.amdhsa_float_round_mode_32 0
		.amdhsa_float_round_mode_16_64 0
		.amdhsa_float_denorm_mode_32 3
		.amdhsa_float_denorm_mode_16_64 3
		.amdhsa_dx10_clamp 1
		.amdhsa_ieee_mode 1
		.amdhsa_fp16_overflow 0
		.amdhsa_workgroup_processor_mode 1
		.amdhsa_memory_ordered 1
		.amdhsa_forward_progress 0
		.amdhsa_shared_vgpr_count 0
		.amdhsa_exception_fp_ieee_invalid_op 0
		.amdhsa_exception_fp_denorm_src 0
		.amdhsa_exception_fp_ieee_div_zero 0
		.amdhsa_exception_fp_ieee_overflow 0
		.amdhsa_exception_fp_ieee_underflow 0
		.amdhsa_exception_fp_ieee_inexact 0
		.amdhsa_exception_int_div_zero 0
	.end_amdhsa_kernel
	.section	.text._ZN7rocprim17ROCPRIM_400000_NS6detail17trampoline_kernelINS0_14default_configENS1_22reduce_config_selectorIlEEZNS1_11reduce_implILb1ES3_PlS7_lN6hipcub16HIPCUB_304000_NS6detail34convert_binary_result_type_wrapperINS9_3SumENS9_22TransformInputIteratorIb7NonZeroIsEPslEElEEEE10hipError_tPvRmT1_T2_T3_mT4_P12ihipStream_tbEUlT_E0_NS1_11comp_targetILNS1_3genE3ELNS1_11target_archE908ELNS1_3gpuE7ELNS1_3repE0EEENS1_30default_config_static_selectorELNS0_4arch9wavefront6targetE0EEEvSM_,"axG",@progbits,_ZN7rocprim17ROCPRIM_400000_NS6detail17trampoline_kernelINS0_14default_configENS1_22reduce_config_selectorIlEEZNS1_11reduce_implILb1ES3_PlS7_lN6hipcub16HIPCUB_304000_NS6detail34convert_binary_result_type_wrapperINS9_3SumENS9_22TransformInputIteratorIb7NonZeroIsEPslEElEEEE10hipError_tPvRmT1_T2_T3_mT4_P12ihipStream_tbEUlT_E0_NS1_11comp_targetILNS1_3genE3ELNS1_11target_archE908ELNS1_3gpuE7ELNS1_3repE0EEENS1_30default_config_static_selectorELNS0_4arch9wavefront6targetE0EEEvSM_,comdat
.Lfunc_end84:
	.size	_ZN7rocprim17ROCPRIM_400000_NS6detail17trampoline_kernelINS0_14default_configENS1_22reduce_config_selectorIlEEZNS1_11reduce_implILb1ES3_PlS7_lN6hipcub16HIPCUB_304000_NS6detail34convert_binary_result_type_wrapperINS9_3SumENS9_22TransformInputIteratorIb7NonZeroIsEPslEElEEEE10hipError_tPvRmT1_T2_T3_mT4_P12ihipStream_tbEUlT_E0_NS1_11comp_targetILNS1_3genE3ELNS1_11target_archE908ELNS1_3gpuE7ELNS1_3repE0EEENS1_30default_config_static_selectorELNS0_4arch9wavefront6targetE0EEEvSM_, .Lfunc_end84-_ZN7rocprim17ROCPRIM_400000_NS6detail17trampoline_kernelINS0_14default_configENS1_22reduce_config_selectorIlEEZNS1_11reduce_implILb1ES3_PlS7_lN6hipcub16HIPCUB_304000_NS6detail34convert_binary_result_type_wrapperINS9_3SumENS9_22TransformInputIteratorIb7NonZeroIsEPslEElEEEE10hipError_tPvRmT1_T2_T3_mT4_P12ihipStream_tbEUlT_E0_NS1_11comp_targetILNS1_3genE3ELNS1_11target_archE908ELNS1_3gpuE7ELNS1_3repE0EEENS1_30default_config_static_selectorELNS0_4arch9wavefront6targetE0EEEvSM_
                                        ; -- End function
	.section	.AMDGPU.csdata,"",@progbits
; Kernel info:
; codeLenInByte = 0
; NumSgprs: 0
; NumVgprs: 0
; ScratchSize: 0
; MemoryBound: 0
; FloatMode: 240
; IeeeMode: 1
; LDSByteSize: 0 bytes/workgroup (compile time only)
; SGPRBlocks: 0
; VGPRBlocks: 0
; NumSGPRsForWavesPerEU: 1
; NumVGPRsForWavesPerEU: 1
; Occupancy: 16
; WaveLimiterHint : 0
; COMPUTE_PGM_RSRC2:SCRATCH_EN: 0
; COMPUTE_PGM_RSRC2:USER_SGPR: 15
; COMPUTE_PGM_RSRC2:TRAP_HANDLER: 0
; COMPUTE_PGM_RSRC2:TGID_X_EN: 1
; COMPUTE_PGM_RSRC2:TGID_Y_EN: 0
; COMPUTE_PGM_RSRC2:TGID_Z_EN: 0
; COMPUTE_PGM_RSRC2:TIDIG_COMP_CNT: 0
	.section	.text._ZN7rocprim17ROCPRIM_400000_NS6detail17trampoline_kernelINS0_14default_configENS1_22reduce_config_selectorIlEEZNS1_11reduce_implILb1ES3_PlS7_lN6hipcub16HIPCUB_304000_NS6detail34convert_binary_result_type_wrapperINS9_3SumENS9_22TransformInputIteratorIb7NonZeroIsEPslEElEEEE10hipError_tPvRmT1_T2_T3_mT4_P12ihipStream_tbEUlT_E0_NS1_11comp_targetILNS1_3genE2ELNS1_11target_archE906ELNS1_3gpuE6ELNS1_3repE0EEENS1_30default_config_static_selectorELNS0_4arch9wavefront6targetE0EEEvSM_,"axG",@progbits,_ZN7rocprim17ROCPRIM_400000_NS6detail17trampoline_kernelINS0_14default_configENS1_22reduce_config_selectorIlEEZNS1_11reduce_implILb1ES3_PlS7_lN6hipcub16HIPCUB_304000_NS6detail34convert_binary_result_type_wrapperINS9_3SumENS9_22TransformInputIteratorIb7NonZeroIsEPslEElEEEE10hipError_tPvRmT1_T2_T3_mT4_P12ihipStream_tbEUlT_E0_NS1_11comp_targetILNS1_3genE2ELNS1_11target_archE906ELNS1_3gpuE6ELNS1_3repE0EEENS1_30default_config_static_selectorELNS0_4arch9wavefront6targetE0EEEvSM_,comdat
	.protected	_ZN7rocprim17ROCPRIM_400000_NS6detail17trampoline_kernelINS0_14default_configENS1_22reduce_config_selectorIlEEZNS1_11reduce_implILb1ES3_PlS7_lN6hipcub16HIPCUB_304000_NS6detail34convert_binary_result_type_wrapperINS9_3SumENS9_22TransformInputIteratorIb7NonZeroIsEPslEElEEEE10hipError_tPvRmT1_T2_T3_mT4_P12ihipStream_tbEUlT_E0_NS1_11comp_targetILNS1_3genE2ELNS1_11target_archE906ELNS1_3gpuE6ELNS1_3repE0EEENS1_30default_config_static_selectorELNS0_4arch9wavefront6targetE0EEEvSM_ ; -- Begin function _ZN7rocprim17ROCPRIM_400000_NS6detail17trampoline_kernelINS0_14default_configENS1_22reduce_config_selectorIlEEZNS1_11reduce_implILb1ES3_PlS7_lN6hipcub16HIPCUB_304000_NS6detail34convert_binary_result_type_wrapperINS9_3SumENS9_22TransformInputIteratorIb7NonZeroIsEPslEElEEEE10hipError_tPvRmT1_T2_T3_mT4_P12ihipStream_tbEUlT_E0_NS1_11comp_targetILNS1_3genE2ELNS1_11target_archE906ELNS1_3gpuE6ELNS1_3repE0EEENS1_30default_config_static_selectorELNS0_4arch9wavefront6targetE0EEEvSM_
	.globl	_ZN7rocprim17ROCPRIM_400000_NS6detail17trampoline_kernelINS0_14default_configENS1_22reduce_config_selectorIlEEZNS1_11reduce_implILb1ES3_PlS7_lN6hipcub16HIPCUB_304000_NS6detail34convert_binary_result_type_wrapperINS9_3SumENS9_22TransformInputIteratorIb7NonZeroIsEPslEElEEEE10hipError_tPvRmT1_T2_T3_mT4_P12ihipStream_tbEUlT_E0_NS1_11comp_targetILNS1_3genE2ELNS1_11target_archE906ELNS1_3gpuE6ELNS1_3repE0EEENS1_30default_config_static_selectorELNS0_4arch9wavefront6targetE0EEEvSM_
	.p2align	8
	.type	_ZN7rocprim17ROCPRIM_400000_NS6detail17trampoline_kernelINS0_14default_configENS1_22reduce_config_selectorIlEEZNS1_11reduce_implILb1ES3_PlS7_lN6hipcub16HIPCUB_304000_NS6detail34convert_binary_result_type_wrapperINS9_3SumENS9_22TransformInputIteratorIb7NonZeroIsEPslEElEEEE10hipError_tPvRmT1_T2_T3_mT4_P12ihipStream_tbEUlT_E0_NS1_11comp_targetILNS1_3genE2ELNS1_11target_archE906ELNS1_3gpuE6ELNS1_3repE0EEENS1_30default_config_static_selectorELNS0_4arch9wavefront6targetE0EEEvSM_,@function
_ZN7rocprim17ROCPRIM_400000_NS6detail17trampoline_kernelINS0_14default_configENS1_22reduce_config_selectorIlEEZNS1_11reduce_implILb1ES3_PlS7_lN6hipcub16HIPCUB_304000_NS6detail34convert_binary_result_type_wrapperINS9_3SumENS9_22TransformInputIteratorIb7NonZeroIsEPslEElEEEE10hipError_tPvRmT1_T2_T3_mT4_P12ihipStream_tbEUlT_E0_NS1_11comp_targetILNS1_3genE2ELNS1_11target_archE906ELNS1_3gpuE6ELNS1_3repE0EEENS1_30default_config_static_selectorELNS0_4arch9wavefront6targetE0EEEvSM_: ; @_ZN7rocprim17ROCPRIM_400000_NS6detail17trampoline_kernelINS0_14default_configENS1_22reduce_config_selectorIlEEZNS1_11reduce_implILb1ES3_PlS7_lN6hipcub16HIPCUB_304000_NS6detail34convert_binary_result_type_wrapperINS9_3SumENS9_22TransformInputIteratorIb7NonZeroIsEPslEElEEEE10hipError_tPvRmT1_T2_T3_mT4_P12ihipStream_tbEUlT_E0_NS1_11comp_targetILNS1_3genE2ELNS1_11target_archE906ELNS1_3gpuE6ELNS1_3repE0EEENS1_30default_config_static_selectorELNS0_4arch9wavefront6targetE0EEEvSM_
; %bb.0:
	.section	.rodata,"a",@progbits
	.p2align	6, 0x0
	.amdhsa_kernel _ZN7rocprim17ROCPRIM_400000_NS6detail17trampoline_kernelINS0_14default_configENS1_22reduce_config_selectorIlEEZNS1_11reduce_implILb1ES3_PlS7_lN6hipcub16HIPCUB_304000_NS6detail34convert_binary_result_type_wrapperINS9_3SumENS9_22TransformInputIteratorIb7NonZeroIsEPslEElEEEE10hipError_tPvRmT1_T2_T3_mT4_P12ihipStream_tbEUlT_E0_NS1_11comp_targetILNS1_3genE2ELNS1_11target_archE906ELNS1_3gpuE6ELNS1_3repE0EEENS1_30default_config_static_selectorELNS0_4arch9wavefront6targetE0EEEvSM_
		.amdhsa_group_segment_fixed_size 0
		.amdhsa_private_segment_fixed_size 0
		.amdhsa_kernarg_size 64
		.amdhsa_user_sgpr_count 15
		.amdhsa_user_sgpr_dispatch_ptr 0
		.amdhsa_user_sgpr_queue_ptr 0
		.amdhsa_user_sgpr_kernarg_segment_ptr 1
		.amdhsa_user_sgpr_dispatch_id 0
		.amdhsa_user_sgpr_private_segment_size 0
		.amdhsa_wavefront_size32 1
		.amdhsa_uses_dynamic_stack 0
		.amdhsa_enable_private_segment 0
		.amdhsa_system_sgpr_workgroup_id_x 1
		.amdhsa_system_sgpr_workgroup_id_y 0
		.amdhsa_system_sgpr_workgroup_id_z 0
		.amdhsa_system_sgpr_workgroup_info 0
		.amdhsa_system_vgpr_workitem_id 0
		.amdhsa_next_free_vgpr 1
		.amdhsa_next_free_sgpr 1
		.amdhsa_reserve_vcc 0
		.amdhsa_float_round_mode_32 0
		.amdhsa_float_round_mode_16_64 0
		.amdhsa_float_denorm_mode_32 3
		.amdhsa_float_denorm_mode_16_64 3
		.amdhsa_dx10_clamp 1
		.amdhsa_ieee_mode 1
		.amdhsa_fp16_overflow 0
		.amdhsa_workgroup_processor_mode 1
		.amdhsa_memory_ordered 1
		.amdhsa_forward_progress 0
		.amdhsa_shared_vgpr_count 0
		.amdhsa_exception_fp_ieee_invalid_op 0
		.amdhsa_exception_fp_denorm_src 0
		.amdhsa_exception_fp_ieee_div_zero 0
		.amdhsa_exception_fp_ieee_overflow 0
		.amdhsa_exception_fp_ieee_underflow 0
		.amdhsa_exception_fp_ieee_inexact 0
		.amdhsa_exception_int_div_zero 0
	.end_amdhsa_kernel
	.section	.text._ZN7rocprim17ROCPRIM_400000_NS6detail17trampoline_kernelINS0_14default_configENS1_22reduce_config_selectorIlEEZNS1_11reduce_implILb1ES3_PlS7_lN6hipcub16HIPCUB_304000_NS6detail34convert_binary_result_type_wrapperINS9_3SumENS9_22TransformInputIteratorIb7NonZeroIsEPslEElEEEE10hipError_tPvRmT1_T2_T3_mT4_P12ihipStream_tbEUlT_E0_NS1_11comp_targetILNS1_3genE2ELNS1_11target_archE906ELNS1_3gpuE6ELNS1_3repE0EEENS1_30default_config_static_selectorELNS0_4arch9wavefront6targetE0EEEvSM_,"axG",@progbits,_ZN7rocprim17ROCPRIM_400000_NS6detail17trampoline_kernelINS0_14default_configENS1_22reduce_config_selectorIlEEZNS1_11reduce_implILb1ES3_PlS7_lN6hipcub16HIPCUB_304000_NS6detail34convert_binary_result_type_wrapperINS9_3SumENS9_22TransformInputIteratorIb7NonZeroIsEPslEElEEEE10hipError_tPvRmT1_T2_T3_mT4_P12ihipStream_tbEUlT_E0_NS1_11comp_targetILNS1_3genE2ELNS1_11target_archE906ELNS1_3gpuE6ELNS1_3repE0EEENS1_30default_config_static_selectorELNS0_4arch9wavefront6targetE0EEEvSM_,comdat
.Lfunc_end85:
	.size	_ZN7rocprim17ROCPRIM_400000_NS6detail17trampoline_kernelINS0_14default_configENS1_22reduce_config_selectorIlEEZNS1_11reduce_implILb1ES3_PlS7_lN6hipcub16HIPCUB_304000_NS6detail34convert_binary_result_type_wrapperINS9_3SumENS9_22TransformInputIteratorIb7NonZeroIsEPslEElEEEE10hipError_tPvRmT1_T2_T3_mT4_P12ihipStream_tbEUlT_E0_NS1_11comp_targetILNS1_3genE2ELNS1_11target_archE906ELNS1_3gpuE6ELNS1_3repE0EEENS1_30default_config_static_selectorELNS0_4arch9wavefront6targetE0EEEvSM_, .Lfunc_end85-_ZN7rocprim17ROCPRIM_400000_NS6detail17trampoline_kernelINS0_14default_configENS1_22reduce_config_selectorIlEEZNS1_11reduce_implILb1ES3_PlS7_lN6hipcub16HIPCUB_304000_NS6detail34convert_binary_result_type_wrapperINS9_3SumENS9_22TransformInputIteratorIb7NonZeroIsEPslEElEEEE10hipError_tPvRmT1_T2_T3_mT4_P12ihipStream_tbEUlT_E0_NS1_11comp_targetILNS1_3genE2ELNS1_11target_archE906ELNS1_3gpuE6ELNS1_3repE0EEENS1_30default_config_static_selectorELNS0_4arch9wavefront6targetE0EEEvSM_
                                        ; -- End function
	.section	.AMDGPU.csdata,"",@progbits
; Kernel info:
; codeLenInByte = 0
; NumSgprs: 0
; NumVgprs: 0
; ScratchSize: 0
; MemoryBound: 0
; FloatMode: 240
; IeeeMode: 1
; LDSByteSize: 0 bytes/workgroup (compile time only)
; SGPRBlocks: 0
; VGPRBlocks: 0
; NumSGPRsForWavesPerEU: 1
; NumVGPRsForWavesPerEU: 1
; Occupancy: 16
; WaveLimiterHint : 0
; COMPUTE_PGM_RSRC2:SCRATCH_EN: 0
; COMPUTE_PGM_RSRC2:USER_SGPR: 15
; COMPUTE_PGM_RSRC2:TRAP_HANDLER: 0
; COMPUTE_PGM_RSRC2:TGID_X_EN: 1
; COMPUTE_PGM_RSRC2:TGID_Y_EN: 0
; COMPUTE_PGM_RSRC2:TGID_Z_EN: 0
; COMPUTE_PGM_RSRC2:TIDIG_COMP_CNT: 0
	.section	.text._ZN7rocprim17ROCPRIM_400000_NS6detail17trampoline_kernelINS0_14default_configENS1_22reduce_config_selectorIlEEZNS1_11reduce_implILb1ES3_PlS7_lN6hipcub16HIPCUB_304000_NS6detail34convert_binary_result_type_wrapperINS9_3SumENS9_22TransformInputIteratorIb7NonZeroIsEPslEElEEEE10hipError_tPvRmT1_T2_T3_mT4_P12ihipStream_tbEUlT_E0_NS1_11comp_targetILNS1_3genE10ELNS1_11target_archE1201ELNS1_3gpuE5ELNS1_3repE0EEENS1_30default_config_static_selectorELNS0_4arch9wavefront6targetE0EEEvSM_,"axG",@progbits,_ZN7rocprim17ROCPRIM_400000_NS6detail17trampoline_kernelINS0_14default_configENS1_22reduce_config_selectorIlEEZNS1_11reduce_implILb1ES3_PlS7_lN6hipcub16HIPCUB_304000_NS6detail34convert_binary_result_type_wrapperINS9_3SumENS9_22TransformInputIteratorIb7NonZeroIsEPslEElEEEE10hipError_tPvRmT1_T2_T3_mT4_P12ihipStream_tbEUlT_E0_NS1_11comp_targetILNS1_3genE10ELNS1_11target_archE1201ELNS1_3gpuE5ELNS1_3repE0EEENS1_30default_config_static_selectorELNS0_4arch9wavefront6targetE0EEEvSM_,comdat
	.protected	_ZN7rocprim17ROCPRIM_400000_NS6detail17trampoline_kernelINS0_14default_configENS1_22reduce_config_selectorIlEEZNS1_11reduce_implILb1ES3_PlS7_lN6hipcub16HIPCUB_304000_NS6detail34convert_binary_result_type_wrapperINS9_3SumENS9_22TransformInputIteratorIb7NonZeroIsEPslEElEEEE10hipError_tPvRmT1_T2_T3_mT4_P12ihipStream_tbEUlT_E0_NS1_11comp_targetILNS1_3genE10ELNS1_11target_archE1201ELNS1_3gpuE5ELNS1_3repE0EEENS1_30default_config_static_selectorELNS0_4arch9wavefront6targetE0EEEvSM_ ; -- Begin function _ZN7rocprim17ROCPRIM_400000_NS6detail17trampoline_kernelINS0_14default_configENS1_22reduce_config_selectorIlEEZNS1_11reduce_implILb1ES3_PlS7_lN6hipcub16HIPCUB_304000_NS6detail34convert_binary_result_type_wrapperINS9_3SumENS9_22TransformInputIteratorIb7NonZeroIsEPslEElEEEE10hipError_tPvRmT1_T2_T3_mT4_P12ihipStream_tbEUlT_E0_NS1_11comp_targetILNS1_3genE10ELNS1_11target_archE1201ELNS1_3gpuE5ELNS1_3repE0EEENS1_30default_config_static_selectorELNS0_4arch9wavefront6targetE0EEEvSM_
	.globl	_ZN7rocprim17ROCPRIM_400000_NS6detail17trampoline_kernelINS0_14default_configENS1_22reduce_config_selectorIlEEZNS1_11reduce_implILb1ES3_PlS7_lN6hipcub16HIPCUB_304000_NS6detail34convert_binary_result_type_wrapperINS9_3SumENS9_22TransformInputIteratorIb7NonZeroIsEPslEElEEEE10hipError_tPvRmT1_T2_T3_mT4_P12ihipStream_tbEUlT_E0_NS1_11comp_targetILNS1_3genE10ELNS1_11target_archE1201ELNS1_3gpuE5ELNS1_3repE0EEENS1_30default_config_static_selectorELNS0_4arch9wavefront6targetE0EEEvSM_
	.p2align	8
	.type	_ZN7rocprim17ROCPRIM_400000_NS6detail17trampoline_kernelINS0_14default_configENS1_22reduce_config_selectorIlEEZNS1_11reduce_implILb1ES3_PlS7_lN6hipcub16HIPCUB_304000_NS6detail34convert_binary_result_type_wrapperINS9_3SumENS9_22TransformInputIteratorIb7NonZeroIsEPslEElEEEE10hipError_tPvRmT1_T2_T3_mT4_P12ihipStream_tbEUlT_E0_NS1_11comp_targetILNS1_3genE10ELNS1_11target_archE1201ELNS1_3gpuE5ELNS1_3repE0EEENS1_30default_config_static_selectorELNS0_4arch9wavefront6targetE0EEEvSM_,@function
_ZN7rocprim17ROCPRIM_400000_NS6detail17trampoline_kernelINS0_14default_configENS1_22reduce_config_selectorIlEEZNS1_11reduce_implILb1ES3_PlS7_lN6hipcub16HIPCUB_304000_NS6detail34convert_binary_result_type_wrapperINS9_3SumENS9_22TransformInputIteratorIb7NonZeroIsEPslEElEEEE10hipError_tPvRmT1_T2_T3_mT4_P12ihipStream_tbEUlT_E0_NS1_11comp_targetILNS1_3genE10ELNS1_11target_archE1201ELNS1_3gpuE5ELNS1_3repE0EEENS1_30default_config_static_selectorELNS0_4arch9wavefront6targetE0EEEvSM_: ; @_ZN7rocprim17ROCPRIM_400000_NS6detail17trampoline_kernelINS0_14default_configENS1_22reduce_config_selectorIlEEZNS1_11reduce_implILb1ES3_PlS7_lN6hipcub16HIPCUB_304000_NS6detail34convert_binary_result_type_wrapperINS9_3SumENS9_22TransformInputIteratorIb7NonZeroIsEPslEElEEEE10hipError_tPvRmT1_T2_T3_mT4_P12ihipStream_tbEUlT_E0_NS1_11comp_targetILNS1_3genE10ELNS1_11target_archE1201ELNS1_3gpuE5ELNS1_3repE0EEENS1_30default_config_static_selectorELNS0_4arch9wavefront6targetE0EEEvSM_
; %bb.0:
	.section	.rodata,"a",@progbits
	.p2align	6, 0x0
	.amdhsa_kernel _ZN7rocprim17ROCPRIM_400000_NS6detail17trampoline_kernelINS0_14default_configENS1_22reduce_config_selectorIlEEZNS1_11reduce_implILb1ES3_PlS7_lN6hipcub16HIPCUB_304000_NS6detail34convert_binary_result_type_wrapperINS9_3SumENS9_22TransformInputIteratorIb7NonZeroIsEPslEElEEEE10hipError_tPvRmT1_T2_T3_mT4_P12ihipStream_tbEUlT_E0_NS1_11comp_targetILNS1_3genE10ELNS1_11target_archE1201ELNS1_3gpuE5ELNS1_3repE0EEENS1_30default_config_static_selectorELNS0_4arch9wavefront6targetE0EEEvSM_
		.amdhsa_group_segment_fixed_size 0
		.amdhsa_private_segment_fixed_size 0
		.amdhsa_kernarg_size 64
		.amdhsa_user_sgpr_count 15
		.amdhsa_user_sgpr_dispatch_ptr 0
		.amdhsa_user_sgpr_queue_ptr 0
		.amdhsa_user_sgpr_kernarg_segment_ptr 1
		.amdhsa_user_sgpr_dispatch_id 0
		.amdhsa_user_sgpr_private_segment_size 0
		.amdhsa_wavefront_size32 1
		.amdhsa_uses_dynamic_stack 0
		.amdhsa_enable_private_segment 0
		.amdhsa_system_sgpr_workgroup_id_x 1
		.amdhsa_system_sgpr_workgroup_id_y 0
		.amdhsa_system_sgpr_workgroup_id_z 0
		.amdhsa_system_sgpr_workgroup_info 0
		.amdhsa_system_vgpr_workitem_id 0
		.amdhsa_next_free_vgpr 1
		.amdhsa_next_free_sgpr 1
		.amdhsa_reserve_vcc 0
		.amdhsa_float_round_mode_32 0
		.amdhsa_float_round_mode_16_64 0
		.amdhsa_float_denorm_mode_32 3
		.amdhsa_float_denorm_mode_16_64 3
		.amdhsa_dx10_clamp 1
		.amdhsa_ieee_mode 1
		.amdhsa_fp16_overflow 0
		.amdhsa_workgroup_processor_mode 1
		.amdhsa_memory_ordered 1
		.amdhsa_forward_progress 0
		.amdhsa_shared_vgpr_count 0
		.amdhsa_exception_fp_ieee_invalid_op 0
		.amdhsa_exception_fp_denorm_src 0
		.amdhsa_exception_fp_ieee_div_zero 0
		.amdhsa_exception_fp_ieee_overflow 0
		.amdhsa_exception_fp_ieee_underflow 0
		.amdhsa_exception_fp_ieee_inexact 0
		.amdhsa_exception_int_div_zero 0
	.end_amdhsa_kernel
	.section	.text._ZN7rocprim17ROCPRIM_400000_NS6detail17trampoline_kernelINS0_14default_configENS1_22reduce_config_selectorIlEEZNS1_11reduce_implILb1ES3_PlS7_lN6hipcub16HIPCUB_304000_NS6detail34convert_binary_result_type_wrapperINS9_3SumENS9_22TransformInputIteratorIb7NonZeroIsEPslEElEEEE10hipError_tPvRmT1_T2_T3_mT4_P12ihipStream_tbEUlT_E0_NS1_11comp_targetILNS1_3genE10ELNS1_11target_archE1201ELNS1_3gpuE5ELNS1_3repE0EEENS1_30default_config_static_selectorELNS0_4arch9wavefront6targetE0EEEvSM_,"axG",@progbits,_ZN7rocprim17ROCPRIM_400000_NS6detail17trampoline_kernelINS0_14default_configENS1_22reduce_config_selectorIlEEZNS1_11reduce_implILb1ES3_PlS7_lN6hipcub16HIPCUB_304000_NS6detail34convert_binary_result_type_wrapperINS9_3SumENS9_22TransformInputIteratorIb7NonZeroIsEPslEElEEEE10hipError_tPvRmT1_T2_T3_mT4_P12ihipStream_tbEUlT_E0_NS1_11comp_targetILNS1_3genE10ELNS1_11target_archE1201ELNS1_3gpuE5ELNS1_3repE0EEENS1_30default_config_static_selectorELNS0_4arch9wavefront6targetE0EEEvSM_,comdat
.Lfunc_end86:
	.size	_ZN7rocprim17ROCPRIM_400000_NS6detail17trampoline_kernelINS0_14default_configENS1_22reduce_config_selectorIlEEZNS1_11reduce_implILb1ES3_PlS7_lN6hipcub16HIPCUB_304000_NS6detail34convert_binary_result_type_wrapperINS9_3SumENS9_22TransformInputIteratorIb7NonZeroIsEPslEElEEEE10hipError_tPvRmT1_T2_T3_mT4_P12ihipStream_tbEUlT_E0_NS1_11comp_targetILNS1_3genE10ELNS1_11target_archE1201ELNS1_3gpuE5ELNS1_3repE0EEENS1_30default_config_static_selectorELNS0_4arch9wavefront6targetE0EEEvSM_, .Lfunc_end86-_ZN7rocprim17ROCPRIM_400000_NS6detail17trampoline_kernelINS0_14default_configENS1_22reduce_config_selectorIlEEZNS1_11reduce_implILb1ES3_PlS7_lN6hipcub16HIPCUB_304000_NS6detail34convert_binary_result_type_wrapperINS9_3SumENS9_22TransformInputIteratorIb7NonZeroIsEPslEElEEEE10hipError_tPvRmT1_T2_T3_mT4_P12ihipStream_tbEUlT_E0_NS1_11comp_targetILNS1_3genE10ELNS1_11target_archE1201ELNS1_3gpuE5ELNS1_3repE0EEENS1_30default_config_static_selectorELNS0_4arch9wavefront6targetE0EEEvSM_
                                        ; -- End function
	.section	.AMDGPU.csdata,"",@progbits
; Kernel info:
; codeLenInByte = 0
; NumSgprs: 0
; NumVgprs: 0
; ScratchSize: 0
; MemoryBound: 0
; FloatMode: 240
; IeeeMode: 1
; LDSByteSize: 0 bytes/workgroup (compile time only)
; SGPRBlocks: 0
; VGPRBlocks: 0
; NumSGPRsForWavesPerEU: 1
; NumVGPRsForWavesPerEU: 1
; Occupancy: 16
; WaveLimiterHint : 0
; COMPUTE_PGM_RSRC2:SCRATCH_EN: 0
; COMPUTE_PGM_RSRC2:USER_SGPR: 15
; COMPUTE_PGM_RSRC2:TRAP_HANDLER: 0
; COMPUTE_PGM_RSRC2:TGID_X_EN: 1
; COMPUTE_PGM_RSRC2:TGID_Y_EN: 0
; COMPUTE_PGM_RSRC2:TGID_Z_EN: 0
; COMPUTE_PGM_RSRC2:TIDIG_COMP_CNT: 0
	.section	.text._ZN7rocprim17ROCPRIM_400000_NS6detail17trampoline_kernelINS0_14default_configENS1_22reduce_config_selectorIlEEZNS1_11reduce_implILb1ES3_PlS7_lN6hipcub16HIPCUB_304000_NS6detail34convert_binary_result_type_wrapperINS9_3SumENS9_22TransformInputIteratorIb7NonZeroIsEPslEElEEEE10hipError_tPvRmT1_T2_T3_mT4_P12ihipStream_tbEUlT_E0_NS1_11comp_targetILNS1_3genE10ELNS1_11target_archE1200ELNS1_3gpuE4ELNS1_3repE0EEENS1_30default_config_static_selectorELNS0_4arch9wavefront6targetE0EEEvSM_,"axG",@progbits,_ZN7rocprim17ROCPRIM_400000_NS6detail17trampoline_kernelINS0_14default_configENS1_22reduce_config_selectorIlEEZNS1_11reduce_implILb1ES3_PlS7_lN6hipcub16HIPCUB_304000_NS6detail34convert_binary_result_type_wrapperINS9_3SumENS9_22TransformInputIteratorIb7NonZeroIsEPslEElEEEE10hipError_tPvRmT1_T2_T3_mT4_P12ihipStream_tbEUlT_E0_NS1_11comp_targetILNS1_3genE10ELNS1_11target_archE1200ELNS1_3gpuE4ELNS1_3repE0EEENS1_30default_config_static_selectorELNS0_4arch9wavefront6targetE0EEEvSM_,comdat
	.protected	_ZN7rocprim17ROCPRIM_400000_NS6detail17trampoline_kernelINS0_14default_configENS1_22reduce_config_selectorIlEEZNS1_11reduce_implILb1ES3_PlS7_lN6hipcub16HIPCUB_304000_NS6detail34convert_binary_result_type_wrapperINS9_3SumENS9_22TransformInputIteratorIb7NonZeroIsEPslEElEEEE10hipError_tPvRmT1_T2_T3_mT4_P12ihipStream_tbEUlT_E0_NS1_11comp_targetILNS1_3genE10ELNS1_11target_archE1200ELNS1_3gpuE4ELNS1_3repE0EEENS1_30default_config_static_selectorELNS0_4arch9wavefront6targetE0EEEvSM_ ; -- Begin function _ZN7rocprim17ROCPRIM_400000_NS6detail17trampoline_kernelINS0_14default_configENS1_22reduce_config_selectorIlEEZNS1_11reduce_implILb1ES3_PlS7_lN6hipcub16HIPCUB_304000_NS6detail34convert_binary_result_type_wrapperINS9_3SumENS9_22TransformInputIteratorIb7NonZeroIsEPslEElEEEE10hipError_tPvRmT1_T2_T3_mT4_P12ihipStream_tbEUlT_E0_NS1_11comp_targetILNS1_3genE10ELNS1_11target_archE1200ELNS1_3gpuE4ELNS1_3repE0EEENS1_30default_config_static_selectorELNS0_4arch9wavefront6targetE0EEEvSM_
	.globl	_ZN7rocprim17ROCPRIM_400000_NS6detail17trampoline_kernelINS0_14default_configENS1_22reduce_config_selectorIlEEZNS1_11reduce_implILb1ES3_PlS7_lN6hipcub16HIPCUB_304000_NS6detail34convert_binary_result_type_wrapperINS9_3SumENS9_22TransformInputIteratorIb7NonZeroIsEPslEElEEEE10hipError_tPvRmT1_T2_T3_mT4_P12ihipStream_tbEUlT_E0_NS1_11comp_targetILNS1_3genE10ELNS1_11target_archE1200ELNS1_3gpuE4ELNS1_3repE0EEENS1_30default_config_static_selectorELNS0_4arch9wavefront6targetE0EEEvSM_
	.p2align	8
	.type	_ZN7rocprim17ROCPRIM_400000_NS6detail17trampoline_kernelINS0_14default_configENS1_22reduce_config_selectorIlEEZNS1_11reduce_implILb1ES3_PlS7_lN6hipcub16HIPCUB_304000_NS6detail34convert_binary_result_type_wrapperINS9_3SumENS9_22TransformInputIteratorIb7NonZeroIsEPslEElEEEE10hipError_tPvRmT1_T2_T3_mT4_P12ihipStream_tbEUlT_E0_NS1_11comp_targetILNS1_3genE10ELNS1_11target_archE1200ELNS1_3gpuE4ELNS1_3repE0EEENS1_30default_config_static_selectorELNS0_4arch9wavefront6targetE0EEEvSM_,@function
_ZN7rocprim17ROCPRIM_400000_NS6detail17trampoline_kernelINS0_14default_configENS1_22reduce_config_selectorIlEEZNS1_11reduce_implILb1ES3_PlS7_lN6hipcub16HIPCUB_304000_NS6detail34convert_binary_result_type_wrapperINS9_3SumENS9_22TransformInputIteratorIb7NonZeroIsEPslEElEEEE10hipError_tPvRmT1_T2_T3_mT4_P12ihipStream_tbEUlT_E0_NS1_11comp_targetILNS1_3genE10ELNS1_11target_archE1200ELNS1_3gpuE4ELNS1_3repE0EEENS1_30default_config_static_selectorELNS0_4arch9wavefront6targetE0EEEvSM_: ; @_ZN7rocprim17ROCPRIM_400000_NS6detail17trampoline_kernelINS0_14default_configENS1_22reduce_config_selectorIlEEZNS1_11reduce_implILb1ES3_PlS7_lN6hipcub16HIPCUB_304000_NS6detail34convert_binary_result_type_wrapperINS9_3SumENS9_22TransformInputIteratorIb7NonZeroIsEPslEElEEEE10hipError_tPvRmT1_T2_T3_mT4_P12ihipStream_tbEUlT_E0_NS1_11comp_targetILNS1_3genE10ELNS1_11target_archE1200ELNS1_3gpuE4ELNS1_3repE0EEENS1_30default_config_static_selectorELNS0_4arch9wavefront6targetE0EEEvSM_
; %bb.0:
	.section	.rodata,"a",@progbits
	.p2align	6, 0x0
	.amdhsa_kernel _ZN7rocprim17ROCPRIM_400000_NS6detail17trampoline_kernelINS0_14default_configENS1_22reduce_config_selectorIlEEZNS1_11reduce_implILb1ES3_PlS7_lN6hipcub16HIPCUB_304000_NS6detail34convert_binary_result_type_wrapperINS9_3SumENS9_22TransformInputIteratorIb7NonZeroIsEPslEElEEEE10hipError_tPvRmT1_T2_T3_mT4_P12ihipStream_tbEUlT_E0_NS1_11comp_targetILNS1_3genE10ELNS1_11target_archE1200ELNS1_3gpuE4ELNS1_3repE0EEENS1_30default_config_static_selectorELNS0_4arch9wavefront6targetE0EEEvSM_
		.amdhsa_group_segment_fixed_size 0
		.amdhsa_private_segment_fixed_size 0
		.amdhsa_kernarg_size 64
		.amdhsa_user_sgpr_count 15
		.amdhsa_user_sgpr_dispatch_ptr 0
		.amdhsa_user_sgpr_queue_ptr 0
		.amdhsa_user_sgpr_kernarg_segment_ptr 1
		.amdhsa_user_sgpr_dispatch_id 0
		.amdhsa_user_sgpr_private_segment_size 0
		.amdhsa_wavefront_size32 1
		.amdhsa_uses_dynamic_stack 0
		.amdhsa_enable_private_segment 0
		.amdhsa_system_sgpr_workgroup_id_x 1
		.amdhsa_system_sgpr_workgroup_id_y 0
		.amdhsa_system_sgpr_workgroup_id_z 0
		.amdhsa_system_sgpr_workgroup_info 0
		.amdhsa_system_vgpr_workitem_id 0
		.amdhsa_next_free_vgpr 1
		.amdhsa_next_free_sgpr 1
		.amdhsa_reserve_vcc 0
		.amdhsa_float_round_mode_32 0
		.amdhsa_float_round_mode_16_64 0
		.amdhsa_float_denorm_mode_32 3
		.amdhsa_float_denorm_mode_16_64 3
		.amdhsa_dx10_clamp 1
		.amdhsa_ieee_mode 1
		.amdhsa_fp16_overflow 0
		.amdhsa_workgroup_processor_mode 1
		.amdhsa_memory_ordered 1
		.amdhsa_forward_progress 0
		.amdhsa_shared_vgpr_count 0
		.amdhsa_exception_fp_ieee_invalid_op 0
		.amdhsa_exception_fp_denorm_src 0
		.amdhsa_exception_fp_ieee_div_zero 0
		.amdhsa_exception_fp_ieee_overflow 0
		.amdhsa_exception_fp_ieee_underflow 0
		.amdhsa_exception_fp_ieee_inexact 0
		.amdhsa_exception_int_div_zero 0
	.end_amdhsa_kernel
	.section	.text._ZN7rocprim17ROCPRIM_400000_NS6detail17trampoline_kernelINS0_14default_configENS1_22reduce_config_selectorIlEEZNS1_11reduce_implILb1ES3_PlS7_lN6hipcub16HIPCUB_304000_NS6detail34convert_binary_result_type_wrapperINS9_3SumENS9_22TransformInputIteratorIb7NonZeroIsEPslEElEEEE10hipError_tPvRmT1_T2_T3_mT4_P12ihipStream_tbEUlT_E0_NS1_11comp_targetILNS1_3genE10ELNS1_11target_archE1200ELNS1_3gpuE4ELNS1_3repE0EEENS1_30default_config_static_selectorELNS0_4arch9wavefront6targetE0EEEvSM_,"axG",@progbits,_ZN7rocprim17ROCPRIM_400000_NS6detail17trampoline_kernelINS0_14default_configENS1_22reduce_config_selectorIlEEZNS1_11reduce_implILb1ES3_PlS7_lN6hipcub16HIPCUB_304000_NS6detail34convert_binary_result_type_wrapperINS9_3SumENS9_22TransformInputIteratorIb7NonZeroIsEPslEElEEEE10hipError_tPvRmT1_T2_T3_mT4_P12ihipStream_tbEUlT_E0_NS1_11comp_targetILNS1_3genE10ELNS1_11target_archE1200ELNS1_3gpuE4ELNS1_3repE0EEENS1_30default_config_static_selectorELNS0_4arch9wavefront6targetE0EEEvSM_,comdat
.Lfunc_end87:
	.size	_ZN7rocprim17ROCPRIM_400000_NS6detail17trampoline_kernelINS0_14default_configENS1_22reduce_config_selectorIlEEZNS1_11reduce_implILb1ES3_PlS7_lN6hipcub16HIPCUB_304000_NS6detail34convert_binary_result_type_wrapperINS9_3SumENS9_22TransformInputIteratorIb7NonZeroIsEPslEElEEEE10hipError_tPvRmT1_T2_T3_mT4_P12ihipStream_tbEUlT_E0_NS1_11comp_targetILNS1_3genE10ELNS1_11target_archE1200ELNS1_3gpuE4ELNS1_3repE0EEENS1_30default_config_static_selectorELNS0_4arch9wavefront6targetE0EEEvSM_, .Lfunc_end87-_ZN7rocprim17ROCPRIM_400000_NS6detail17trampoline_kernelINS0_14default_configENS1_22reduce_config_selectorIlEEZNS1_11reduce_implILb1ES3_PlS7_lN6hipcub16HIPCUB_304000_NS6detail34convert_binary_result_type_wrapperINS9_3SumENS9_22TransformInputIteratorIb7NonZeroIsEPslEElEEEE10hipError_tPvRmT1_T2_T3_mT4_P12ihipStream_tbEUlT_E0_NS1_11comp_targetILNS1_3genE10ELNS1_11target_archE1200ELNS1_3gpuE4ELNS1_3repE0EEENS1_30default_config_static_selectorELNS0_4arch9wavefront6targetE0EEEvSM_
                                        ; -- End function
	.section	.AMDGPU.csdata,"",@progbits
; Kernel info:
; codeLenInByte = 0
; NumSgprs: 0
; NumVgprs: 0
; ScratchSize: 0
; MemoryBound: 0
; FloatMode: 240
; IeeeMode: 1
; LDSByteSize: 0 bytes/workgroup (compile time only)
; SGPRBlocks: 0
; VGPRBlocks: 0
; NumSGPRsForWavesPerEU: 1
; NumVGPRsForWavesPerEU: 1
; Occupancy: 16
; WaveLimiterHint : 0
; COMPUTE_PGM_RSRC2:SCRATCH_EN: 0
; COMPUTE_PGM_RSRC2:USER_SGPR: 15
; COMPUTE_PGM_RSRC2:TRAP_HANDLER: 0
; COMPUTE_PGM_RSRC2:TGID_X_EN: 1
; COMPUTE_PGM_RSRC2:TGID_Y_EN: 0
; COMPUTE_PGM_RSRC2:TGID_Z_EN: 0
; COMPUTE_PGM_RSRC2:TIDIG_COMP_CNT: 0
	.section	.text._ZN7rocprim17ROCPRIM_400000_NS6detail17trampoline_kernelINS0_14default_configENS1_22reduce_config_selectorIlEEZNS1_11reduce_implILb1ES3_PlS7_lN6hipcub16HIPCUB_304000_NS6detail34convert_binary_result_type_wrapperINS9_3SumENS9_22TransformInputIteratorIb7NonZeroIsEPslEElEEEE10hipError_tPvRmT1_T2_T3_mT4_P12ihipStream_tbEUlT_E0_NS1_11comp_targetILNS1_3genE9ELNS1_11target_archE1100ELNS1_3gpuE3ELNS1_3repE0EEENS1_30default_config_static_selectorELNS0_4arch9wavefront6targetE0EEEvSM_,"axG",@progbits,_ZN7rocprim17ROCPRIM_400000_NS6detail17trampoline_kernelINS0_14default_configENS1_22reduce_config_selectorIlEEZNS1_11reduce_implILb1ES3_PlS7_lN6hipcub16HIPCUB_304000_NS6detail34convert_binary_result_type_wrapperINS9_3SumENS9_22TransformInputIteratorIb7NonZeroIsEPslEElEEEE10hipError_tPvRmT1_T2_T3_mT4_P12ihipStream_tbEUlT_E0_NS1_11comp_targetILNS1_3genE9ELNS1_11target_archE1100ELNS1_3gpuE3ELNS1_3repE0EEENS1_30default_config_static_selectorELNS0_4arch9wavefront6targetE0EEEvSM_,comdat
	.protected	_ZN7rocprim17ROCPRIM_400000_NS6detail17trampoline_kernelINS0_14default_configENS1_22reduce_config_selectorIlEEZNS1_11reduce_implILb1ES3_PlS7_lN6hipcub16HIPCUB_304000_NS6detail34convert_binary_result_type_wrapperINS9_3SumENS9_22TransformInputIteratorIb7NonZeroIsEPslEElEEEE10hipError_tPvRmT1_T2_T3_mT4_P12ihipStream_tbEUlT_E0_NS1_11comp_targetILNS1_3genE9ELNS1_11target_archE1100ELNS1_3gpuE3ELNS1_3repE0EEENS1_30default_config_static_selectorELNS0_4arch9wavefront6targetE0EEEvSM_ ; -- Begin function _ZN7rocprim17ROCPRIM_400000_NS6detail17trampoline_kernelINS0_14default_configENS1_22reduce_config_selectorIlEEZNS1_11reduce_implILb1ES3_PlS7_lN6hipcub16HIPCUB_304000_NS6detail34convert_binary_result_type_wrapperINS9_3SumENS9_22TransformInputIteratorIb7NonZeroIsEPslEElEEEE10hipError_tPvRmT1_T2_T3_mT4_P12ihipStream_tbEUlT_E0_NS1_11comp_targetILNS1_3genE9ELNS1_11target_archE1100ELNS1_3gpuE3ELNS1_3repE0EEENS1_30default_config_static_selectorELNS0_4arch9wavefront6targetE0EEEvSM_
	.globl	_ZN7rocprim17ROCPRIM_400000_NS6detail17trampoline_kernelINS0_14default_configENS1_22reduce_config_selectorIlEEZNS1_11reduce_implILb1ES3_PlS7_lN6hipcub16HIPCUB_304000_NS6detail34convert_binary_result_type_wrapperINS9_3SumENS9_22TransformInputIteratorIb7NonZeroIsEPslEElEEEE10hipError_tPvRmT1_T2_T3_mT4_P12ihipStream_tbEUlT_E0_NS1_11comp_targetILNS1_3genE9ELNS1_11target_archE1100ELNS1_3gpuE3ELNS1_3repE0EEENS1_30default_config_static_selectorELNS0_4arch9wavefront6targetE0EEEvSM_
	.p2align	8
	.type	_ZN7rocprim17ROCPRIM_400000_NS6detail17trampoline_kernelINS0_14default_configENS1_22reduce_config_selectorIlEEZNS1_11reduce_implILb1ES3_PlS7_lN6hipcub16HIPCUB_304000_NS6detail34convert_binary_result_type_wrapperINS9_3SumENS9_22TransformInputIteratorIb7NonZeroIsEPslEElEEEE10hipError_tPvRmT1_T2_T3_mT4_P12ihipStream_tbEUlT_E0_NS1_11comp_targetILNS1_3genE9ELNS1_11target_archE1100ELNS1_3gpuE3ELNS1_3repE0EEENS1_30default_config_static_selectorELNS0_4arch9wavefront6targetE0EEEvSM_,@function
_ZN7rocprim17ROCPRIM_400000_NS6detail17trampoline_kernelINS0_14default_configENS1_22reduce_config_selectorIlEEZNS1_11reduce_implILb1ES3_PlS7_lN6hipcub16HIPCUB_304000_NS6detail34convert_binary_result_type_wrapperINS9_3SumENS9_22TransformInputIteratorIb7NonZeroIsEPslEElEEEE10hipError_tPvRmT1_T2_T3_mT4_P12ihipStream_tbEUlT_E0_NS1_11comp_targetILNS1_3genE9ELNS1_11target_archE1100ELNS1_3gpuE3ELNS1_3repE0EEENS1_30default_config_static_selectorELNS0_4arch9wavefront6targetE0EEEvSM_: ; @_ZN7rocprim17ROCPRIM_400000_NS6detail17trampoline_kernelINS0_14default_configENS1_22reduce_config_selectorIlEEZNS1_11reduce_implILb1ES3_PlS7_lN6hipcub16HIPCUB_304000_NS6detail34convert_binary_result_type_wrapperINS9_3SumENS9_22TransformInputIteratorIb7NonZeroIsEPslEElEEEE10hipError_tPvRmT1_T2_T3_mT4_P12ihipStream_tbEUlT_E0_NS1_11comp_targetILNS1_3genE9ELNS1_11target_archE1100ELNS1_3gpuE3ELNS1_3repE0EEENS1_30default_config_static_selectorELNS0_4arch9wavefront6targetE0EEEvSM_
; %bb.0:
	s_mov_b32 s2, s15
	s_clause 0x2
	s_load_b256 s[4:11], s[0:1], 0x0
	s_load_b128 s[12:15], s[0:1], 0x20
	s_load_b64 s[16:17], s[0:1], 0x30
	s_mov_b32 s1, 0
	v_lshlrev_b32_e32 v10, 3, v0
	v_mbcnt_lo_u32_b32 v9, -1, 0
	s_mov_b32 s3, s1
	s_waitcnt lgkmcnt(0)
	s_lshl_b64 s[6:7], s[6:7], 3
	s_delay_alu instid0(SALU_CYCLE_1) | instskip(SKIP_4) | instid1(SALU_CYCLE_1)
	s_add_u32 s18, s4, s6
	s_addc_u32 s19, s5, s7
	s_lshl_b32 s0, s2, 10
	s_lshr_b64 s[6:7], s[8:9], 10
	s_lshl_b64 s[4:5], s[0:1], 3
	s_add_u32 s4, s18, s4
	s_addc_u32 s5, s19, s5
	s_cmp_lg_u64 s[6:7], s[2:3]
	s_cbranch_scc0 .LBB88_6
; %bb.1:
	v_add_co_u32 v3, s1, s4, v10
	s_delay_alu instid0(VALU_DEP_1)
	v_add_co_ci_u32_e64 v4, null, s5, 0, s1
	global_load_b64 v[1:2], v10, s[4:5] offset:2048
	v_add_co_u32 v3, vcc_lo, 0x1000, v3
	v_add_co_ci_u32_e32 v4, vcc_lo, 0, v4, vcc_lo
	s_mov_b32 s1, exec_lo
	s_clause 0x2
	global_load_b64 v[5:6], v10, s[4:5]
	global_load_b64 v[7:8], v[3:4], off
	global_load_b64 v[3:4], v[3:4], off offset:2048
	s_waitcnt vmcnt(2)
	v_add_co_u32 v1, vcc_lo, v1, v5
	v_add_co_ci_u32_e32 v2, vcc_lo, v2, v6, vcc_lo
	s_waitcnt vmcnt(1)
	s_delay_alu instid0(VALU_DEP_2) | instskip(NEXT) | instid1(VALU_DEP_2)
	v_add_co_u32 v1, vcc_lo, v1, v7
	v_add_co_ci_u32_e32 v2, vcc_lo, v2, v8, vcc_lo
	s_waitcnt vmcnt(0)
	s_delay_alu instid0(VALU_DEP_2) | instskip(NEXT) | instid1(VALU_DEP_2)
	v_add_co_u32 v1, vcc_lo, v1, v3
	v_add_co_ci_u32_e32 v2, vcc_lo, v2, v4, vcc_lo
	s_delay_alu instid0(VALU_DEP_2) | instskip(NEXT) | instid1(VALU_DEP_1)
	v_mov_b32_dpp v3, v1 quad_perm:[1,0,3,2] row_mask:0xf bank_mask:0xf
	v_add_co_u32 v1, vcc_lo, v1, v3
	s_delay_alu instid0(VALU_DEP_3) | instskip(SKIP_1) | instid1(VALU_DEP_3)
	v_mov_b32_dpp v3, v2 quad_perm:[1,0,3,2] row_mask:0xf bank_mask:0xf
	v_add_co_ci_u32_e32 v2, vcc_lo, 0, v2, vcc_lo
	v_mov_b32_dpp v4, v1 quad_perm:[2,3,0,1] row_mask:0xf bank_mask:0xf
	v_add_co_u32 v1, vcc_lo, 0, v1
	s_delay_alu instid0(VALU_DEP_3) | instskip(NEXT) | instid1(VALU_DEP_2)
	v_add_co_ci_u32_e32 v2, vcc_lo, v3, v2, vcc_lo
	v_add_co_u32 v1, vcc_lo, v1, v4
	s_delay_alu instid0(VALU_DEP_2) | instskip(SKIP_1) | instid1(VALU_DEP_3)
	v_mov_b32_dpp v3, v2 quad_perm:[2,3,0,1] row_mask:0xf bank_mask:0xf
	v_add_co_ci_u32_e32 v2, vcc_lo, 0, v2, vcc_lo
	v_mov_b32_dpp v4, v1 row_ror:4 row_mask:0xf bank_mask:0xf
	v_add_co_u32 v1, vcc_lo, v1, 0
	s_delay_alu instid0(VALU_DEP_3) | instskip(NEXT) | instid1(VALU_DEP_2)
	v_add_co_ci_u32_e32 v2, vcc_lo, v2, v3, vcc_lo
	v_add_co_u32 v1, vcc_lo, v1, v4
	s_delay_alu instid0(VALU_DEP_2) | instskip(SKIP_1) | instid1(VALU_DEP_3)
	v_mov_b32_dpp v3, v2 row_ror:4 row_mask:0xf bank_mask:0xf
	v_add_co_ci_u32_e32 v2, vcc_lo, 0, v2, vcc_lo
	v_mov_b32_dpp v4, v1 row_ror:8 row_mask:0xf bank_mask:0xf
	v_add_co_u32 v1, vcc_lo, v1, 0
	s_delay_alu instid0(VALU_DEP_3) | instskip(NEXT) | instid1(VALU_DEP_2)
	v_add_co_ci_u32_e32 v2, vcc_lo, v2, v3, vcc_lo
	v_add_co_u32 v1, vcc_lo, v1, v4
	s_delay_alu instid0(VALU_DEP_2)
	v_mov_b32_dpp v3, v2 row_ror:8 row_mask:0xf bank_mask:0xf
	v_add_co_ci_u32_e32 v2, vcc_lo, 0, v2, vcc_lo
	ds_swizzle_b32 v4, v1 offset:swizzle(BROADCAST,32,15)
	v_add_co_u32 v1, vcc_lo, v1, 0
	v_add_co_ci_u32_e32 v2, vcc_lo, v2, v3, vcc_lo
	ds_swizzle_b32 v3, v2 offset:swizzle(BROADCAST,32,15)
	s_waitcnt lgkmcnt(1)
	v_add_co_u32 v1, vcc_lo, v1, v4
	v_add_co_ci_u32_e32 v2, vcc_lo, 0, v2, vcc_lo
	v_mov_b32_e32 v4, 0
	s_waitcnt lgkmcnt(0)
	s_delay_alu instid0(VALU_DEP_2)
	v_add_nc_u32_e32 v2, v3, v2
	ds_bpermute_b32 v1, v4, v1 offset:124
	ds_bpermute_b32 v2, v4, v2 offset:124
	v_cmpx_eq_u32_e32 0, v9
	s_cbranch_execz .LBB88_3
; %bb.2:
	v_lshrrev_b32_e32 v3, 2, v0
	s_delay_alu instid0(VALU_DEP_1)
	v_and_b32_e32 v3, 56, v3
	s_waitcnt lgkmcnt(0)
	ds_store_b64 v3, v[1:2]
.LBB88_3:
	s_or_b32 exec_lo, exec_lo, s1
	s_delay_alu instid0(SALU_CYCLE_1)
	s_mov_b32 s1, exec_lo
	s_waitcnt lgkmcnt(0)
	s_barrier
	buffer_gl0_inv
	v_cmpx_gt_u32_e32 32, v0
	s_cbranch_execz .LBB88_5
; %bb.4:
	v_and_b32_e32 v3, 7, v9
	s_delay_alu instid0(VALU_DEP_1) | instskip(SKIP_4) | instid1(VALU_DEP_2)
	v_lshlrev_b32_e32 v1, 3, v3
	v_cmp_ne_u32_e32 vcc_lo, 7, v3
	ds_load_b64 v[1:2], v1
	v_add_co_ci_u32_e32 v4, vcc_lo, 0, v9, vcc_lo
	v_cmp_gt_u32_e32 vcc_lo, 6, v3
	v_lshlrev_b32_e32 v4, 2, v4
	v_cndmask_b32_e64 v6, 0, 1, vcc_lo
	s_delay_alu instid0(VALU_DEP_1) | instskip(NEXT) | instid1(VALU_DEP_1)
	v_lshlrev_b32_e32 v6, 1, v6
	v_add_lshl_u32 v6, v6, v9, 2
	s_waitcnt lgkmcnt(0)
	ds_bpermute_b32 v5, v4, v1
	ds_bpermute_b32 v4, v4, v2
	s_waitcnt lgkmcnt(1)
	v_add_co_u32 v1, vcc_lo, v1, v5
	v_add_co_ci_u32_e32 v2, vcc_lo, 0, v2, vcc_lo
	ds_bpermute_b32 v5, v6, v1
	v_add_co_u32 v1, vcc_lo, 0, v1
	s_waitcnt lgkmcnt(1)
	v_add_co_ci_u32_e32 v2, vcc_lo, v4, v2, vcc_lo
	v_cmp_gt_u32_e32 vcc_lo, 4, v3
	ds_bpermute_b32 v4, v6, v2
	v_cndmask_b32_e64 v3, 0, 1, vcc_lo
	s_delay_alu instid0(VALU_DEP_1) | instskip(NEXT) | instid1(VALU_DEP_1)
	v_lshlrev_b32_e32 v3, 2, v3
	v_add_lshl_u32 v3, v3, v9, 2
	s_waitcnt lgkmcnt(1)
	v_add_co_u32 v1, vcc_lo, v1, v5
	v_add_co_ci_u32_e32 v2, vcc_lo, 0, v2, vcc_lo
	ds_bpermute_b32 v5, v3, v1
	v_add_co_u32 v1, vcc_lo, v1, 0
	s_waitcnt lgkmcnt(1)
	v_add_co_ci_u32_e32 v2, vcc_lo, v2, v4, vcc_lo
	ds_bpermute_b32 v3, v3, v2
	s_waitcnt lgkmcnt(1)
	v_add_co_u32 v1, vcc_lo, v1, v5
	v_add_co_ci_u32_e32 v2, vcc_lo, 0, v2, vcc_lo
	s_delay_alu instid0(VALU_DEP_2) | instskip(SKIP_1) | instid1(VALU_DEP_2)
	v_add_co_u32 v1, vcc_lo, v1, 0
	s_waitcnt lgkmcnt(0)
	v_add_co_ci_u32_e32 v2, vcc_lo, v2, v3, vcc_lo
.LBB88_5:
	s_or_b32 exec_lo, exec_lo, s1
	s_branch .LBB88_36
.LBB88_6:
                                        ; implicit-def: $vgpr1_vgpr2
	s_cbranch_execz .LBB88_36
; %bb.7:
	s_sub_i32 s6, s8, s0
	s_mov_b32 s0, exec_lo
                                        ; implicit-def: $vgpr1_vgpr2_vgpr3_vgpr4_vgpr5_vgpr6_vgpr7_vgpr8
	v_cmpx_gt_u32_e64 s6, v0
	s_cbranch_execz .LBB88_9
; %bb.8:
	global_load_b64 v[1:2], v10, s[4:5]
.LBB88_9:
	s_or_b32 exec_lo, exec_lo, s0
	v_or_b32_e32 v11, 0x100, v0
	s_delay_alu instid0(VALU_DEP_1)
	v_cmp_gt_u32_e32 vcc_lo, s6, v11
	s_and_saveexec_b32 s0, vcc_lo
	s_cbranch_execz .LBB88_11
; %bb.10:
	global_load_b64 v[3:4], v10, s[4:5] offset:2048
.LBB88_11:
	s_or_b32 exec_lo, exec_lo, s0
	v_or_b32_e32 v10, 0x200, v0
	s_delay_alu instid0(VALU_DEP_1) | instskip(NEXT) | instid1(VALU_DEP_1)
	v_cmp_gt_u32_e64 s0, s6, v10
	s_and_saveexec_b32 s1, s0
	s_cbranch_execz .LBB88_13
; %bb.12:
	v_lshlrev_b32_e32 v5, 3, v10
	global_load_b64 v[5:6], v5, s[4:5]
.LBB88_13:
	s_or_b32 exec_lo, exec_lo, s1
	v_or_b32_e32 v10, 0x300, v0
	s_delay_alu instid0(VALU_DEP_1) | instskip(NEXT) | instid1(VALU_DEP_1)
	v_cmp_gt_u32_e64 s1, s6, v10
	s_and_saveexec_b32 s7, s1
	s_cbranch_execz .LBB88_15
; %bb.14:
	v_lshlrev_b32_e32 v7, 3, v10
	global_load_b64 v[7:8], v7, s[4:5]
.LBB88_15:
	s_or_b32 exec_lo, exec_lo, s7
	s_waitcnt vmcnt(0)
	v_dual_cndmask_b32 v3, 0, v3 :: v_dual_cndmask_b32 v4, 0, v4
	s_delay_alu instid0(VALU_DEP_1) | instskip(NEXT) | instid1(VALU_DEP_2)
	v_add_co_u32 v1, vcc_lo, v3, v1
	v_add_co_ci_u32_e32 v2, vcc_lo, v4, v2, vcc_lo
	v_cmp_ne_u32_e32 vcc_lo, 31, v9
	v_cndmask_b32_e64 v4, 0, v5, s0
	v_cndmask_b32_e64 v3, 0, v6, s0
	;; [unrolled: 1-line block ×3, first 2 shown]
	s_min_u32 s0, s6, 0x100
	v_add_co_ci_u32_e32 v6, vcc_lo, 0, v9, vcc_lo
	v_add_co_u32 v1, vcc_lo, v1, v4
	v_add_co_ci_u32_e32 v2, vcc_lo, v2, v3, vcc_lo
	v_cndmask_b32_e64 v3, 0, v8, s1
	s_delay_alu instid0(VALU_DEP_3) | instskip(SKIP_1) | instid1(VALU_DEP_3)
	v_add_co_u32 v1, vcc_lo, v1, v5
	v_lshlrev_b32_e32 v4, 2, v6
	v_add_co_ci_u32_e32 v2, vcc_lo, v2, v3, vcc_lo
	v_and_b32_e32 v3, 0xe0, v0
	ds_bpermute_b32 v6, v4, v1
	ds_bpermute_b32 v5, v4, v2
	v_add_nc_u32_e32 v4, 1, v9
	v_sub_nc_u32_e64 v3, s0, v3 clamp
	s_delay_alu instid0(VALU_DEP_1)
	v_cmp_lt_u32_e32 vcc_lo, v4, v3
	v_mov_b32_e32 v4, v1
	s_and_saveexec_b32 s1, vcc_lo
	s_cbranch_execz .LBB88_17
; %bb.16:
	s_waitcnt lgkmcnt(1)
	v_add_co_u32 v4, vcc_lo, v1, v6
	v_add_co_ci_u32_e32 v2, vcc_lo, 0, v2, vcc_lo
	s_delay_alu instid0(VALU_DEP_2) | instskip(SKIP_1) | instid1(VALU_DEP_2)
	v_add_co_u32 v1, vcc_lo, v4, 0
	s_waitcnt lgkmcnt(0)
	v_add_co_ci_u32_e32 v2, vcc_lo, v2, v5, vcc_lo
.LBB88_17:
	s_or_b32 exec_lo, exec_lo, s1
	v_cmp_gt_u32_e32 vcc_lo, 30, v9
	v_add_nc_u32_e32 v7, 2, v9
	s_mov_b32 s1, exec_lo
	s_waitcnt lgkmcnt(0)
	v_cndmask_b32_e64 v5, 0, 1, vcc_lo
	s_delay_alu instid0(VALU_DEP_1) | instskip(NEXT) | instid1(VALU_DEP_1)
	v_lshlrev_b32_e32 v5, 1, v5
	v_add_lshl_u32 v5, v5, v9, 2
	ds_bpermute_b32 v6, v5, v4
	ds_bpermute_b32 v5, v5, v2
	v_cmpx_lt_u32_e64 v7, v3
	s_cbranch_execz .LBB88_19
; %bb.18:
	s_waitcnt lgkmcnt(1)
	v_add_co_u32 v4, vcc_lo, v1, v6
	v_add_co_ci_u32_e32 v2, vcc_lo, 0, v2, vcc_lo
	s_delay_alu instid0(VALU_DEP_2) | instskip(SKIP_1) | instid1(VALU_DEP_2)
	v_add_co_u32 v1, vcc_lo, 0, v4
	s_waitcnt lgkmcnt(0)
	v_add_co_ci_u32_e32 v2, vcc_lo, v5, v2, vcc_lo
.LBB88_19:
	s_or_b32 exec_lo, exec_lo, s1
	v_cmp_gt_u32_e32 vcc_lo, 28, v9
	v_add_nc_u32_e32 v7, 4, v9
	s_mov_b32 s1, exec_lo
	s_waitcnt lgkmcnt(0)
	v_cndmask_b32_e64 v5, 0, 1, vcc_lo
	s_delay_alu instid0(VALU_DEP_1) | instskip(NEXT) | instid1(VALU_DEP_1)
	v_lshlrev_b32_e32 v5, 2, v5
	v_add_lshl_u32 v5, v5, v9, 2
	ds_bpermute_b32 v6, v5, v4
	ds_bpermute_b32 v5, v5, v2
	v_cmpx_lt_u32_e64 v7, v3
	;; [unrolled: 22-line block ×3, first 2 shown]
	s_cbranch_execz .LBB88_23
; %bb.22:
	s_waitcnt lgkmcnt(1)
	v_add_co_u32 v4, vcc_lo, v1, v6
	v_add_co_ci_u32_e32 v2, vcc_lo, 0, v2, vcc_lo
	s_delay_alu instid0(VALU_DEP_2) | instskip(SKIP_1) | instid1(VALU_DEP_2)
	v_add_co_u32 v1, vcc_lo, 0, v4
	s_waitcnt lgkmcnt(0)
	v_add_co_ci_u32_e32 v2, vcc_lo, v5, v2, vcc_lo
.LBB88_23:
	s_or_b32 exec_lo, exec_lo, s1
	v_cmp_gt_u32_e32 vcc_lo, 16, v9
	s_mov_b32 s1, exec_lo
	s_waitcnt lgkmcnt(0)
	v_cndmask_b32_e64 v5, 0, 1, vcc_lo
	s_delay_alu instid0(VALU_DEP_1) | instskip(NEXT) | instid1(VALU_DEP_1)
	v_lshlrev_b32_e32 v5, 4, v5
	v_add_lshl_u32 v6, v5, v9, 2
	ds_bpermute_b32 v5, v6, v4
	ds_bpermute_b32 v4, v6, v2
	v_add_nc_u32_e32 v6, 16, v9
	s_delay_alu instid0(VALU_DEP_1)
	v_cmpx_lt_u32_e64 v6, v3
	s_cbranch_execz .LBB88_25
; %bb.24:
	s_waitcnt lgkmcnt(1)
	v_add_co_u32 v1, vcc_lo, v1, v5
	v_add_co_ci_u32_e32 v2, vcc_lo, 0, v2, vcc_lo
	s_delay_alu instid0(VALU_DEP_2) | instskip(SKIP_1) | instid1(VALU_DEP_2)
	v_add_co_u32 v1, vcc_lo, v1, 0
	s_waitcnt lgkmcnt(0)
	v_add_co_ci_u32_e32 v2, vcc_lo, v2, v4, vcc_lo
.LBB88_25:
	s_or_b32 exec_lo, exec_lo, s1
	s_delay_alu instid0(SALU_CYCLE_1)
	s_mov_b32 s1, exec_lo
	v_cmpx_eq_u32_e32 0, v9
	s_cbranch_execz .LBB88_27
; %bb.26:
	v_lshrrev_b32_e32 v3, 2, v0
	s_delay_alu instid0(VALU_DEP_1)
	v_and_b32_e32 v3, 56, v3
	ds_store_b64 v3, v[1:2] offset:64
.LBB88_27:
	s_or_b32 exec_lo, exec_lo, s1
	s_delay_alu instid0(SALU_CYCLE_1)
	s_mov_b32 s1, exec_lo
	s_waitcnt lgkmcnt(0)
	s_barrier
	buffer_gl0_inv
	v_cmpx_gt_u32_e32 8, v0
	s_cbranch_execz .LBB88_35
; %bb.28:
	v_lshlrev_b32_e32 v1, 3, v9
	s_add_i32 s0, s0, 31
	s_delay_alu instid0(SALU_CYCLE_1) | instskip(SKIP_2) | instid1(VALU_DEP_1)
	s_lshr_b32 s0, s0, 5
	ds_load_b64 v[1:2], v1 offset:64
	v_and_b32_e32 v3, 7, v9
	v_cmp_ne_u32_e32 vcc_lo, 7, v3
	v_add_co_ci_u32_e32 v4, vcc_lo, 0, v9, vcc_lo
	s_delay_alu instid0(VALU_DEP_1) | instskip(SKIP_4) | instid1(VALU_DEP_1)
	v_lshlrev_b32_e32 v4, 2, v4
	s_waitcnt lgkmcnt(0)
	ds_bpermute_b32 v6, v4, v1
	ds_bpermute_b32 v5, v4, v2
	v_add_nc_u32_e32 v4, 1, v3
	v_cmp_gt_u32_e32 vcc_lo, s0, v4
	v_mov_b32_e32 v4, v1
	s_and_saveexec_b32 s4, vcc_lo
	s_cbranch_execz .LBB88_30
; %bb.29:
	s_waitcnt lgkmcnt(1)
	v_add_co_u32 v4, vcc_lo, v1, v6
	v_add_co_ci_u32_e32 v2, vcc_lo, 0, v2, vcc_lo
	s_delay_alu instid0(VALU_DEP_2) | instskip(SKIP_1) | instid1(VALU_DEP_2)
	v_add_co_u32 v1, vcc_lo, 0, v4
	s_waitcnt lgkmcnt(0)
	v_add_co_ci_u32_e32 v2, vcc_lo, v5, v2, vcc_lo
.LBB88_30:
	s_or_b32 exec_lo, exec_lo, s4
	v_cmp_gt_u32_e32 vcc_lo, 6, v3
	v_add_nc_u32_e32 v7, 2, v3
	s_mov_b32 s4, exec_lo
	s_waitcnt lgkmcnt(0)
	v_cndmask_b32_e64 v5, 0, 1, vcc_lo
	s_delay_alu instid0(VALU_DEP_1) | instskip(NEXT) | instid1(VALU_DEP_1)
	v_lshlrev_b32_e32 v5, 1, v5
	v_add_lshl_u32 v5, v5, v9, 2
	ds_bpermute_b32 v6, v5, v4
	ds_bpermute_b32 v5, v5, v2
	v_cmpx_gt_u32_e64 s0, v7
	s_cbranch_execz .LBB88_32
; %bb.31:
	s_waitcnt lgkmcnt(1)
	v_add_co_u32 v4, vcc_lo, v1, v6
	v_add_co_ci_u32_e32 v2, vcc_lo, 0, v2, vcc_lo
	s_delay_alu instid0(VALU_DEP_2) | instskip(SKIP_1) | instid1(VALU_DEP_2)
	v_add_co_u32 v1, vcc_lo, 0, v4
	s_waitcnt lgkmcnt(0)
	v_add_co_ci_u32_e32 v2, vcc_lo, v5, v2, vcc_lo
.LBB88_32:
	s_or_b32 exec_lo, exec_lo, s4
	v_cmp_gt_u32_e32 vcc_lo, 4, v3
	v_add_nc_u32_e32 v3, 4, v3
	s_waitcnt lgkmcnt(0)
	v_cndmask_b32_e64 v5, 0, 1, vcc_lo
	s_delay_alu instid0(VALU_DEP_2) | instskip(NEXT) | instid1(VALU_DEP_2)
	v_cmp_gt_u32_e32 vcc_lo, s0, v3
	v_lshlrev_b32_e32 v5, 2, v5
	s_delay_alu instid0(VALU_DEP_1)
	v_add_lshl_u32 v6, v5, v9, 2
	ds_bpermute_b32 v5, v6, v4
	ds_bpermute_b32 v4, v6, v2
	s_and_saveexec_b32 s0, vcc_lo
	s_cbranch_execz .LBB88_34
; %bb.33:
	s_waitcnt lgkmcnt(1)
	v_add_co_u32 v1, vcc_lo, v1, v5
	v_add_co_ci_u32_e32 v2, vcc_lo, 0, v2, vcc_lo
	s_delay_alu instid0(VALU_DEP_2) | instskip(SKIP_1) | instid1(VALU_DEP_2)
	v_add_co_u32 v1, vcc_lo, v1, 0
	s_waitcnt lgkmcnt(0)
	v_add_co_ci_u32_e32 v2, vcc_lo, v2, v4, vcc_lo
.LBB88_34:
	s_or_b32 exec_lo, exec_lo, s0
.LBB88_35:
	s_delay_alu instid0(SALU_CYCLE_1)
	s_or_b32 exec_lo, exec_lo, s1
.LBB88_36:
	s_delay_alu instid0(SALU_CYCLE_1)
	s_mov_b32 s0, exec_lo
	v_cmpx_eq_u32_e32 0, v0
	s_cbranch_execz .LBB88_38
; %bb.37:
	s_mul_i32 s0, s14, s13
	s_mul_hi_u32 s1, s14, s12
	s_mul_i32 s4, s15, s12
	s_add_i32 s1, s1, s0
	s_mul_i32 s0, s14, s12
	s_add_i32 s1, s1, s4
	v_mov_b32_e32 v0, 0
	s_lshl_b64 s[0:1], s[0:1], 3
	s_delay_alu instid0(SALU_CYCLE_1)
	s_add_u32 s4, s10, s0
	s_addc_u32 s5, s11, s1
	s_cmp_eq_u64 s[8:9], 0
	s_cselect_b32 s6, -1, 0
	s_lshl_b64 s[0:1], s[2:3], 3
	v_cndmask_b32_e64 v2, v2, s17, s6
	v_cndmask_b32_e64 v1, v1, s16, s6
	s_add_u32 s0, s4, s0
	s_addc_u32 s1, s5, s1
	global_store_b64 v0, v[1:2], s[0:1]
.LBB88_38:
	s_nop 0
	s_sendmsg sendmsg(MSG_DEALLOC_VGPRS)
	s_endpgm
	.section	.rodata,"a",@progbits
	.p2align	6, 0x0
	.amdhsa_kernel _ZN7rocprim17ROCPRIM_400000_NS6detail17trampoline_kernelINS0_14default_configENS1_22reduce_config_selectorIlEEZNS1_11reduce_implILb1ES3_PlS7_lN6hipcub16HIPCUB_304000_NS6detail34convert_binary_result_type_wrapperINS9_3SumENS9_22TransformInputIteratorIb7NonZeroIsEPslEElEEEE10hipError_tPvRmT1_T2_T3_mT4_P12ihipStream_tbEUlT_E0_NS1_11comp_targetILNS1_3genE9ELNS1_11target_archE1100ELNS1_3gpuE3ELNS1_3repE0EEENS1_30default_config_static_selectorELNS0_4arch9wavefront6targetE0EEEvSM_
		.amdhsa_group_segment_fixed_size 128
		.amdhsa_private_segment_fixed_size 0
		.amdhsa_kernarg_size 64
		.amdhsa_user_sgpr_count 15
		.amdhsa_user_sgpr_dispatch_ptr 0
		.amdhsa_user_sgpr_queue_ptr 0
		.amdhsa_user_sgpr_kernarg_segment_ptr 1
		.amdhsa_user_sgpr_dispatch_id 0
		.amdhsa_user_sgpr_private_segment_size 0
		.amdhsa_wavefront_size32 1
		.amdhsa_uses_dynamic_stack 0
		.amdhsa_enable_private_segment 0
		.amdhsa_system_sgpr_workgroup_id_x 1
		.amdhsa_system_sgpr_workgroup_id_y 0
		.amdhsa_system_sgpr_workgroup_id_z 0
		.amdhsa_system_sgpr_workgroup_info 0
		.amdhsa_system_vgpr_workitem_id 0
		.amdhsa_next_free_vgpr 12
		.amdhsa_next_free_sgpr 20
		.amdhsa_reserve_vcc 1
		.amdhsa_float_round_mode_32 0
		.amdhsa_float_round_mode_16_64 0
		.amdhsa_float_denorm_mode_32 3
		.amdhsa_float_denorm_mode_16_64 3
		.amdhsa_dx10_clamp 1
		.amdhsa_ieee_mode 1
		.amdhsa_fp16_overflow 0
		.amdhsa_workgroup_processor_mode 1
		.amdhsa_memory_ordered 1
		.amdhsa_forward_progress 0
		.amdhsa_shared_vgpr_count 0
		.amdhsa_exception_fp_ieee_invalid_op 0
		.amdhsa_exception_fp_denorm_src 0
		.amdhsa_exception_fp_ieee_div_zero 0
		.amdhsa_exception_fp_ieee_overflow 0
		.amdhsa_exception_fp_ieee_underflow 0
		.amdhsa_exception_fp_ieee_inexact 0
		.amdhsa_exception_int_div_zero 0
	.end_amdhsa_kernel
	.section	.text._ZN7rocprim17ROCPRIM_400000_NS6detail17trampoline_kernelINS0_14default_configENS1_22reduce_config_selectorIlEEZNS1_11reduce_implILb1ES3_PlS7_lN6hipcub16HIPCUB_304000_NS6detail34convert_binary_result_type_wrapperINS9_3SumENS9_22TransformInputIteratorIb7NonZeroIsEPslEElEEEE10hipError_tPvRmT1_T2_T3_mT4_P12ihipStream_tbEUlT_E0_NS1_11comp_targetILNS1_3genE9ELNS1_11target_archE1100ELNS1_3gpuE3ELNS1_3repE0EEENS1_30default_config_static_selectorELNS0_4arch9wavefront6targetE0EEEvSM_,"axG",@progbits,_ZN7rocprim17ROCPRIM_400000_NS6detail17trampoline_kernelINS0_14default_configENS1_22reduce_config_selectorIlEEZNS1_11reduce_implILb1ES3_PlS7_lN6hipcub16HIPCUB_304000_NS6detail34convert_binary_result_type_wrapperINS9_3SumENS9_22TransformInputIteratorIb7NonZeroIsEPslEElEEEE10hipError_tPvRmT1_T2_T3_mT4_P12ihipStream_tbEUlT_E0_NS1_11comp_targetILNS1_3genE9ELNS1_11target_archE1100ELNS1_3gpuE3ELNS1_3repE0EEENS1_30default_config_static_selectorELNS0_4arch9wavefront6targetE0EEEvSM_,comdat
.Lfunc_end88:
	.size	_ZN7rocprim17ROCPRIM_400000_NS6detail17trampoline_kernelINS0_14default_configENS1_22reduce_config_selectorIlEEZNS1_11reduce_implILb1ES3_PlS7_lN6hipcub16HIPCUB_304000_NS6detail34convert_binary_result_type_wrapperINS9_3SumENS9_22TransformInputIteratorIb7NonZeroIsEPslEElEEEE10hipError_tPvRmT1_T2_T3_mT4_P12ihipStream_tbEUlT_E0_NS1_11comp_targetILNS1_3genE9ELNS1_11target_archE1100ELNS1_3gpuE3ELNS1_3repE0EEENS1_30default_config_static_selectorELNS0_4arch9wavefront6targetE0EEEvSM_, .Lfunc_end88-_ZN7rocprim17ROCPRIM_400000_NS6detail17trampoline_kernelINS0_14default_configENS1_22reduce_config_selectorIlEEZNS1_11reduce_implILb1ES3_PlS7_lN6hipcub16HIPCUB_304000_NS6detail34convert_binary_result_type_wrapperINS9_3SumENS9_22TransformInputIteratorIb7NonZeroIsEPslEElEEEE10hipError_tPvRmT1_T2_T3_mT4_P12ihipStream_tbEUlT_E0_NS1_11comp_targetILNS1_3genE9ELNS1_11target_archE1100ELNS1_3gpuE3ELNS1_3repE0EEENS1_30default_config_static_selectorELNS0_4arch9wavefront6targetE0EEEvSM_
                                        ; -- End function
	.section	.AMDGPU.csdata,"",@progbits
; Kernel info:
; codeLenInByte = 2140
; NumSgprs: 22
; NumVgprs: 12
; ScratchSize: 0
; MemoryBound: 0
; FloatMode: 240
; IeeeMode: 1
; LDSByteSize: 128 bytes/workgroup (compile time only)
; SGPRBlocks: 2
; VGPRBlocks: 1
; NumSGPRsForWavesPerEU: 22
; NumVGPRsForWavesPerEU: 12
; Occupancy: 16
; WaveLimiterHint : 1
; COMPUTE_PGM_RSRC2:SCRATCH_EN: 0
; COMPUTE_PGM_RSRC2:USER_SGPR: 15
; COMPUTE_PGM_RSRC2:TRAP_HANDLER: 0
; COMPUTE_PGM_RSRC2:TGID_X_EN: 1
; COMPUTE_PGM_RSRC2:TGID_Y_EN: 0
; COMPUTE_PGM_RSRC2:TGID_Z_EN: 0
; COMPUTE_PGM_RSRC2:TIDIG_COMP_CNT: 0
	.section	.text._ZN7rocprim17ROCPRIM_400000_NS6detail17trampoline_kernelINS0_14default_configENS1_22reduce_config_selectorIlEEZNS1_11reduce_implILb1ES3_PlS7_lN6hipcub16HIPCUB_304000_NS6detail34convert_binary_result_type_wrapperINS9_3SumENS9_22TransformInputIteratorIb7NonZeroIsEPslEElEEEE10hipError_tPvRmT1_T2_T3_mT4_P12ihipStream_tbEUlT_E0_NS1_11comp_targetILNS1_3genE8ELNS1_11target_archE1030ELNS1_3gpuE2ELNS1_3repE0EEENS1_30default_config_static_selectorELNS0_4arch9wavefront6targetE0EEEvSM_,"axG",@progbits,_ZN7rocprim17ROCPRIM_400000_NS6detail17trampoline_kernelINS0_14default_configENS1_22reduce_config_selectorIlEEZNS1_11reduce_implILb1ES3_PlS7_lN6hipcub16HIPCUB_304000_NS6detail34convert_binary_result_type_wrapperINS9_3SumENS9_22TransformInputIteratorIb7NonZeroIsEPslEElEEEE10hipError_tPvRmT1_T2_T3_mT4_P12ihipStream_tbEUlT_E0_NS1_11comp_targetILNS1_3genE8ELNS1_11target_archE1030ELNS1_3gpuE2ELNS1_3repE0EEENS1_30default_config_static_selectorELNS0_4arch9wavefront6targetE0EEEvSM_,comdat
	.protected	_ZN7rocprim17ROCPRIM_400000_NS6detail17trampoline_kernelINS0_14default_configENS1_22reduce_config_selectorIlEEZNS1_11reduce_implILb1ES3_PlS7_lN6hipcub16HIPCUB_304000_NS6detail34convert_binary_result_type_wrapperINS9_3SumENS9_22TransformInputIteratorIb7NonZeroIsEPslEElEEEE10hipError_tPvRmT1_T2_T3_mT4_P12ihipStream_tbEUlT_E0_NS1_11comp_targetILNS1_3genE8ELNS1_11target_archE1030ELNS1_3gpuE2ELNS1_3repE0EEENS1_30default_config_static_selectorELNS0_4arch9wavefront6targetE0EEEvSM_ ; -- Begin function _ZN7rocprim17ROCPRIM_400000_NS6detail17trampoline_kernelINS0_14default_configENS1_22reduce_config_selectorIlEEZNS1_11reduce_implILb1ES3_PlS7_lN6hipcub16HIPCUB_304000_NS6detail34convert_binary_result_type_wrapperINS9_3SumENS9_22TransformInputIteratorIb7NonZeroIsEPslEElEEEE10hipError_tPvRmT1_T2_T3_mT4_P12ihipStream_tbEUlT_E0_NS1_11comp_targetILNS1_3genE8ELNS1_11target_archE1030ELNS1_3gpuE2ELNS1_3repE0EEENS1_30default_config_static_selectorELNS0_4arch9wavefront6targetE0EEEvSM_
	.globl	_ZN7rocprim17ROCPRIM_400000_NS6detail17trampoline_kernelINS0_14default_configENS1_22reduce_config_selectorIlEEZNS1_11reduce_implILb1ES3_PlS7_lN6hipcub16HIPCUB_304000_NS6detail34convert_binary_result_type_wrapperINS9_3SumENS9_22TransformInputIteratorIb7NonZeroIsEPslEElEEEE10hipError_tPvRmT1_T2_T3_mT4_P12ihipStream_tbEUlT_E0_NS1_11comp_targetILNS1_3genE8ELNS1_11target_archE1030ELNS1_3gpuE2ELNS1_3repE0EEENS1_30default_config_static_selectorELNS0_4arch9wavefront6targetE0EEEvSM_
	.p2align	8
	.type	_ZN7rocprim17ROCPRIM_400000_NS6detail17trampoline_kernelINS0_14default_configENS1_22reduce_config_selectorIlEEZNS1_11reduce_implILb1ES3_PlS7_lN6hipcub16HIPCUB_304000_NS6detail34convert_binary_result_type_wrapperINS9_3SumENS9_22TransformInputIteratorIb7NonZeroIsEPslEElEEEE10hipError_tPvRmT1_T2_T3_mT4_P12ihipStream_tbEUlT_E0_NS1_11comp_targetILNS1_3genE8ELNS1_11target_archE1030ELNS1_3gpuE2ELNS1_3repE0EEENS1_30default_config_static_selectorELNS0_4arch9wavefront6targetE0EEEvSM_,@function
_ZN7rocprim17ROCPRIM_400000_NS6detail17trampoline_kernelINS0_14default_configENS1_22reduce_config_selectorIlEEZNS1_11reduce_implILb1ES3_PlS7_lN6hipcub16HIPCUB_304000_NS6detail34convert_binary_result_type_wrapperINS9_3SumENS9_22TransformInputIteratorIb7NonZeroIsEPslEElEEEE10hipError_tPvRmT1_T2_T3_mT4_P12ihipStream_tbEUlT_E0_NS1_11comp_targetILNS1_3genE8ELNS1_11target_archE1030ELNS1_3gpuE2ELNS1_3repE0EEENS1_30default_config_static_selectorELNS0_4arch9wavefront6targetE0EEEvSM_: ; @_ZN7rocprim17ROCPRIM_400000_NS6detail17trampoline_kernelINS0_14default_configENS1_22reduce_config_selectorIlEEZNS1_11reduce_implILb1ES3_PlS7_lN6hipcub16HIPCUB_304000_NS6detail34convert_binary_result_type_wrapperINS9_3SumENS9_22TransformInputIteratorIb7NonZeroIsEPslEElEEEE10hipError_tPvRmT1_T2_T3_mT4_P12ihipStream_tbEUlT_E0_NS1_11comp_targetILNS1_3genE8ELNS1_11target_archE1030ELNS1_3gpuE2ELNS1_3repE0EEENS1_30default_config_static_selectorELNS0_4arch9wavefront6targetE0EEEvSM_
; %bb.0:
	.section	.rodata,"a",@progbits
	.p2align	6, 0x0
	.amdhsa_kernel _ZN7rocprim17ROCPRIM_400000_NS6detail17trampoline_kernelINS0_14default_configENS1_22reduce_config_selectorIlEEZNS1_11reduce_implILb1ES3_PlS7_lN6hipcub16HIPCUB_304000_NS6detail34convert_binary_result_type_wrapperINS9_3SumENS9_22TransformInputIteratorIb7NonZeroIsEPslEElEEEE10hipError_tPvRmT1_T2_T3_mT4_P12ihipStream_tbEUlT_E0_NS1_11comp_targetILNS1_3genE8ELNS1_11target_archE1030ELNS1_3gpuE2ELNS1_3repE0EEENS1_30default_config_static_selectorELNS0_4arch9wavefront6targetE0EEEvSM_
		.amdhsa_group_segment_fixed_size 0
		.amdhsa_private_segment_fixed_size 0
		.amdhsa_kernarg_size 64
		.amdhsa_user_sgpr_count 15
		.amdhsa_user_sgpr_dispatch_ptr 0
		.amdhsa_user_sgpr_queue_ptr 0
		.amdhsa_user_sgpr_kernarg_segment_ptr 1
		.amdhsa_user_sgpr_dispatch_id 0
		.amdhsa_user_sgpr_private_segment_size 0
		.amdhsa_wavefront_size32 1
		.amdhsa_uses_dynamic_stack 0
		.amdhsa_enable_private_segment 0
		.amdhsa_system_sgpr_workgroup_id_x 1
		.amdhsa_system_sgpr_workgroup_id_y 0
		.amdhsa_system_sgpr_workgroup_id_z 0
		.amdhsa_system_sgpr_workgroup_info 0
		.amdhsa_system_vgpr_workitem_id 0
		.amdhsa_next_free_vgpr 1
		.amdhsa_next_free_sgpr 1
		.amdhsa_reserve_vcc 0
		.amdhsa_float_round_mode_32 0
		.amdhsa_float_round_mode_16_64 0
		.amdhsa_float_denorm_mode_32 3
		.amdhsa_float_denorm_mode_16_64 3
		.amdhsa_dx10_clamp 1
		.amdhsa_ieee_mode 1
		.amdhsa_fp16_overflow 0
		.amdhsa_workgroup_processor_mode 1
		.amdhsa_memory_ordered 1
		.amdhsa_forward_progress 0
		.amdhsa_shared_vgpr_count 0
		.amdhsa_exception_fp_ieee_invalid_op 0
		.amdhsa_exception_fp_denorm_src 0
		.amdhsa_exception_fp_ieee_div_zero 0
		.amdhsa_exception_fp_ieee_overflow 0
		.amdhsa_exception_fp_ieee_underflow 0
		.amdhsa_exception_fp_ieee_inexact 0
		.amdhsa_exception_int_div_zero 0
	.end_amdhsa_kernel
	.section	.text._ZN7rocprim17ROCPRIM_400000_NS6detail17trampoline_kernelINS0_14default_configENS1_22reduce_config_selectorIlEEZNS1_11reduce_implILb1ES3_PlS7_lN6hipcub16HIPCUB_304000_NS6detail34convert_binary_result_type_wrapperINS9_3SumENS9_22TransformInputIteratorIb7NonZeroIsEPslEElEEEE10hipError_tPvRmT1_T2_T3_mT4_P12ihipStream_tbEUlT_E0_NS1_11comp_targetILNS1_3genE8ELNS1_11target_archE1030ELNS1_3gpuE2ELNS1_3repE0EEENS1_30default_config_static_selectorELNS0_4arch9wavefront6targetE0EEEvSM_,"axG",@progbits,_ZN7rocprim17ROCPRIM_400000_NS6detail17trampoline_kernelINS0_14default_configENS1_22reduce_config_selectorIlEEZNS1_11reduce_implILb1ES3_PlS7_lN6hipcub16HIPCUB_304000_NS6detail34convert_binary_result_type_wrapperINS9_3SumENS9_22TransformInputIteratorIb7NonZeroIsEPslEElEEEE10hipError_tPvRmT1_T2_T3_mT4_P12ihipStream_tbEUlT_E0_NS1_11comp_targetILNS1_3genE8ELNS1_11target_archE1030ELNS1_3gpuE2ELNS1_3repE0EEENS1_30default_config_static_selectorELNS0_4arch9wavefront6targetE0EEEvSM_,comdat
.Lfunc_end89:
	.size	_ZN7rocprim17ROCPRIM_400000_NS6detail17trampoline_kernelINS0_14default_configENS1_22reduce_config_selectorIlEEZNS1_11reduce_implILb1ES3_PlS7_lN6hipcub16HIPCUB_304000_NS6detail34convert_binary_result_type_wrapperINS9_3SumENS9_22TransformInputIteratorIb7NonZeroIsEPslEElEEEE10hipError_tPvRmT1_T2_T3_mT4_P12ihipStream_tbEUlT_E0_NS1_11comp_targetILNS1_3genE8ELNS1_11target_archE1030ELNS1_3gpuE2ELNS1_3repE0EEENS1_30default_config_static_selectorELNS0_4arch9wavefront6targetE0EEEvSM_, .Lfunc_end89-_ZN7rocprim17ROCPRIM_400000_NS6detail17trampoline_kernelINS0_14default_configENS1_22reduce_config_selectorIlEEZNS1_11reduce_implILb1ES3_PlS7_lN6hipcub16HIPCUB_304000_NS6detail34convert_binary_result_type_wrapperINS9_3SumENS9_22TransformInputIteratorIb7NonZeroIsEPslEElEEEE10hipError_tPvRmT1_T2_T3_mT4_P12ihipStream_tbEUlT_E0_NS1_11comp_targetILNS1_3genE8ELNS1_11target_archE1030ELNS1_3gpuE2ELNS1_3repE0EEENS1_30default_config_static_selectorELNS0_4arch9wavefront6targetE0EEEvSM_
                                        ; -- End function
	.section	.AMDGPU.csdata,"",@progbits
; Kernel info:
; codeLenInByte = 0
; NumSgprs: 0
; NumVgprs: 0
; ScratchSize: 0
; MemoryBound: 0
; FloatMode: 240
; IeeeMode: 1
; LDSByteSize: 0 bytes/workgroup (compile time only)
; SGPRBlocks: 0
; VGPRBlocks: 0
; NumSGPRsForWavesPerEU: 1
; NumVGPRsForWavesPerEU: 1
; Occupancy: 16
; WaveLimiterHint : 0
; COMPUTE_PGM_RSRC2:SCRATCH_EN: 0
; COMPUTE_PGM_RSRC2:USER_SGPR: 15
; COMPUTE_PGM_RSRC2:TRAP_HANDLER: 0
; COMPUTE_PGM_RSRC2:TGID_X_EN: 1
; COMPUTE_PGM_RSRC2:TGID_Y_EN: 0
; COMPUTE_PGM_RSRC2:TGID_Z_EN: 0
; COMPUTE_PGM_RSRC2:TIDIG_COMP_CNT: 0
	.section	.text._ZN7rocprim17ROCPRIM_400000_NS6detail17trampoline_kernelINS0_14default_configENS1_22reduce_config_selectorIlEEZNS1_11reduce_implILb1ES3_PlS7_lN6hipcub16HIPCUB_304000_NS6detail34convert_binary_result_type_wrapperINS9_3SumENS9_22TransformInputIteratorIb7NonZeroIsEPslEElEEEE10hipError_tPvRmT1_T2_T3_mT4_P12ihipStream_tbEUlT_E1_NS1_11comp_targetILNS1_3genE0ELNS1_11target_archE4294967295ELNS1_3gpuE0ELNS1_3repE0EEENS1_30default_config_static_selectorELNS0_4arch9wavefront6targetE0EEEvSM_,"axG",@progbits,_ZN7rocprim17ROCPRIM_400000_NS6detail17trampoline_kernelINS0_14default_configENS1_22reduce_config_selectorIlEEZNS1_11reduce_implILb1ES3_PlS7_lN6hipcub16HIPCUB_304000_NS6detail34convert_binary_result_type_wrapperINS9_3SumENS9_22TransformInputIteratorIb7NonZeroIsEPslEElEEEE10hipError_tPvRmT1_T2_T3_mT4_P12ihipStream_tbEUlT_E1_NS1_11comp_targetILNS1_3genE0ELNS1_11target_archE4294967295ELNS1_3gpuE0ELNS1_3repE0EEENS1_30default_config_static_selectorELNS0_4arch9wavefront6targetE0EEEvSM_,comdat
	.protected	_ZN7rocprim17ROCPRIM_400000_NS6detail17trampoline_kernelINS0_14default_configENS1_22reduce_config_selectorIlEEZNS1_11reduce_implILb1ES3_PlS7_lN6hipcub16HIPCUB_304000_NS6detail34convert_binary_result_type_wrapperINS9_3SumENS9_22TransformInputIteratorIb7NonZeroIsEPslEElEEEE10hipError_tPvRmT1_T2_T3_mT4_P12ihipStream_tbEUlT_E1_NS1_11comp_targetILNS1_3genE0ELNS1_11target_archE4294967295ELNS1_3gpuE0ELNS1_3repE0EEENS1_30default_config_static_selectorELNS0_4arch9wavefront6targetE0EEEvSM_ ; -- Begin function _ZN7rocprim17ROCPRIM_400000_NS6detail17trampoline_kernelINS0_14default_configENS1_22reduce_config_selectorIlEEZNS1_11reduce_implILb1ES3_PlS7_lN6hipcub16HIPCUB_304000_NS6detail34convert_binary_result_type_wrapperINS9_3SumENS9_22TransformInputIteratorIb7NonZeroIsEPslEElEEEE10hipError_tPvRmT1_T2_T3_mT4_P12ihipStream_tbEUlT_E1_NS1_11comp_targetILNS1_3genE0ELNS1_11target_archE4294967295ELNS1_3gpuE0ELNS1_3repE0EEENS1_30default_config_static_selectorELNS0_4arch9wavefront6targetE0EEEvSM_
	.globl	_ZN7rocprim17ROCPRIM_400000_NS6detail17trampoline_kernelINS0_14default_configENS1_22reduce_config_selectorIlEEZNS1_11reduce_implILb1ES3_PlS7_lN6hipcub16HIPCUB_304000_NS6detail34convert_binary_result_type_wrapperINS9_3SumENS9_22TransformInputIteratorIb7NonZeroIsEPslEElEEEE10hipError_tPvRmT1_T2_T3_mT4_P12ihipStream_tbEUlT_E1_NS1_11comp_targetILNS1_3genE0ELNS1_11target_archE4294967295ELNS1_3gpuE0ELNS1_3repE0EEENS1_30default_config_static_selectorELNS0_4arch9wavefront6targetE0EEEvSM_
	.p2align	8
	.type	_ZN7rocprim17ROCPRIM_400000_NS6detail17trampoline_kernelINS0_14default_configENS1_22reduce_config_selectorIlEEZNS1_11reduce_implILb1ES3_PlS7_lN6hipcub16HIPCUB_304000_NS6detail34convert_binary_result_type_wrapperINS9_3SumENS9_22TransformInputIteratorIb7NonZeroIsEPslEElEEEE10hipError_tPvRmT1_T2_T3_mT4_P12ihipStream_tbEUlT_E1_NS1_11comp_targetILNS1_3genE0ELNS1_11target_archE4294967295ELNS1_3gpuE0ELNS1_3repE0EEENS1_30default_config_static_selectorELNS0_4arch9wavefront6targetE0EEEvSM_,@function
_ZN7rocprim17ROCPRIM_400000_NS6detail17trampoline_kernelINS0_14default_configENS1_22reduce_config_selectorIlEEZNS1_11reduce_implILb1ES3_PlS7_lN6hipcub16HIPCUB_304000_NS6detail34convert_binary_result_type_wrapperINS9_3SumENS9_22TransformInputIteratorIb7NonZeroIsEPslEElEEEE10hipError_tPvRmT1_T2_T3_mT4_P12ihipStream_tbEUlT_E1_NS1_11comp_targetILNS1_3genE0ELNS1_11target_archE4294967295ELNS1_3gpuE0ELNS1_3repE0EEENS1_30default_config_static_selectorELNS0_4arch9wavefront6targetE0EEEvSM_: ; @_ZN7rocprim17ROCPRIM_400000_NS6detail17trampoline_kernelINS0_14default_configENS1_22reduce_config_selectorIlEEZNS1_11reduce_implILb1ES3_PlS7_lN6hipcub16HIPCUB_304000_NS6detail34convert_binary_result_type_wrapperINS9_3SumENS9_22TransformInputIteratorIb7NonZeroIsEPslEElEEEE10hipError_tPvRmT1_T2_T3_mT4_P12ihipStream_tbEUlT_E1_NS1_11comp_targetILNS1_3genE0ELNS1_11target_archE4294967295ELNS1_3gpuE0ELNS1_3repE0EEENS1_30default_config_static_selectorELNS0_4arch9wavefront6targetE0EEEvSM_
; %bb.0:
	.section	.rodata,"a",@progbits
	.p2align	6, 0x0
	.amdhsa_kernel _ZN7rocprim17ROCPRIM_400000_NS6detail17trampoline_kernelINS0_14default_configENS1_22reduce_config_selectorIlEEZNS1_11reduce_implILb1ES3_PlS7_lN6hipcub16HIPCUB_304000_NS6detail34convert_binary_result_type_wrapperINS9_3SumENS9_22TransformInputIteratorIb7NonZeroIsEPslEElEEEE10hipError_tPvRmT1_T2_T3_mT4_P12ihipStream_tbEUlT_E1_NS1_11comp_targetILNS1_3genE0ELNS1_11target_archE4294967295ELNS1_3gpuE0ELNS1_3repE0EEENS1_30default_config_static_selectorELNS0_4arch9wavefront6targetE0EEEvSM_
		.amdhsa_group_segment_fixed_size 0
		.amdhsa_private_segment_fixed_size 0
		.amdhsa_kernarg_size 48
		.amdhsa_user_sgpr_count 15
		.amdhsa_user_sgpr_dispatch_ptr 0
		.amdhsa_user_sgpr_queue_ptr 0
		.amdhsa_user_sgpr_kernarg_segment_ptr 1
		.amdhsa_user_sgpr_dispatch_id 0
		.amdhsa_user_sgpr_private_segment_size 0
		.amdhsa_wavefront_size32 1
		.amdhsa_uses_dynamic_stack 0
		.amdhsa_enable_private_segment 0
		.amdhsa_system_sgpr_workgroup_id_x 1
		.amdhsa_system_sgpr_workgroup_id_y 0
		.amdhsa_system_sgpr_workgroup_id_z 0
		.amdhsa_system_sgpr_workgroup_info 0
		.amdhsa_system_vgpr_workitem_id 0
		.amdhsa_next_free_vgpr 1
		.amdhsa_next_free_sgpr 1
		.amdhsa_reserve_vcc 0
		.amdhsa_float_round_mode_32 0
		.amdhsa_float_round_mode_16_64 0
		.amdhsa_float_denorm_mode_32 3
		.amdhsa_float_denorm_mode_16_64 3
		.amdhsa_dx10_clamp 1
		.amdhsa_ieee_mode 1
		.amdhsa_fp16_overflow 0
		.amdhsa_workgroup_processor_mode 1
		.amdhsa_memory_ordered 1
		.amdhsa_forward_progress 0
		.amdhsa_shared_vgpr_count 0
		.amdhsa_exception_fp_ieee_invalid_op 0
		.amdhsa_exception_fp_denorm_src 0
		.amdhsa_exception_fp_ieee_div_zero 0
		.amdhsa_exception_fp_ieee_overflow 0
		.amdhsa_exception_fp_ieee_underflow 0
		.amdhsa_exception_fp_ieee_inexact 0
		.amdhsa_exception_int_div_zero 0
	.end_amdhsa_kernel
	.section	.text._ZN7rocprim17ROCPRIM_400000_NS6detail17trampoline_kernelINS0_14default_configENS1_22reduce_config_selectorIlEEZNS1_11reduce_implILb1ES3_PlS7_lN6hipcub16HIPCUB_304000_NS6detail34convert_binary_result_type_wrapperINS9_3SumENS9_22TransformInputIteratorIb7NonZeroIsEPslEElEEEE10hipError_tPvRmT1_T2_T3_mT4_P12ihipStream_tbEUlT_E1_NS1_11comp_targetILNS1_3genE0ELNS1_11target_archE4294967295ELNS1_3gpuE0ELNS1_3repE0EEENS1_30default_config_static_selectorELNS0_4arch9wavefront6targetE0EEEvSM_,"axG",@progbits,_ZN7rocprim17ROCPRIM_400000_NS6detail17trampoline_kernelINS0_14default_configENS1_22reduce_config_selectorIlEEZNS1_11reduce_implILb1ES3_PlS7_lN6hipcub16HIPCUB_304000_NS6detail34convert_binary_result_type_wrapperINS9_3SumENS9_22TransformInputIteratorIb7NonZeroIsEPslEElEEEE10hipError_tPvRmT1_T2_T3_mT4_P12ihipStream_tbEUlT_E1_NS1_11comp_targetILNS1_3genE0ELNS1_11target_archE4294967295ELNS1_3gpuE0ELNS1_3repE0EEENS1_30default_config_static_selectorELNS0_4arch9wavefront6targetE0EEEvSM_,comdat
.Lfunc_end90:
	.size	_ZN7rocprim17ROCPRIM_400000_NS6detail17trampoline_kernelINS0_14default_configENS1_22reduce_config_selectorIlEEZNS1_11reduce_implILb1ES3_PlS7_lN6hipcub16HIPCUB_304000_NS6detail34convert_binary_result_type_wrapperINS9_3SumENS9_22TransformInputIteratorIb7NonZeroIsEPslEElEEEE10hipError_tPvRmT1_T2_T3_mT4_P12ihipStream_tbEUlT_E1_NS1_11comp_targetILNS1_3genE0ELNS1_11target_archE4294967295ELNS1_3gpuE0ELNS1_3repE0EEENS1_30default_config_static_selectorELNS0_4arch9wavefront6targetE0EEEvSM_, .Lfunc_end90-_ZN7rocprim17ROCPRIM_400000_NS6detail17trampoline_kernelINS0_14default_configENS1_22reduce_config_selectorIlEEZNS1_11reduce_implILb1ES3_PlS7_lN6hipcub16HIPCUB_304000_NS6detail34convert_binary_result_type_wrapperINS9_3SumENS9_22TransformInputIteratorIb7NonZeroIsEPslEElEEEE10hipError_tPvRmT1_T2_T3_mT4_P12ihipStream_tbEUlT_E1_NS1_11comp_targetILNS1_3genE0ELNS1_11target_archE4294967295ELNS1_3gpuE0ELNS1_3repE0EEENS1_30default_config_static_selectorELNS0_4arch9wavefront6targetE0EEEvSM_
                                        ; -- End function
	.section	.AMDGPU.csdata,"",@progbits
; Kernel info:
; codeLenInByte = 0
; NumSgprs: 0
; NumVgprs: 0
; ScratchSize: 0
; MemoryBound: 0
; FloatMode: 240
; IeeeMode: 1
; LDSByteSize: 0 bytes/workgroup (compile time only)
; SGPRBlocks: 0
; VGPRBlocks: 0
; NumSGPRsForWavesPerEU: 1
; NumVGPRsForWavesPerEU: 1
; Occupancy: 16
; WaveLimiterHint : 0
; COMPUTE_PGM_RSRC2:SCRATCH_EN: 0
; COMPUTE_PGM_RSRC2:USER_SGPR: 15
; COMPUTE_PGM_RSRC2:TRAP_HANDLER: 0
; COMPUTE_PGM_RSRC2:TGID_X_EN: 1
; COMPUTE_PGM_RSRC2:TGID_Y_EN: 0
; COMPUTE_PGM_RSRC2:TGID_Z_EN: 0
; COMPUTE_PGM_RSRC2:TIDIG_COMP_CNT: 0
	.section	.text._ZN7rocprim17ROCPRIM_400000_NS6detail17trampoline_kernelINS0_14default_configENS1_22reduce_config_selectorIlEEZNS1_11reduce_implILb1ES3_PlS7_lN6hipcub16HIPCUB_304000_NS6detail34convert_binary_result_type_wrapperINS9_3SumENS9_22TransformInputIteratorIb7NonZeroIsEPslEElEEEE10hipError_tPvRmT1_T2_T3_mT4_P12ihipStream_tbEUlT_E1_NS1_11comp_targetILNS1_3genE5ELNS1_11target_archE942ELNS1_3gpuE9ELNS1_3repE0EEENS1_30default_config_static_selectorELNS0_4arch9wavefront6targetE0EEEvSM_,"axG",@progbits,_ZN7rocprim17ROCPRIM_400000_NS6detail17trampoline_kernelINS0_14default_configENS1_22reduce_config_selectorIlEEZNS1_11reduce_implILb1ES3_PlS7_lN6hipcub16HIPCUB_304000_NS6detail34convert_binary_result_type_wrapperINS9_3SumENS9_22TransformInputIteratorIb7NonZeroIsEPslEElEEEE10hipError_tPvRmT1_T2_T3_mT4_P12ihipStream_tbEUlT_E1_NS1_11comp_targetILNS1_3genE5ELNS1_11target_archE942ELNS1_3gpuE9ELNS1_3repE0EEENS1_30default_config_static_selectorELNS0_4arch9wavefront6targetE0EEEvSM_,comdat
	.protected	_ZN7rocprim17ROCPRIM_400000_NS6detail17trampoline_kernelINS0_14default_configENS1_22reduce_config_selectorIlEEZNS1_11reduce_implILb1ES3_PlS7_lN6hipcub16HIPCUB_304000_NS6detail34convert_binary_result_type_wrapperINS9_3SumENS9_22TransformInputIteratorIb7NonZeroIsEPslEElEEEE10hipError_tPvRmT1_T2_T3_mT4_P12ihipStream_tbEUlT_E1_NS1_11comp_targetILNS1_3genE5ELNS1_11target_archE942ELNS1_3gpuE9ELNS1_3repE0EEENS1_30default_config_static_selectorELNS0_4arch9wavefront6targetE0EEEvSM_ ; -- Begin function _ZN7rocprim17ROCPRIM_400000_NS6detail17trampoline_kernelINS0_14default_configENS1_22reduce_config_selectorIlEEZNS1_11reduce_implILb1ES3_PlS7_lN6hipcub16HIPCUB_304000_NS6detail34convert_binary_result_type_wrapperINS9_3SumENS9_22TransformInputIteratorIb7NonZeroIsEPslEElEEEE10hipError_tPvRmT1_T2_T3_mT4_P12ihipStream_tbEUlT_E1_NS1_11comp_targetILNS1_3genE5ELNS1_11target_archE942ELNS1_3gpuE9ELNS1_3repE0EEENS1_30default_config_static_selectorELNS0_4arch9wavefront6targetE0EEEvSM_
	.globl	_ZN7rocprim17ROCPRIM_400000_NS6detail17trampoline_kernelINS0_14default_configENS1_22reduce_config_selectorIlEEZNS1_11reduce_implILb1ES3_PlS7_lN6hipcub16HIPCUB_304000_NS6detail34convert_binary_result_type_wrapperINS9_3SumENS9_22TransformInputIteratorIb7NonZeroIsEPslEElEEEE10hipError_tPvRmT1_T2_T3_mT4_P12ihipStream_tbEUlT_E1_NS1_11comp_targetILNS1_3genE5ELNS1_11target_archE942ELNS1_3gpuE9ELNS1_3repE0EEENS1_30default_config_static_selectorELNS0_4arch9wavefront6targetE0EEEvSM_
	.p2align	8
	.type	_ZN7rocprim17ROCPRIM_400000_NS6detail17trampoline_kernelINS0_14default_configENS1_22reduce_config_selectorIlEEZNS1_11reduce_implILb1ES3_PlS7_lN6hipcub16HIPCUB_304000_NS6detail34convert_binary_result_type_wrapperINS9_3SumENS9_22TransformInputIteratorIb7NonZeroIsEPslEElEEEE10hipError_tPvRmT1_T2_T3_mT4_P12ihipStream_tbEUlT_E1_NS1_11comp_targetILNS1_3genE5ELNS1_11target_archE942ELNS1_3gpuE9ELNS1_3repE0EEENS1_30default_config_static_selectorELNS0_4arch9wavefront6targetE0EEEvSM_,@function
_ZN7rocprim17ROCPRIM_400000_NS6detail17trampoline_kernelINS0_14default_configENS1_22reduce_config_selectorIlEEZNS1_11reduce_implILb1ES3_PlS7_lN6hipcub16HIPCUB_304000_NS6detail34convert_binary_result_type_wrapperINS9_3SumENS9_22TransformInputIteratorIb7NonZeroIsEPslEElEEEE10hipError_tPvRmT1_T2_T3_mT4_P12ihipStream_tbEUlT_E1_NS1_11comp_targetILNS1_3genE5ELNS1_11target_archE942ELNS1_3gpuE9ELNS1_3repE0EEENS1_30default_config_static_selectorELNS0_4arch9wavefront6targetE0EEEvSM_: ; @_ZN7rocprim17ROCPRIM_400000_NS6detail17trampoline_kernelINS0_14default_configENS1_22reduce_config_selectorIlEEZNS1_11reduce_implILb1ES3_PlS7_lN6hipcub16HIPCUB_304000_NS6detail34convert_binary_result_type_wrapperINS9_3SumENS9_22TransformInputIteratorIb7NonZeroIsEPslEElEEEE10hipError_tPvRmT1_T2_T3_mT4_P12ihipStream_tbEUlT_E1_NS1_11comp_targetILNS1_3genE5ELNS1_11target_archE942ELNS1_3gpuE9ELNS1_3repE0EEENS1_30default_config_static_selectorELNS0_4arch9wavefront6targetE0EEEvSM_
; %bb.0:
	.section	.rodata,"a",@progbits
	.p2align	6, 0x0
	.amdhsa_kernel _ZN7rocprim17ROCPRIM_400000_NS6detail17trampoline_kernelINS0_14default_configENS1_22reduce_config_selectorIlEEZNS1_11reduce_implILb1ES3_PlS7_lN6hipcub16HIPCUB_304000_NS6detail34convert_binary_result_type_wrapperINS9_3SumENS9_22TransformInputIteratorIb7NonZeroIsEPslEElEEEE10hipError_tPvRmT1_T2_T3_mT4_P12ihipStream_tbEUlT_E1_NS1_11comp_targetILNS1_3genE5ELNS1_11target_archE942ELNS1_3gpuE9ELNS1_3repE0EEENS1_30default_config_static_selectorELNS0_4arch9wavefront6targetE0EEEvSM_
		.amdhsa_group_segment_fixed_size 0
		.amdhsa_private_segment_fixed_size 0
		.amdhsa_kernarg_size 48
		.amdhsa_user_sgpr_count 15
		.amdhsa_user_sgpr_dispatch_ptr 0
		.amdhsa_user_sgpr_queue_ptr 0
		.amdhsa_user_sgpr_kernarg_segment_ptr 1
		.amdhsa_user_sgpr_dispatch_id 0
		.amdhsa_user_sgpr_private_segment_size 0
		.amdhsa_wavefront_size32 1
		.amdhsa_uses_dynamic_stack 0
		.amdhsa_enable_private_segment 0
		.amdhsa_system_sgpr_workgroup_id_x 1
		.amdhsa_system_sgpr_workgroup_id_y 0
		.amdhsa_system_sgpr_workgroup_id_z 0
		.amdhsa_system_sgpr_workgroup_info 0
		.amdhsa_system_vgpr_workitem_id 0
		.amdhsa_next_free_vgpr 1
		.amdhsa_next_free_sgpr 1
		.amdhsa_reserve_vcc 0
		.amdhsa_float_round_mode_32 0
		.amdhsa_float_round_mode_16_64 0
		.amdhsa_float_denorm_mode_32 3
		.amdhsa_float_denorm_mode_16_64 3
		.amdhsa_dx10_clamp 1
		.amdhsa_ieee_mode 1
		.amdhsa_fp16_overflow 0
		.amdhsa_workgroup_processor_mode 1
		.amdhsa_memory_ordered 1
		.amdhsa_forward_progress 0
		.amdhsa_shared_vgpr_count 0
		.amdhsa_exception_fp_ieee_invalid_op 0
		.amdhsa_exception_fp_denorm_src 0
		.amdhsa_exception_fp_ieee_div_zero 0
		.amdhsa_exception_fp_ieee_overflow 0
		.amdhsa_exception_fp_ieee_underflow 0
		.amdhsa_exception_fp_ieee_inexact 0
		.amdhsa_exception_int_div_zero 0
	.end_amdhsa_kernel
	.section	.text._ZN7rocprim17ROCPRIM_400000_NS6detail17trampoline_kernelINS0_14default_configENS1_22reduce_config_selectorIlEEZNS1_11reduce_implILb1ES3_PlS7_lN6hipcub16HIPCUB_304000_NS6detail34convert_binary_result_type_wrapperINS9_3SumENS9_22TransformInputIteratorIb7NonZeroIsEPslEElEEEE10hipError_tPvRmT1_T2_T3_mT4_P12ihipStream_tbEUlT_E1_NS1_11comp_targetILNS1_3genE5ELNS1_11target_archE942ELNS1_3gpuE9ELNS1_3repE0EEENS1_30default_config_static_selectorELNS0_4arch9wavefront6targetE0EEEvSM_,"axG",@progbits,_ZN7rocprim17ROCPRIM_400000_NS6detail17trampoline_kernelINS0_14default_configENS1_22reduce_config_selectorIlEEZNS1_11reduce_implILb1ES3_PlS7_lN6hipcub16HIPCUB_304000_NS6detail34convert_binary_result_type_wrapperINS9_3SumENS9_22TransformInputIteratorIb7NonZeroIsEPslEElEEEE10hipError_tPvRmT1_T2_T3_mT4_P12ihipStream_tbEUlT_E1_NS1_11comp_targetILNS1_3genE5ELNS1_11target_archE942ELNS1_3gpuE9ELNS1_3repE0EEENS1_30default_config_static_selectorELNS0_4arch9wavefront6targetE0EEEvSM_,comdat
.Lfunc_end91:
	.size	_ZN7rocprim17ROCPRIM_400000_NS6detail17trampoline_kernelINS0_14default_configENS1_22reduce_config_selectorIlEEZNS1_11reduce_implILb1ES3_PlS7_lN6hipcub16HIPCUB_304000_NS6detail34convert_binary_result_type_wrapperINS9_3SumENS9_22TransformInputIteratorIb7NonZeroIsEPslEElEEEE10hipError_tPvRmT1_T2_T3_mT4_P12ihipStream_tbEUlT_E1_NS1_11comp_targetILNS1_3genE5ELNS1_11target_archE942ELNS1_3gpuE9ELNS1_3repE0EEENS1_30default_config_static_selectorELNS0_4arch9wavefront6targetE0EEEvSM_, .Lfunc_end91-_ZN7rocprim17ROCPRIM_400000_NS6detail17trampoline_kernelINS0_14default_configENS1_22reduce_config_selectorIlEEZNS1_11reduce_implILb1ES3_PlS7_lN6hipcub16HIPCUB_304000_NS6detail34convert_binary_result_type_wrapperINS9_3SumENS9_22TransformInputIteratorIb7NonZeroIsEPslEElEEEE10hipError_tPvRmT1_T2_T3_mT4_P12ihipStream_tbEUlT_E1_NS1_11comp_targetILNS1_3genE5ELNS1_11target_archE942ELNS1_3gpuE9ELNS1_3repE0EEENS1_30default_config_static_selectorELNS0_4arch9wavefront6targetE0EEEvSM_
                                        ; -- End function
	.section	.AMDGPU.csdata,"",@progbits
; Kernel info:
; codeLenInByte = 0
; NumSgprs: 0
; NumVgprs: 0
; ScratchSize: 0
; MemoryBound: 0
; FloatMode: 240
; IeeeMode: 1
; LDSByteSize: 0 bytes/workgroup (compile time only)
; SGPRBlocks: 0
; VGPRBlocks: 0
; NumSGPRsForWavesPerEU: 1
; NumVGPRsForWavesPerEU: 1
; Occupancy: 16
; WaveLimiterHint : 0
; COMPUTE_PGM_RSRC2:SCRATCH_EN: 0
; COMPUTE_PGM_RSRC2:USER_SGPR: 15
; COMPUTE_PGM_RSRC2:TRAP_HANDLER: 0
; COMPUTE_PGM_RSRC2:TGID_X_EN: 1
; COMPUTE_PGM_RSRC2:TGID_Y_EN: 0
; COMPUTE_PGM_RSRC2:TGID_Z_EN: 0
; COMPUTE_PGM_RSRC2:TIDIG_COMP_CNT: 0
	.section	.text._ZN7rocprim17ROCPRIM_400000_NS6detail17trampoline_kernelINS0_14default_configENS1_22reduce_config_selectorIlEEZNS1_11reduce_implILb1ES3_PlS7_lN6hipcub16HIPCUB_304000_NS6detail34convert_binary_result_type_wrapperINS9_3SumENS9_22TransformInputIteratorIb7NonZeroIsEPslEElEEEE10hipError_tPvRmT1_T2_T3_mT4_P12ihipStream_tbEUlT_E1_NS1_11comp_targetILNS1_3genE4ELNS1_11target_archE910ELNS1_3gpuE8ELNS1_3repE0EEENS1_30default_config_static_selectorELNS0_4arch9wavefront6targetE0EEEvSM_,"axG",@progbits,_ZN7rocprim17ROCPRIM_400000_NS6detail17trampoline_kernelINS0_14default_configENS1_22reduce_config_selectorIlEEZNS1_11reduce_implILb1ES3_PlS7_lN6hipcub16HIPCUB_304000_NS6detail34convert_binary_result_type_wrapperINS9_3SumENS9_22TransformInputIteratorIb7NonZeroIsEPslEElEEEE10hipError_tPvRmT1_T2_T3_mT4_P12ihipStream_tbEUlT_E1_NS1_11comp_targetILNS1_3genE4ELNS1_11target_archE910ELNS1_3gpuE8ELNS1_3repE0EEENS1_30default_config_static_selectorELNS0_4arch9wavefront6targetE0EEEvSM_,comdat
	.protected	_ZN7rocprim17ROCPRIM_400000_NS6detail17trampoline_kernelINS0_14default_configENS1_22reduce_config_selectorIlEEZNS1_11reduce_implILb1ES3_PlS7_lN6hipcub16HIPCUB_304000_NS6detail34convert_binary_result_type_wrapperINS9_3SumENS9_22TransformInputIteratorIb7NonZeroIsEPslEElEEEE10hipError_tPvRmT1_T2_T3_mT4_P12ihipStream_tbEUlT_E1_NS1_11comp_targetILNS1_3genE4ELNS1_11target_archE910ELNS1_3gpuE8ELNS1_3repE0EEENS1_30default_config_static_selectorELNS0_4arch9wavefront6targetE0EEEvSM_ ; -- Begin function _ZN7rocprim17ROCPRIM_400000_NS6detail17trampoline_kernelINS0_14default_configENS1_22reduce_config_selectorIlEEZNS1_11reduce_implILb1ES3_PlS7_lN6hipcub16HIPCUB_304000_NS6detail34convert_binary_result_type_wrapperINS9_3SumENS9_22TransformInputIteratorIb7NonZeroIsEPslEElEEEE10hipError_tPvRmT1_T2_T3_mT4_P12ihipStream_tbEUlT_E1_NS1_11comp_targetILNS1_3genE4ELNS1_11target_archE910ELNS1_3gpuE8ELNS1_3repE0EEENS1_30default_config_static_selectorELNS0_4arch9wavefront6targetE0EEEvSM_
	.globl	_ZN7rocprim17ROCPRIM_400000_NS6detail17trampoline_kernelINS0_14default_configENS1_22reduce_config_selectorIlEEZNS1_11reduce_implILb1ES3_PlS7_lN6hipcub16HIPCUB_304000_NS6detail34convert_binary_result_type_wrapperINS9_3SumENS9_22TransformInputIteratorIb7NonZeroIsEPslEElEEEE10hipError_tPvRmT1_T2_T3_mT4_P12ihipStream_tbEUlT_E1_NS1_11comp_targetILNS1_3genE4ELNS1_11target_archE910ELNS1_3gpuE8ELNS1_3repE0EEENS1_30default_config_static_selectorELNS0_4arch9wavefront6targetE0EEEvSM_
	.p2align	8
	.type	_ZN7rocprim17ROCPRIM_400000_NS6detail17trampoline_kernelINS0_14default_configENS1_22reduce_config_selectorIlEEZNS1_11reduce_implILb1ES3_PlS7_lN6hipcub16HIPCUB_304000_NS6detail34convert_binary_result_type_wrapperINS9_3SumENS9_22TransformInputIteratorIb7NonZeroIsEPslEElEEEE10hipError_tPvRmT1_T2_T3_mT4_P12ihipStream_tbEUlT_E1_NS1_11comp_targetILNS1_3genE4ELNS1_11target_archE910ELNS1_3gpuE8ELNS1_3repE0EEENS1_30default_config_static_selectorELNS0_4arch9wavefront6targetE0EEEvSM_,@function
_ZN7rocprim17ROCPRIM_400000_NS6detail17trampoline_kernelINS0_14default_configENS1_22reduce_config_selectorIlEEZNS1_11reduce_implILb1ES3_PlS7_lN6hipcub16HIPCUB_304000_NS6detail34convert_binary_result_type_wrapperINS9_3SumENS9_22TransformInputIteratorIb7NonZeroIsEPslEElEEEE10hipError_tPvRmT1_T2_T3_mT4_P12ihipStream_tbEUlT_E1_NS1_11comp_targetILNS1_3genE4ELNS1_11target_archE910ELNS1_3gpuE8ELNS1_3repE0EEENS1_30default_config_static_selectorELNS0_4arch9wavefront6targetE0EEEvSM_: ; @_ZN7rocprim17ROCPRIM_400000_NS6detail17trampoline_kernelINS0_14default_configENS1_22reduce_config_selectorIlEEZNS1_11reduce_implILb1ES3_PlS7_lN6hipcub16HIPCUB_304000_NS6detail34convert_binary_result_type_wrapperINS9_3SumENS9_22TransformInputIteratorIb7NonZeroIsEPslEElEEEE10hipError_tPvRmT1_T2_T3_mT4_P12ihipStream_tbEUlT_E1_NS1_11comp_targetILNS1_3genE4ELNS1_11target_archE910ELNS1_3gpuE8ELNS1_3repE0EEENS1_30default_config_static_selectorELNS0_4arch9wavefront6targetE0EEEvSM_
; %bb.0:
	.section	.rodata,"a",@progbits
	.p2align	6, 0x0
	.amdhsa_kernel _ZN7rocprim17ROCPRIM_400000_NS6detail17trampoline_kernelINS0_14default_configENS1_22reduce_config_selectorIlEEZNS1_11reduce_implILb1ES3_PlS7_lN6hipcub16HIPCUB_304000_NS6detail34convert_binary_result_type_wrapperINS9_3SumENS9_22TransformInputIteratorIb7NonZeroIsEPslEElEEEE10hipError_tPvRmT1_T2_T3_mT4_P12ihipStream_tbEUlT_E1_NS1_11comp_targetILNS1_3genE4ELNS1_11target_archE910ELNS1_3gpuE8ELNS1_3repE0EEENS1_30default_config_static_selectorELNS0_4arch9wavefront6targetE0EEEvSM_
		.amdhsa_group_segment_fixed_size 0
		.amdhsa_private_segment_fixed_size 0
		.amdhsa_kernarg_size 48
		.amdhsa_user_sgpr_count 15
		.amdhsa_user_sgpr_dispatch_ptr 0
		.amdhsa_user_sgpr_queue_ptr 0
		.amdhsa_user_sgpr_kernarg_segment_ptr 1
		.amdhsa_user_sgpr_dispatch_id 0
		.amdhsa_user_sgpr_private_segment_size 0
		.amdhsa_wavefront_size32 1
		.amdhsa_uses_dynamic_stack 0
		.amdhsa_enable_private_segment 0
		.amdhsa_system_sgpr_workgroup_id_x 1
		.amdhsa_system_sgpr_workgroup_id_y 0
		.amdhsa_system_sgpr_workgroup_id_z 0
		.amdhsa_system_sgpr_workgroup_info 0
		.amdhsa_system_vgpr_workitem_id 0
		.amdhsa_next_free_vgpr 1
		.amdhsa_next_free_sgpr 1
		.amdhsa_reserve_vcc 0
		.amdhsa_float_round_mode_32 0
		.amdhsa_float_round_mode_16_64 0
		.amdhsa_float_denorm_mode_32 3
		.amdhsa_float_denorm_mode_16_64 3
		.amdhsa_dx10_clamp 1
		.amdhsa_ieee_mode 1
		.amdhsa_fp16_overflow 0
		.amdhsa_workgroup_processor_mode 1
		.amdhsa_memory_ordered 1
		.amdhsa_forward_progress 0
		.amdhsa_shared_vgpr_count 0
		.amdhsa_exception_fp_ieee_invalid_op 0
		.amdhsa_exception_fp_denorm_src 0
		.amdhsa_exception_fp_ieee_div_zero 0
		.amdhsa_exception_fp_ieee_overflow 0
		.amdhsa_exception_fp_ieee_underflow 0
		.amdhsa_exception_fp_ieee_inexact 0
		.amdhsa_exception_int_div_zero 0
	.end_amdhsa_kernel
	.section	.text._ZN7rocprim17ROCPRIM_400000_NS6detail17trampoline_kernelINS0_14default_configENS1_22reduce_config_selectorIlEEZNS1_11reduce_implILb1ES3_PlS7_lN6hipcub16HIPCUB_304000_NS6detail34convert_binary_result_type_wrapperINS9_3SumENS9_22TransformInputIteratorIb7NonZeroIsEPslEElEEEE10hipError_tPvRmT1_T2_T3_mT4_P12ihipStream_tbEUlT_E1_NS1_11comp_targetILNS1_3genE4ELNS1_11target_archE910ELNS1_3gpuE8ELNS1_3repE0EEENS1_30default_config_static_selectorELNS0_4arch9wavefront6targetE0EEEvSM_,"axG",@progbits,_ZN7rocprim17ROCPRIM_400000_NS6detail17trampoline_kernelINS0_14default_configENS1_22reduce_config_selectorIlEEZNS1_11reduce_implILb1ES3_PlS7_lN6hipcub16HIPCUB_304000_NS6detail34convert_binary_result_type_wrapperINS9_3SumENS9_22TransformInputIteratorIb7NonZeroIsEPslEElEEEE10hipError_tPvRmT1_T2_T3_mT4_P12ihipStream_tbEUlT_E1_NS1_11comp_targetILNS1_3genE4ELNS1_11target_archE910ELNS1_3gpuE8ELNS1_3repE0EEENS1_30default_config_static_selectorELNS0_4arch9wavefront6targetE0EEEvSM_,comdat
.Lfunc_end92:
	.size	_ZN7rocprim17ROCPRIM_400000_NS6detail17trampoline_kernelINS0_14default_configENS1_22reduce_config_selectorIlEEZNS1_11reduce_implILb1ES3_PlS7_lN6hipcub16HIPCUB_304000_NS6detail34convert_binary_result_type_wrapperINS9_3SumENS9_22TransformInputIteratorIb7NonZeroIsEPslEElEEEE10hipError_tPvRmT1_T2_T3_mT4_P12ihipStream_tbEUlT_E1_NS1_11comp_targetILNS1_3genE4ELNS1_11target_archE910ELNS1_3gpuE8ELNS1_3repE0EEENS1_30default_config_static_selectorELNS0_4arch9wavefront6targetE0EEEvSM_, .Lfunc_end92-_ZN7rocprim17ROCPRIM_400000_NS6detail17trampoline_kernelINS0_14default_configENS1_22reduce_config_selectorIlEEZNS1_11reduce_implILb1ES3_PlS7_lN6hipcub16HIPCUB_304000_NS6detail34convert_binary_result_type_wrapperINS9_3SumENS9_22TransformInputIteratorIb7NonZeroIsEPslEElEEEE10hipError_tPvRmT1_T2_T3_mT4_P12ihipStream_tbEUlT_E1_NS1_11comp_targetILNS1_3genE4ELNS1_11target_archE910ELNS1_3gpuE8ELNS1_3repE0EEENS1_30default_config_static_selectorELNS0_4arch9wavefront6targetE0EEEvSM_
                                        ; -- End function
	.section	.AMDGPU.csdata,"",@progbits
; Kernel info:
; codeLenInByte = 0
; NumSgprs: 0
; NumVgprs: 0
; ScratchSize: 0
; MemoryBound: 0
; FloatMode: 240
; IeeeMode: 1
; LDSByteSize: 0 bytes/workgroup (compile time only)
; SGPRBlocks: 0
; VGPRBlocks: 0
; NumSGPRsForWavesPerEU: 1
; NumVGPRsForWavesPerEU: 1
; Occupancy: 16
; WaveLimiterHint : 0
; COMPUTE_PGM_RSRC2:SCRATCH_EN: 0
; COMPUTE_PGM_RSRC2:USER_SGPR: 15
; COMPUTE_PGM_RSRC2:TRAP_HANDLER: 0
; COMPUTE_PGM_RSRC2:TGID_X_EN: 1
; COMPUTE_PGM_RSRC2:TGID_Y_EN: 0
; COMPUTE_PGM_RSRC2:TGID_Z_EN: 0
; COMPUTE_PGM_RSRC2:TIDIG_COMP_CNT: 0
	.section	.text._ZN7rocprim17ROCPRIM_400000_NS6detail17trampoline_kernelINS0_14default_configENS1_22reduce_config_selectorIlEEZNS1_11reduce_implILb1ES3_PlS7_lN6hipcub16HIPCUB_304000_NS6detail34convert_binary_result_type_wrapperINS9_3SumENS9_22TransformInputIteratorIb7NonZeroIsEPslEElEEEE10hipError_tPvRmT1_T2_T3_mT4_P12ihipStream_tbEUlT_E1_NS1_11comp_targetILNS1_3genE3ELNS1_11target_archE908ELNS1_3gpuE7ELNS1_3repE0EEENS1_30default_config_static_selectorELNS0_4arch9wavefront6targetE0EEEvSM_,"axG",@progbits,_ZN7rocprim17ROCPRIM_400000_NS6detail17trampoline_kernelINS0_14default_configENS1_22reduce_config_selectorIlEEZNS1_11reduce_implILb1ES3_PlS7_lN6hipcub16HIPCUB_304000_NS6detail34convert_binary_result_type_wrapperINS9_3SumENS9_22TransformInputIteratorIb7NonZeroIsEPslEElEEEE10hipError_tPvRmT1_T2_T3_mT4_P12ihipStream_tbEUlT_E1_NS1_11comp_targetILNS1_3genE3ELNS1_11target_archE908ELNS1_3gpuE7ELNS1_3repE0EEENS1_30default_config_static_selectorELNS0_4arch9wavefront6targetE0EEEvSM_,comdat
	.protected	_ZN7rocprim17ROCPRIM_400000_NS6detail17trampoline_kernelINS0_14default_configENS1_22reduce_config_selectorIlEEZNS1_11reduce_implILb1ES3_PlS7_lN6hipcub16HIPCUB_304000_NS6detail34convert_binary_result_type_wrapperINS9_3SumENS9_22TransformInputIteratorIb7NonZeroIsEPslEElEEEE10hipError_tPvRmT1_T2_T3_mT4_P12ihipStream_tbEUlT_E1_NS1_11comp_targetILNS1_3genE3ELNS1_11target_archE908ELNS1_3gpuE7ELNS1_3repE0EEENS1_30default_config_static_selectorELNS0_4arch9wavefront6targetE0EEEvSM_ ; -- Begin function _ZN7rocprim17ROCPRIM_400000_NS6detail17trampoline_kernelINS0_14default_configENS1_22reduce_config_selectorIlEEZNS1_11reduce_implILb1ES3_PlS7_lN6hipcub16HIPCUB_304000_NS6detail34convert_binary_result_type_wrapperINS9_3SumENS9_22TransformInputIteratorIb7NonZeroIsEPslEElEEEE10hipError_tPvRmT1_T2_T3_mT4_P12ihipStream_tbEUlT_E1_NS1_11comp_targetILNS1_3genE3ELNS1_11target_archE908ELNS1_3gpuE7ELNS1_3repE0EEENS1_30default_config_static_selectorELNS0_4arch9wavefront6targetE0EEEvSM_
	.globl	_ZN7rocprim17ROCPRIM_400000_NS6detail17trampoline_kernelINS0_14default_configENS1_22reduce_config_selectorIlEEZNS1_11reduce_implILb1ES3_PlS7_lN6hipcub16HIPCUB_304000_NS6detail34convert_binary_result_type_wrapperINS9_3SumENS9_22TransformInputIteratorIb7NonZeroIsEPslEElEEEE10hipError_tPvRmT1_T2_T3_mT4_P12ihipStream_tbEUlT_E1_NS1_11comp_targetILNS1_3genE3ELNS1_11target_archE908ELNS1_3gpuE7ELNS1_3repE0EEENS1_30default_config_static_selectorELNS0_4arch9wavefront6targetE0EEEvSM_
	.p2align	8
	.type	_ZN7rocprim17ROCPRIM_400000_NS6detail17trampoline_kernelINS0_14default_configENS1_22reduce_config_selectorIlEEZNS1_11reduce_implILb1ES3_PlS7_lN6hipcub16HIPCUB_304000_NS6detail34convert_binary_result_type_wrapperINS9_3SumENS9_22TransformInputIteratorIb7NonZeroIsEPslEElEEEE10hipError_tPvRmT1_T2_T3_mT4_P12ihipStream_tbEUlT_E1_NS1_11comp_targetILNS1_3genE3ELNS1_11target_archE908ELNS1_3gpuE7ELNS1_3repE0EEENS1_30default_config_static_selectorELNS0_4arch9wavefront6targetE0EEEvSM_,@function
_ZN7rocprim17ROCPRIM_400000_NS6detail17trampoline_kernelINS0_14default_configENS1_22reduce_config_selectorIlEEZNS1_11reduce_implILb1ES3_PlS7_lN6hipcub16HIPCUB_304000_NS6detail34convert_binary_result_type_wrapperINS9_3SumENS9_22TransformInputIteratorIb7NonZeroIsEPslEElEEEE10hipError_tPvRmT1_T2_T3_mT4_P12ihipStream_tbEUlT_E1_NS1_11comp_targetILNS1_3genE3ELNS1_11target_archE908ELNS1_3gpuE7ELNS1_3repE0EEENS1_30default_config_static_selectorELNS0_4arch9wavefront6targetE0EEEvSM_: ; @_ZN7rocprim17ROCPRIM_400000_NS6detail17trampoline_kernelINS0_14default_configENS1_22reduce_config_selectorIlEEZNS1_11reduce_implILb1ES3_PlS7_lN6hipcub16HIPCUB_304000_NS6detail34convert_binary_result_type_wrapperINS9_3SumENS9_22TransformInputIteratorIb7NonZeroIsEPslEElEEEE10hipError_tPvRmT1_T2_T3_mT4_P12ihipStream_tbEUlT_E1_NS1_11comp_targetILNS1_3genE3ELNS1_11target_archE908ELNS1_3gpuE7ELNS1_3repE0EEENS1_30default_config_static_selectorELNS0_4arch9wavefront6targetE0EEEvSM_
; %bb.0:
	.section	.rodata,"a",@progbits
	.p2align	6, 0x0
	.amdhsa_kernel _ZN7rocprim17ROCPRIM_400000_NS6detail17trampoline_kernelINS0_14default_configENS1_22reduce_config_selectorIlEEZNS1_11reduce_implILb1ES3_PlS7_lN6hipcub16HIPCUB_304000_NS6detail34convert_binary_result_type_wrapperINS9_3SumENS9_22TransformInputIteratorIb7NonZeroIsEPslEElEEEE10hipError_tPvRmT1_T2_T3_mT4_P12ihipStream_tbEUlT_E1_NS1_11comp_targetILNS1_3genE3ELNS1_11target_archE908ELNS1_3gpuE7ELNS1_3repE0EEENS1_30default_config_static_selectorELNS0_4arch9wavefront6targetE0EEEvSM_
		.amdhsa_group_segment_fixed_size 0
		.amdhsa_private_segment_fixed_size 0
		.amdhsa_kernarg_size 48
		.amdhsa_user_sgpr_count 15
		.amdhsa_user_sgpr_dispatch_ptr 0
		.amdhsa_user_sgpr_queue_ptr 0
		.amdhsa_user_sgpr_kernarg_segment_ptr 1
		.amdhsa_user_sgpr_dispatch_id 0
		.amdhsa_user_sgpr_private_segment_size 0
		.amdhsa_wavefront_size32 1
		.amdhsa_uses_dynamic_stack 0
		.amdhsa_enable_private_segment 0
		.amdhsa_system_sgpr_workgroup_id_x 1
		.amdhsa_system_sgpr_workgroup_id_y 0
		.amdhsa_system_sgpr_workgroup_id_z 0
		.amdhsa_system_sgpr_workgroup_info 0
		.amdhsa_system_vgpr_workitem_id 0
		.amdhsa_next_free_vgpr 1
		.amdhsa_next_free_sgpr 1
		.amdhsa_reserve_vcc 0
		.amdhsa_float_round_mode_32 0
		.amdhsa_float_round_mode_16_64 0
		.amdhsa_float_denorm_mode_32 3
		.amdhsa_float_denorm_mode_16_64 3
		.amdhsa_dx10_clamp 1
		.amdhsa_ieee_mode 1
		.amdhsa_fp16_overflow 0
		.amdhsa_workgroup_processor_mode 1
		.amdhsa_memory_ordered 1
		.amdhsa_forward_progress 0
		.amdhsa_shared_vgpr_count 0
		.amdhsa_exception_fp_ieee_invalid_op 0
		.amdhsa_exception_fp_denorm_src 0
		.amdhsa_exception_fp_ieee_div_zero 0
		.amdhsa_exception_fp_ieee_overflow 0
		.amdhsa_exception_fp_ieee_underflow 0
		.amdhsa_exception_fp_ieee_inexact 0
		.amdhsa_exception_int_div_zero 0
	.end_amdhsa_kernel
	.section	.text._ZN7rocprim17ROCPRIM_400000_NS6detail17trampoline_kernelINS0_14default_configENS1_22reduce_config_selectorIlEEZNS1_11reduce_implILb1ES3_PlS7_lN6hipcub16HIPCUB_304000_NS6detail34convert_binary_result_type_wrapperINS9_3SumENS9_22TransformInputIteratorIb7NonZeroIsEPslEElEEEE10hipError_tPvRmT1_T2_T3_mT4_P12ihipStream_tbEUlT_E1_NS1_11comp_targetILNS1_3genE3ELNS1_11target_archE908ELNS1_3gpuE7ELNS1_3repE0EEENS1_30default_config_static_selectorELNS0_4arch9wavefront6targetE0EEEvSM_,"axG",@progbits,_ZN7rocprim17ROCPRIM_400000_NS6detail17trampoline_kernelINS0_14default_configENS1_22reduce_config_selectorIlEEZNS1_11reduce_implILb1ES3_PlS7_lN6hipcub16HIPCUB_304000_NS6detail34convert_binary_result_type_wrapperINS9_3SumENS9_22TransformInputIteratorIb7NonZeroIsEPslEElEEEE10hipError_tPvRmT1_T2_T3_mT4_P12ihipStream_tbEUlT_E1_NS1_11comp_targetILNS1_3genE3ELNS1_11target_archE908ELNS1_3gpuE7ELNS1_3repE0EEENS1_30default_config_static_selectorELNS0_4arch9wavefront6targetE0EEEvSM_,comdat
.Lfunc_end93:
	.size	_ZN7rocprim17ROCPRIM_400000_NS6detail17trampoline_kernelINS0_14default_configENS1_22reduce_config_selectorIlEEZNS1_11reduce_implILb1ES3_PlS7_lN6hipcub16HIPCUB_304000_NS6detail34convert_binary_result_type_wrapperINS9_3SumENS9_22TransformInputIteratorIb7NonZeroIsEPslEElEEEE10hipError_tPvRmT1_T2_T3_mT4_P12ihipStream_tbEUlT_E1_NS1_11comp_targetILNS1_3genE3ELNS1_11target_archE908ELNS1_3gpuE7ELNS1_3repE0EEENS1_30default_config_static_selectorELNS0_4arch9wavefront6targetE0EEEvSM_, .Lfunc_end93-_ZN7rocprim17ROCPRIM_400000_NS6detail17trampoline_kernelINS0_14default_configENS1_22reduce_config_selectorIlEEZNS1_11reduce_implILb1ES3_PlS7_lN6hipcub16HIPCUB_304000_NS6detail34convert_binary_result_type_wrapperINS9_3SumENS9_22TransformInputIteratorIb7NonZeroIsEPslEElEEEE10hipError_tPvRmT1_T2_T3_mT4_P12ihipStream_tbEUlT_E1_NS1_11comp_targetILNS1_3genE3ELNS1_11target_archE908ELNS1_3gpuE7ELNS1_3repE0EEENS1_30default_config_static_selectorELNS0_4arch9wavefront6targetE0EEEvSM_
                                        ; -- End function
	.section	.AMDGPU.csdata,"",@progbits
; Kernel info:
; codeLenInByte = 0
; NumSgprs: 0
; NumVgprs: 0
; ScratchSize: 0
; MemoryBound: 0
; FloatMode: 240
; IeeeMode: 1
; LDSByteSize: 0 bytes/workgroup (compile time only)
; SGPRBlocks: 0
; VGPRBlocks: 0
; NumSGPRsForWavesPerEU: 1
; NumVGPRsForWavesPerEU: 1
; Occupancy: 16
; WaveLimiterHint : 0
; COMPUTE_PGM_RSRC2:SCRATCH_EN: 0
; COMPUTE_PGM_RSRC2:USER_SGPR: 15
; COMPUTE_PGM_RSRC2:TRAP_HANDLER: 0
; COMPUTE_PGM_RSRC2:TGID_X_EN: 1
; COMPUTE_PGM_RSRC2:TGID_Y_EN: 0
; COMPUTE_PGM_RSRC2:TGID_Z_EN: 0
; COMPUTE_PGM_RSRC2:TIDIG_COMP_CNT: 0
	.section	.text._ZN7rocprim17ROCPRIM_400000_NS6detail17trampoline_kernelINS0_14default_configENS1_22reduce_config_selectorIlEEZNS1_11reduce_implILb1ES3_PlS7_lN6hipcub16HIPCUB_304000_NS6detail34convert_binary_result_type_wrapperINS9_3SumENS9_22TransformInputIteratorIb7NonZeroIsEPslEElEEEE10hipError_tPvRmT1_T2_T3_mT4_P12ihipStream_tbEUlT_E1_NS1_11comp_targetILNS1_3genE2ELNS1_11target_archE906ELNS1_3gpuE6ELNS1_3repE0EEENS1_30default_config_static_selectorELNS0_4arch9wavefront6targetE0EEEvSM_,"axG",@progbits,_ZN7rocprim17ROCPRIM_400000_NS6detail17trampoline_kernelINS0_14default_configENS1_22reduce_config_selectorIlEEZNS1_11reduce_implILb1ES3_PlS7_lN6hipcub16HIPCUB_304000_NS6detail34convert_binary_result_type_wrapperINS9_3SumENS9_22TransformInputIteratorIb7NonZeroIsEPslEElEEEE10hipError_tPvRmT1_T2_T3_mT4_P12ihipStream_tbEUlT_E1_NS1_11comp_targetILNS1_3genE2ELNS1_11target_archE906ELNS1_3gpuE6ELNS1_3repE0EEENS1_30default_config_static_selectorELNS0_4arch9wavefront6targetE0EEEvSM_,comdat
	.protected	_ZN7rocprim17ROCPRIM_400000_NS6detail17trampoline_kernelINS0_14default_configENS1_22reduce_config_selectorIlEEZNS1_11reduce_implILb1ES3_PlS7_lN6hipcub16HIPCUB_304000_NS6detail34convert_binary_result_type_wrapperINS9_3SumENS9_22TransformInputIteratorIb7NonZeroIsEPslEElEEEE10hipError_tPvRmT1_T2_T3_mT4_P12ihipStream_tbEUlT_E1_NS1_11comp_targetILNS1_3genE2ELNS1_11target_archE906ELNS1_3gpuE6ELNS1_3repE0EEENS1_30default_config_static_selectorELNS0_4arch9wavefront6targetE0EEEvSM_ ; -- Begin function _ZN7rocprim17ROCPRIM_400000_NS6detail17trampoline_kernelINS0_14default_configENS1_22reduce_config_selectorIlEEZNS1_11reduce_implILb1ES3_PlS7_lN6hipcub16HIPCUB_304000_NS6detail34convert_binary_result_type_wrapperINS9_3SumENS9_22TransformInputIteratorIb7NonZeroIsEPslEElEEEE10hipError_tPvRmT1_T2_T3_mT4_P12ihipStream_tbEUlT_E1_NS1_11comp_targetILNS1_3genE2ELNS1_11target_archE906ELNS1_3gpuE6ELNS1_3repE0EEENS1_30default_config_static_selectorELNS0_4arch9wavefront6targetE0EEEvSM_
	.globl	_ZN7rocprim17ROCPRIM_400000_NS6detail17trampoline_kernelINS0_14default_configENS1_22reduce_config_selectorIlEEZNS1_11reduce_implILb1ES3_PlS7_lN6hipcub16HIPCUB_304000_NS6detail34convert_binary_result_type_wrapperINS9_3SumENS9_22TransformInputIteratorIb7NonZeroIsEPslEElEEEE10hipError_tPvRmT1_T2_T3_mT4_P12ihipStream_tbEUlT_E1_NS1_11comp_targetILNS1_3genE2ELNS1_11target_archE906ELNS1_3gpuE6ELNS1_3repE0EEENS1_30default_config_static_selectorELNS0_4arch9wavefront6targetE0EEEvSM_
	.p2align	8
	.type	_ZN7rocprim17ROCPRIM_400000_NS6detail17trampoline_kernelINS0_14default_configENS1_22reduce_config_selectorIlEEZNS1_11reduce_implILb1ES3_PlS7_lN6hipcub16HIPCUB_304000_NS6detail34convert_binary_result_type_wrapperINS9_3SumENS9_22TransformInputIteratorIb7NonZeroIsEPslEElEEEE10hipError_tPvRmT1_T2_T3_mT4_P12ihipStream_tbEUlT_E1_NS1_11comp_targetILNS1_3genE2ELNS1_11target_archE906ELNS1_3gpuE6ELNS1_3repE0EEENS1_30default_config_static_selectorELNS0_4arch9wavefront6targetE0EEEvSM_,@function
_ZN7rocprim17ROCPRIM_400000_NS6detail17trampoline_kernelINS0_14default_configENS1_22reduce_config_selectorIlEEZNS1_11reduce_implILb1ES3_PlS7_lN6hipcub16HIPCUB_304000_NS6detail34convert_binary_result_type_wrapperINS9_3SumENS9_22TransformInputIteratorIb7NonZeroIsEPslEElEEEE10hipError_tPvRmT1_T2_T3_mT4_P12ihipStream_tbEUlT_E1_NS1_11comp_targetILNS1_3genE2ELNS1_11target_archE906ELNS1_3gpuE6ELNS1_3repE0EEENS1_30default_config_static_selectorELNS0_4arch9wavefront6targetE0EEEvSM_: ; @_ZN7rocprim17ROCPRIM_400000_NS6detail17trampoline_kernelINS0_14default_configENS1_22reduce_config_selectorIlEEZNS1_11reduce_implILb1ES3_PlS7_lN6hipcub16HIPCUB_304000_NS6detail34convert_binary_result_type_wrapperINS9_3SumENS9_22TransformInputIteratorIb7NonZeroIsEPslEElEEEE10hipError_tPvRmT1_T2_T3_mT4_P12ihipStream_tbEUlT_E1_NS1_11comp_targetILNS1_3genE2ELNS1_11target_archE906ELNS1_3gpuE6ELNS1_3repE0EEENS1_30default_config_static_selectorELNS0_4arch9wavefront6targetE0EEEvSM_
; %bb.0:
	.section	.rodata,"a",@progbits
	.p2align	6, 0x0
	.amdhsa_kernel _ZN7rocprim17ROCPRIM_400000_NS6detail17trampoline_kernelINS0_14default_configENS1_22reduce_config_selectorIlEEZNS1_11reduce_implILb1ES3_PlS7_lN6hipcub16HIPCUB_304000_NS6detail34convert_binary_result_type_wrapperINS9_3SumENS9_22TransformInputIteratorIb7NonZeroIsEPslEElEEEE10hipError_tPvRmT1_T2_T3_mT4_P12ihipStream_tbEUlT_E1_NS1_11comp_targetILNS1_3genE2ELNS1_11target_archE906ELNS1_3gpuE6ELNS1_3repE0EEENS1_30default_config_static_selectorELNS0_4arch9wavefront6targetE0EEEvSM_
		.amdhsa_group_segment_fixed_size 0
		.amdhsa_private_segment_fixed_size 0
		.amdhsa_kernarg_size 48
		.amdhsa_user_sgpr_count 15
		.amdhsa_user_sgpr_dispatch_ptr 0
		.amdhsa_user_sgpr_queue_ptr 0
		.amdhsa_user_sgpr_kernarg_segment_ptr 1
		.amdhsa_user_sgpr_dispatch_id 0
		.amdhsa_user_sgpr_private_segment_size 0
		.amdhsa_wavefront_size32 1
		.amdhsa_uses_dynamic_stack 0
		.amdhsa_enable_private_segment 0
		.amdhsa_system_sgpr_workgroup_id_x 1
		.amdhsa_system_sgpr_workgroup_id_y 0
		.amdhsa_system_sgpr_workgroup_id_z 0
		.amdhsa_system_sgpr_workgroup_info 0
		.amdhsa_system_vgpr_workitem_id 0
		.amdhsa_next_free_vgpr 1
		.amdhsa_next_free_sgpr 1
		.amdhsa_reserve_vcc 0
		.amdhsa_float_round_mode_32 0
		.amdhsa_float_round_mode_16_64 0
		.amdhsa_float_denorm_mode_32 3
		.amdhsa_float_denorm_mode_16_64 3
		.amdhsa_dx10_clamp 1
		.amdhsa_ieee_mode 1
		.amdhsa_fp16_overflow 0
		.amdhsa_workgroup_processor_mode 1
		.amdhsa_memory_ordered 1
		.amdhsa_forward_progress 0
		.amdhsa_shared_vgpr_count 0
		.amdhsa_exception_fp_ieee_invalid_op 0
		.amdhsa_exception_fp_denorm_src 0
		.amdhsa_exception_fp_ieee_div_zero 0
		.amdhsa_exception_fp_ieee_overflow 0
		.amdhsa_exception_fp_ieee_underflow 0
		.amdhsa_exception_fp_ieee_inexact 0
		.amdhsa_exception_int_div_zero 0
	.end_amdhsa_kernel
	.section	.text._ZN7rocprim17ROCPRIM_400000_NS6detail17trampoline_kernelINS0_14default_configENS1_22reduce_config_selectorIlEEZNS1_11reduce_implILb1ES3_PlS7_lN6hipcub16HIPCUB_304000_NS6detail34convert_binary_result_type_wrapperINS9_3SumENS9_22TransformInputIteratorIb7NonZeroIsEPslEElEEEE10hipError_tPvRmT1_T2_T3_mT4_P12ihipStream_tbEUlT_E1_NS1_11comp_targetILNS1_3genE2ELNS1_11target_archE906ELNS1_3gpuE6ELNS1_3repE0EEENS1_30default_config_static_selectorELNS0_4arch9wavefront6targetE0EEEvSM_,"axG",@progbits,_ZN7rocprim17ROCPRIM_400000_NS6detail17trampoline_kernelINS0_14default_configENS1_22reduce_config_selectorIlEEZNS1_11reduce_implILb1ES3_PlS7_lN6hipcub16HIPCUB_304000_NS6detail34convert_binary_result_type_wrapperINS9_3SumENS9_22TransformInputIteratorIb7NonZeroIsEPslEElEEEE10hipError_tPvRmT1_T2_T3_mT4_P12ihipStream_tbEUlT_E1_NS1_11comp_targetILNS1_3genE2ELNS1_11target_archE906ELNS1_3gpuE6ELNS1_3repE0EEENS1_30default_config_static_selectorELNS0_4arch9wavefront6targetE0EEEvSM_,comdat
.Lfunc_end94:
	.size	_ZN7rocprim17ROCPRIM_400000_NS6detail17trampoline_kernelINS0_14default_configENS1_22reduce_config_selectorIlEEZNS1_11reduce_implILb1ES3_PlS7_lN6hipcub16HIPCUB_304000_NS6detail34convert_binary_result_type_wrapperINS9_3SumENS9_22TransformInputIteratorIb7NonZeroIsEPslEElEEEE10hipError_tPvRmT1_T2_T3_mT4_P12ihipStream_tbEUlT_E1_NS1_11comp_targetILNS1_3genE2ELNS1_11target_archE906ELNS1_3gpuE6ELNS1_3repE0EEENS1_30default_config_static_selectorELNS0_4arch9wavefront6targetE0EEEvSM_, .Lfunc_end94-_ZN7rocprim17ROCPRIM_400000_NS6detail17trampoline_kernelINS0_14default_configENS1_22reduce_config_selectorIlEEZNS1_11reduce_implILb1ES3_PlS7_lN6hipcub16HIPCUB_304000_NS6detail34convert_binary_result_type_wrapperINS9_3SumENS9_22TransformInputIteratorIb7NonZeroIsEPslEElEEEE10hipError_tPvRmT1_T2_T3_mT4_P12ihipStream_tbEUlT_E1_NS1_11comp_targetILNS1_3genE2ELNS1_11target_archE906ELNS1_3gpuE6ELNS1_3repE0EEENS1_30default_config_static_selectorELNS0_4arch9wavefront6targetE0EEEvSM_
                                        ; -- End function
	.section	.AMDGPU.csdata,"",@progbits
; Kernel info:
; codeLenInByte = 0
; NumSgprs: 0
; NumVgprs: 0
; ScratchSize: 0
; MemoryBound: 0
; FloatMode: 240
; IeeeMode: 1
; LDSByteSize: 0 bytes/workgroup (compile time only)
; SGPRBlocks: 0
; VGPRBlocks: 0
; NumSGPRsForWavesPerEU: 1
; NumVGPRsForWavesPerEU: 1
; Occupancy: 16
; WaveLimiterHint : 0
; COMPUTE_PGM_RSRC2:SCRATCH_EN: 0
; COMPUTE_PGM_RSRC2:USER_SGPR: 15
; COMPUTE_PGM_RSRC2:TRAP_HANDLER: 0
; COMPUTE_PGM_RSRC2:TGID_X_EN: 1
; COMPUTE_PGM_RSRC2:TGID_Y_EN: 0
; COMPUTE_PGM_RSRC2:TGID_Z_EN: 0
; COMPUTE_PGM_RSRC2:TIDIG_COMP_CNT: 0
	.section	.text._ZN7rocprim17ROCPRIM_400000_NS6detail17trampoline_kernelINS0_14default_configENS1_22reduce_config_selectorIlEEZNS1_11reduce_implILb1ES3_PlS7_lN6hipcub16HIPCUB_304000_NS6detail34convert_binary_result_type_wrapperINS9_3SumENS9_22TransformInputIteratorIb7NonZeroIsEPslEElEEEE10hipError_tPvRmT1_T2_T3_mT4_P12ihipStream_tbEUlT_E1_NS1_11comp_targetILNS1_3genE10ELNS1_11target_archE1201ELNS1_3gpuE5ELNS1_3repE0EEENS1_30default_config_static_selectorELNS0_4arch9wavefront6targetE0EEEvSM_,"axG",@progbits,_ZN7rocprim17ROCPRIM_400000_NS6detail17trampoline_kernelINS0_14default_configENS1_22reduce_config_selectorIlEEZNS1_11reduce_implILb1ES3_PlS7_lN6hipcub16HIPCUB_304000_NS6detail34convert_binary_result_type_wrapperINS9_3SumENS9_22TransformInputIteratorIb7NonZeroIsEPslEElEEEE10hipError_tPvRmT1_T2_T3_mT4_P12ihipStream_tbEUlT_E1_NS1_11comp_targetILNS1_3genE10ELNS1_11target_archE1201ELNS1_3gpuE5ELNS1_3repE0EEENS1_30default_config_static_selectorELNS0_4arch9wavefront6targetE0EEEvSM_,comdat
	.protected	_ZN7rocprim17ROCPRIM_400000_NS6detail17trampoline_kernelINS0_14default_configENS1_22reduce_config_selectorIlEEZNS1_11reduce_implILb1ES3_PlS7_lN6hipcub16HIPCUB_304000_NS6detail34convert_binary_result_type_wrapperINS9_3SumENS9_22TransformInputIteratorIb7NonZeroIsEPslEElEEEE10hipError_tPvRmT1_T2_T3_mT4_P12ihipStream_tbEUlT_E1_NS1_11comp_targetILNS1_3genE10ELNS1_11target_archE1201ELNS1_3gpuE5ELNS1_3repE0EEENS1_30default_config_static_selectorELNS0_4arch9wavefront6targetE0EEEvSM_ ; -- Begin function _ZN7rocprim17ROCPRIM_400000_NS6detail17trampoline_kernelINS0_14default_configENS1_22reduce_config_selectorIlEEZNS1_11reduce_implILb1ES3_PlS7_lN6hipcub16HIPCUB_304000_NS6detail34convert_binary_result_type_wrapperINS9_3SumENS9_22TransformInputIteratorIb7NonZeroIsEPslEElEEEE10hipError_tPvRmT1_T2_T3_mT4_P12ihipStream_tbEUlT_E1_NS1_11comp_targetILNS1_3genE10ELNS1_11target_archE1201ELNS1_3gpuE5ELNS1_3repE0EEENS1_30default_config_static_selectorELNS0_4arch9wavefront6targetE0EEEvSM_
	.globl	_ZN7rocprim17ROCPRIM_400000_NS6detail17trampoline_kernelINS0_14default_configENS1_22reduce_config_selectorIlEEZNS1_11reduce_implILb1ES3_PlS7_lN6hipcub16HIPCUB_304000_NS6detail34convert_binary_result_type_wrapperINS9_3SumENS9_22TransformInputIteratorIb7NonZeroIsEPslEElEEEE10hipError_tPvRmT1_T2_T3_mT4_P12ihipStream_tbEUlT_E1_NS1_11comp_targetILNS1_3genE10ELNS1_11target_archE1201ELNS1_3gpuE5ELNS1_3repE0EEENS1_30default_config_static_selectorELNS0_4arch9wavefront6targetE0EEEvSM_
	.p2align	8
	.type	_ZN7rocprim17ROCPRIM_400000_NS6detail17trampoline_kernelINS0_14default_configENS1_22reduce_config_selectorIlEEZNS1_11reduce_implILb1ES3_PlS7_lN6hipcub16HIPCUB_304000_NS6detail34convert_binary_result_type_wrapperINS9_3SumENS9_22TransformInputIteratorIb7NonZeroIsEPslEElEEEE10hipError_tPvRmT1_T2_T3_mT4_P12ihipStream_tbEUlT_E1_NS1_11comp_targetILNS1_3genE10ELNS1_11target_archE1201ELNS1_3gpuE5ELNS1_3repE0EEENS1_30default_config_static_selectorELNS0_4arch9wavefront6targetE0EEEvSM_,@function
_ZN7rocprim17ROCPRIM_400000_NS6detail17trampoline_kernelINS0_14default_configENS1_22reduce_config_selectorIlEEZNS1_11reduce_implILb1ES3_PlS7_lN6hipcub16HIPCUB_304000_NS6detail34convert_binary_result_type_wrapperINS9_3SumENS9_22TransformInputIteratorIb7NonZeroIsEPslEElEEEE10hipError_tPvRmT1_T2_T3_mT4_P12ihipStream_tbEUlT_E1_NS1_11comp_targetILNS1_3genE10ELNS1_11target_archE1201ELNS1_3gpuE5ELNS1_3repE0EEENS1_30default_config_static_selectorELNS0_4arch9wavefront6targetE0EEEvSM_: ; @_ZN7rocprim17ROCPRIM_400000_NS6detail17trampoline_kernelINS0_14default_configENS1_22reduce_config_selectorIlEEZNS1_11reduce_implILb1ES3_PlS7_lN6hipcub16HIPCUB_304000_NS6detail34convert_binary_result_type_wrapperINS9_3SumENS9_22TransformInputIteratorIb7NonZeroIsEPslEElEEEE10hipError_tPvRmT1_T2_T3_mT4_P12ihipStream_tbEUlT_E1_NS1_11comp_targetILNS1_3genE10ELNS1_11target_archE1201ELNS1_3gpuE5ELNS1_3repE0EEENS1_30default_config_static_selectorELNS0_4arch9wavefront6targetE0EEEvSM_
; %bb.0:
	.section	.rodata,"a",@progbits
	.p2align	6, 0x0
	.amdhsa_kernel _ZN7rocprim17ROCPRIM_400000_NS6detail17trampoline_kernelINS0_14default_configENS1_22reduce_config_selectorIlEEZNS1_11reduce_implILb1ES3_PlS7_lN6hipcub16HIPCUB_304000_NS6detail34convert_binary_result_type_wrapperINS9_3SumENS9_22TransformInputIteratorIb7NonZeroIsEPslEElEEEE10hipError_tPvRmT1_T2_T3_mT4_P12ihipStream_tbEUlT_E1_NS1_11comp_targetILNS1_3genE10ELNS1_11target_archE1201ELNS1_3gpuE5ELNS1_3repE0EEENS1_30default_config_static_selectorELNS0_4arch9wavefront6targetE0EEEvSM_
		.amdhsa_group_segment_fixed_size 0
		.amdhsa_private_segment_fixed_size 0
		.amdhsa_kernarg_size 48
		.amdhsa_user_sgpr_count 15
		.amdhsa_user_sgpr_dispatch_ptr 0
		.amdhsa_user_sgpr_queue_ptr 0
		.amdhsa_user_sgpr_kernarg_segment_ptr 1
		.amdhsa_user_sgpr_dispatch_id 0
		.amdhsa_user_sgpr_private_segment_size 0
		.amdhsa_wavefront_size32 1
		.amdhsa_uses_dynamic_stack 0
		.amdhsa_enable_private_segment 0
		.amdhsa_system_sgpr_workgroup_id_x 1
		.amdhsa_system_sgpr_workgroup_id_y 0
		.amdhsa_system_sgpr_workgroup_id_z 0
		.amdhsa_system_sgpr_workgroup_info 0
		.amdhsa_system_vgpr_workitem_id 0
		.amdhsa_next_free_vgpr 1
		.amdhsa_next_free_sgpr 1
		.amdhsa_reserve_vcc 0
		.amdhsa_float_round_mode_32 0
		.amdhsa_float_round_mode_16_64 0
		.amdhsa_float_denorm_mode_32 3
		.amdhsa_float_denorm_mode_16_64 3
		.amdhsa_dx10_clamp 1
		.amdhsa_ieee_mode 1
		.amdhsa_fp16_overflow 0
		.amdhsa_workgroup_processor_mode 1
		.amdhsa_memory_ordered 1
		.amdhsa_forward_progress 0
		.amdhsa_shared_vgpr_count 0
		.amdhsa_exception_fp_ieee_invalid_op 0
		.amdhsa_exception_fp_denorm_src 0
		.amdhsa_exception_fp_ieee_div_zero 0
		.amdhsa_exception_fp_ieee_overflow 0
		.amdhsa_exception_fp_ieee_underflow 0
		.amdhsa_exception_fp_ieee_inexact 0
		.amdhsa_exception_int_div_zero 0
	.end_amdhsa_kernel
	.section	.text._ZN7rocprim17ROCPRIM_400000_NS6detail17trampoline_kernelINS0_14default_configENS1_22reduce_config_selectorIlEEZNS1_11reduce_implILb1ES3_PlS7_lN6hipcub16HIPCUB_304000_NS6detail34convert_binary_result_type_wrapperINS9_3SumENS9_22TransformInputIteratorIb7NonZeroIsEPslEElEEEE10hipError_tPvRmT1_T2_T3_mT4_P12ihipStream_tbEUlT_E1_NS1_11comp_targetILNS1_3genE10ELNS1_11target_archE1201ELNS1_3gpuE5ELNS1_3repE0EEENS1_30default_config_static_selectorELNS0_4arch9wavefront6targetE0EEEvSM_,"axG",@progbits,_ZN7rocprim17ROCPRIM_400000_NS6detail17trampoline_kernelINS0_14default_configENS1_22reduce_config_selectorIlEEZNS1_11reduce_implILb1ES3_PlS7_lN6hipcub16HIPCUB_304000_NS6detail34convert_binary_result_type_wrapperINS9_3SumENS9_22TransformInputIteratorIb7NonZeroIsEPslEElEEEE10hipError_tPvRmT1_T2_T3_mT4_P12ihipStream_tbEUlT_E1_NS1_11comp_targetILNS1_3genE10ELNS1_11target_archE1201ELNS1_3gpuE5ELNS1_3repE0EEENS1_30default_config_static_selectorELNS0_4arch9wavefront6targetE0EEEvSM_,comdat
.Lfunc_end95:
	.size	_ZN7rocprim17ROCPRIM_400000_NS6detail17trampoline_kernelINS0_14default_configENS1_22reduce_config_selectorIlEEZNS1_11reduce_implILb1ES3_PlS7_lN6hipcub16HIPCUB_304000_NS6detail34convert_binary_result_type_wrapperINS9_3SumENS9_22TransformInputIteratorIb7NonZeroIsEPslEElEEEE10hipError_tPvRmT1_T2_T3_mT4_P12ihipStream_tbEUlT_E1_NS1_11comp_targetILNS1_3genE10ELNS1_11target_archE1201ELNS1_3gpuE5ELNS1_3repE0EEENS1_30default_config_static_selectorELNS0_4arch9wavefront6targetE0EEEvSM_, .Lfunc_end95-_ZN7rocprim17ROCPRIM_400000_NS6detail17trampoline_kernelINS0_14default_configENS1_22reduce_config_selectorIlEEZNS1_11reduce_implILb1ES3_PlS7_lN6hipcub16HIPCUB_304000_NS6detail34convert_binary_result_type_wrapperINS9_3SumENS9_22TransformInputIteratorIb7NonZeroIsEPslEElEEEE10hipError_tPvRmT1_T2_T3_mT4_P12ihipStream_tbEUlT_E1_NS1_11comp_targetILNS1_3genE10ELNS1_11target_archE1201ELNS1_3gpuE5ELNS1_3repE0EEENS1_30default_config_static_selectorELNS0_4arch9wavefront6targetE0EEEvSM_
                                        ; -- End function
	.section	.AMDGPU.csdata,"",@progbits
; Kernel info:
; codeLenInByte = 0
; NumSgprs: 0
; NumVgprs: 0
; ScratchSize: 0
; MemoryBound: 0
; FloatMode: 240
; IeeeMode: 1
; LDSByteSize: 0 bytes/workgroup (compile time only)
; SGPRBlocks: 0
; VGPRBlocks: 0
; NumSGPRsForWavesPerEU: 1
; NumVGPRsForWavesPerEU: 1
; Occupancy: 16
; WaveLimiterHint : 0
; COMPUTE_PGM_RSRC2:SCRATCH_EN: 0
; COMPUTE_PGM_RSRC2:USER_SGPR: 15
; COMPUTE_PGM_RSRC2:TRAP_HANDLER: 0
; COMPUTE_PGM_RSRC2:TGID_X_EN: 1
; COMPUTE_PGM_RSRC2:TGID_Y_EN: 0
; COMPUTE_PGM_RSRC2:TGID_Z_EN: 0
; COMPUTE_PGM_RSRC2:TIDIG_COMP_CNT: 0
	.section	.text._ZN7rocprim17ROCPRIM_400000_NS6detail17trampoline_kernelINS0_14default_configENS1_22reduce_config_selectorIlEEZNS1_11reduce_implILb1ES3_PlS7_lN6hipcub16HIPCUB_304000_NS6detail34convert_binary_result_type_wrapperINS9_3SumENS9_22TransformInputIteratorIb7NonZeroIsEPslEElEEEE10hipError_tPvRmT1_T2_T3_mT4_P12ihipStream_tbEUlT_E1_NS1_11comp_targetILNS1_3genE10ELNS1_11target_archE1200ELNS1_3gpuE4ELNS1_3repE0EEENS1_30default_config_static_selectorELNS0_4arch9wavefront6targetE0EEEvSM_,"axG",@progbits,_ZN7rocprim17ROCPRIM_400000_NS6detail17trampoline_kernelINS0_14default_configENS1_22reduce_config_selectorIlEEZNS1_11reduce_implILb1ES3_PlS7_lN6hipcub16HIPCUB_304000_NS6detail34convert_binary_result_type_wrapperINS9_3SumENS9_22TransformInputIteratorIb7NonZeroIsEPslEElEEEE10hipError_tPvRmT1_T2_T3_mT4_P12ihipStream_tbEUlT_E1_NS1_11comp_targetILNS1_3genE10ELNS1_11target_archE1200ELNS1_3gpuE4ELNS1_3repE0EEENS1_30default_config_static_selectorELNS0_4arch9wavefront6targetE0EEEvSM_,comdat
	.protected	_ZN7rocprim17ROCPRIM_400000_NS6detail17trampoline_kernelINS0_14default_configENS1_22reduce_config_selectorIlEEZNS1_11reduce_implILb1ES3_PlS7_lN6hipcub16HIPCUB_304000_NS6detail34convert_binary_result_type_wrapperINS9_3SumENS9_22TransformInputIteratorIb7NonZeroIsEPslEElEEEE10hipError_tPvRmT1_T2_T3_mT4_P12ihipStream_tbEUlT_E1_NS1_11comp_targetILNS1_3genE10ELNS1_11target_archE1200ELNS1_3gpuE4ELNS1_3repE0EEENS1_30default_config_static_selectorELNS0_4arch9wavefront6targetE0EEEvSM_ ; -- Begin function _ZN7rocprim17ROCPRIM_400000_NS6detail17trampoline_kernelINS0_14default_configENS1_22reduce_config_selectorIlEEZNS1_11reduce_implILb1ES3_PlS7_lN6hipcub16HIPCUB_304000_NS6detail34convert_binary_result_type_wrapperINS9_3SumENS9_22TransformInputIteratorIb7NonZeroIsEPslEElEEEE10hipError_tPvRmT1_T2_T3_mT4_P12ihipStream_tbEUlT_E1_NS1_11comp_targetILNS1_3genE10ELNS1_11target_archE1200ELNS1_3gpuE4ELNS1_3repE0EEENS1_30default_config_static_selectorELNS0_4arch9wavefront6targetE0EEEvSM_
	.globl	_ZN7rocprim17ROCPRIM_400000_NS6detail17trampoline_kernelINS0_14default_configENS1_22reduce_config_selectorIlEEZNS1_11reduce_implILb1ES3_PlS7_lN6hipcub16HIPCUB_304000_NS6detail34convert_binary_result_type_wrapperINS9_3SumENS9_22TransformInputIteratorIb7NonZeroIsEPslEElEEEE10hipError_tPvRmT1_T2_T3_mT4_P12ihipStream_tbEUlT_E1_NS1_11comp_targetILNS1_3genE10ELNS1_11target_archE1200ELNS1_3gpuE4ELNS1_3repE0EEENS1_30default_config_static_selectorELNS0_4arch9wavefront6targetE0EEEvSM_
	.p2align	8
	.type	_ZN7rocprim17ROCPRIM_400000_NS6detail17trampoline_kernelINS0_14default_configENS1_22reduce_config_selectorIlEEZNS1_11reduce_implILb1ES3_PlS7_lN6hipcub16HIPCUB_304000_NS6detail34convert_binary_result_type_wrapperINS9_3SumENS9_22TransformInputIteratorIb7NonZeroIsEPslEElEEEE10hipError_tPvRmT1_T2_T3_mT4_P12ihipStream_tbEUlT_E1_NS1_11comp_targetILNS1_3genE10ELNS1_11target_archE1200ELNS1_3gpuE4ELNS1_3repE0EEENS1_30default_config_static_selectorELNS0_4arch9wavefront6targetE0EEEvSM_,@function
_ZN7rocprim17ROCPRIM_400000_NS6detail17trampoline_kernelINS0_14default_configENS1_22reduce_config_selectorIlEEZNS1_11reduce_implILb1ES3_PlS7_lN6hipcub16HIPCUB_304000_NS6detail34convert_binary_result_type_wrapperINS9_3SumENS9_22TransformInputIteratorIb7NonZeroIsEPslEElEEEE10hipError_tPvRmT1_T2_T3_mT4_P12ihipStream_tbEUlT_E1_NS1_11comp_targetILNS1_3genE10ELNS1_11target_archE1200ELNS1_3gpuE4ELNS1_3repE0EEENS1_30default_config_static_selectorELNS0_4arch9wavefront6targetE0EEEvSM_: ; @_ZN7rocprim17ROCPRIM_400000_NS6detail17trampoline_kernelINS0_14default_configENS1_22reduce_config_selectorIlEEZNS1_11reduce_implILb1ES3_PlS7_lN6hipcub16HIPCUB_304000_NS6detail34convert_binary_result_type_wrapperINS9_3SumENS9_22TransformInputIteratorIb7NonZeroIsEPslEElEEEE10hipError_tPvRmT1_T2_T3_mT4_P12ihipStream_tbEUlT_E1_NS1_11comp_targetILNS1_3genE10ELNS1_11target_archE1200ELNS1_3gpuE4ELNS1_3repE0EEENS1_30default_config_static_selectorELNS0_4arch9wavefront6targetE0EEEvSM_
; %bb.0:
	.section	.rodata,"a",@progbits
	.p2align	6, 0x0
	.amdhsa_kernel _ZN7rocprim17ROCPRIM_400000_NS6detail17trampoline_kernelINS0_14default_configENS1_22reduce_config_selectorIlEEZNS1_11reduce_implILb1ES3_PlS7_lN6hipcub16HIPCUB_304000_NS6detail34convert_binary_result_type_wrapperINS9_3SumENS9_22TransformInputIteratorIb7NonZeroIsEPslEElEEEE10hipError_tPvRmT1_T2_T3_mT4_P12ihipStream_tbEUlT_E1_NS1_11comp_targetILNS1_3genE10ELNS1_11target_archE1200ELNS1_3gpuE4ELNS1_3repE0EEENS1_30default_config_static_selectorELNS0_4arch9wavefront6targetE0EEEvSM_
		.amdhsa_group_segment_fixed_size 0
		.amdhsa_private_segment_fixed_size 0
		.amdhsa_kernarg_size 48
		.amdhsa_user_sgpr_count 15
		.amdhsa_user_sgpr_dispatch_ptr 0
		.amdhsa_user_sgpr_queue_ptr 0
		.amdhsa_user_sgpr_kernarg_segment_ptr 1
		.amdhsa_user_sgpr_dispatch_id 0
		.amdhsa_user_sgpr_private_segment_size 0
		.amdhsa_wavefront_size32 1
		.amdhsa_uses_dynamic_stack 0
		.amdhsa_enable_private_segment 0
		.amdhsa_system_sgpr_workgroup_id_x 1
		.amdhsa_system_sgpr_workgroup_id_y 0
		.amdhsa_system_sgpr_workgroup_id_z 0
		.amdhsa_system_sgpr_workgroup_info 0
		.amdhsa_system_vgpr_workitem_id 0
		.amdhsa_next_free_vgpr 1
		.amdhsa_next_free_sgpr 1
		.amdhsa_reserve_vcc 0
		.amdhsa_float_round_mode_32 0
		.amdhsa_float_round_mode_16_64 0
		.amdhsa_float_denorm_mode_32 3
		.amdhsa_float_denorm_mode_16_64 3
		.amdhsa_dx10_clamp 1
		.amdhsa_ieee_mode 1
		.amdhsa_fp16_overflow 0
		.amdhsa_workgroup_processor_mode 1
		.amdhsa_memory_ordered 1
		.amdhsa_forward_progress 0
		.amdhsa_shared_vgpr_count 0
		.amdhsa_exception_fp_ieee_invalid_op 0
		.amdhsa_exception_fp_denorm_src 0
		.amdhsa_exception_fp_ieee_div_zero 0
		.amdhsa_exception_fp_ieee_overflow 0
		.amdhsa_exception_fp_ieee_underflow 0
		.amdhsa_exception_fp_ieee_inexact 0
		.amdhsa_exception_int_div_zero 0
	.end_amdhsa_kernel
	.section	.text._ZN7rocprim17ROCPRIM_400000_NS6detail17trampoline_kernelINS0_14default_configENS1_22reduce_config_selectorIlEEZNS1_11reduce_implILb1ES3_PlS7_lN6hipcub16HIPCUB_304000_NS6detail34convert_binary_result_type_wrapperINS9_3SumENS9_22TransformInputIteratorIb7NonZeroIsEPslEElEEEE10hipError_tPvRmT1_T2_T3_mT4_P12ihipStream_tbEUlT_E1_NS1_11comp_targetILNS1_3genE10ELNS1_11target_archE1200ELNS1_3gpuE4ELNS1_3repE0EEENS1_30default_config_static_selectorELNS0_4arch9wavefront6targetE0EEEvSM_,"axG",@progbits,_ZN7rocprim17ROCPRIM_400000_NS6detail17trampoline_kernelINS0_14default_configENS1_22reduce_config_selectorIlEEZNS1_11reduce_implILb1ES3_PlS7_lN6hipcub16HIPCUB_304000_NS6detail34convert_binary_result_type_wrapperINS9_3SumENS9_22TransformInputIteratorIb7NonZeroIsEPslEElEEEE10hipError_tPvRmT1_T2_T3_mT4_P12ihipStream_tbEUlT_E1_NS1_11comp_targetILNS1_3genE10ELNS1_11target_archE1200ELNS1_3gpuE4ELNS1_3repE0EEENS1_30default_config_static_selectorELNS0_4arch9wavefront6targetE0EEEvSM_,comdat
.Lfunc_end96:
	.size	_ZN7rocprim17ROCPRIM_400000_NS6detail17trampoline_kernelINS0_14default_configENS1_22reduce_config_selectorIlEEZNS1_11reduce_implILb1ES3_PlS7_lN6hipcub16HIPCUB_304000_NS6detail34convert_binary_result_type_wrapperINS9_3SumENS9_22TransformInputIteratorIb7NonZeroIsEPslEElEEEE10hipError_tPvRmT1_T2_T3_mT4_P12ihipStream_tbEUlT_E1_NS1_11comp_targetILNS1_3genE10ELNS1_11target_archE1200ELNS1_3gpuE4ELNS1_3repE0EEENS1_30default_config_static_selectorELNS0_4arch9wavefront6targetE0EEEvSM_, .Lfunc_end96-_ZN7rocprim17ROCPRIM_400000_NS6detail17trampoline_kernelINS0_14default_configENS1_22reduce_config_selectorIlEEZNS1_11reduce_implILb1ES3_PlS7_lN6hipcub16HIPCUB_304000_NS6detail34convert_binary_result_type_wrapperINS9_3SumENS9_22TransformInputIteratorIb7NonZeroIsEPslEElEEEE10hipError_tPvRmT1_T2_T3_mT4_P12ihipStream_tbEUlT_E1_NS1_11comp_targetILNS1_3genE10ELNS1_11target_archE1200ELNS1_3gpuE4ELNS1_3repE0EEENS1_30default_config_static_selectorELNS0_4arch9wavefront6targetE0EEEvSM_
                                        ; -- End function
	.section	.AMDGPU.csdata,"",@progbits
; Kernel info:
; codeLenInByte = 0
; NumSgprs: 0
; NumVgprs: 0
; ScratchSize: 0
; MemoryBound: 0
; FloatMode: 240
; IeeeMode: 1
; LDSByteSize: 0 bytes/workgroup (compile time only)
; SGPRBlocks: 0
; VGPRBlocks: 0
; NumSGPRsForWavesPerEU: 1
; NumVGPRsForWavesPerEU: 1
; Occupancy: 16
; WaveLimiterHint : 0
; COMPUTE_PGM_RSRC2:SCRATCH_EN: 0
; COMPUTE_PGM_RSRC2:USER_SGPR: 15
; COMPUTE_PGM_RSRC2:TRAP_HANDLER: 0
; COMPUTE_PGM_RSRC2:TGID_X_EN: 1
; COMPUTE_PGM_RSRC2:TGID_Y_EN: 0
; COMPUTE_PGM_RSRC2:TGID_Z_EN: 0
; COMPUTE_PGM_RSRC2:TIDIG_COMP_CNT: 0
	.section	.text._ZN7rocprim17ROCPRIM_400000_NS6detail17trampoline_kernelINS0_14default_configENS1_22reduce_config_selectorIlEEZNS1_11reduce_implILb1ES3_PlS7_lN6hipcub16HIPCUB_304000_NS6detail34convert_binary_result_type_wrapperINS9_3SumENS9_22TransformInputIteratorIb7NonZeroIsEPslEElEEEE10hipError_tPvRmT1_T2_T3_mT4_P12ihipStream_tbEUlT_E1_NS1_11comp_targetILNS1_3genE9ELNS1_11target_archE1100ELNS1_3gpuE3ELNS1_3repE0EEENS1_30default_config_static_selectorELNS0_4arch9wavefront6targetE0EEEvSM_,"axG",@progbits,_ZN7rocprim17ROCPRIM_400000_NS6detail17trampoline_kernelINS0_14default_configENS1_22reduce_config_selectorIlEEZNS1_11reduce_implILb1ES3_PlS7_lN6hipcub16HIPCUB_304000_NS6detail34convert_binary_result_type_wrapperINS9_3SumENS9_22TransformInputIteratorIb7NonZeroIsEPslEElEEEE10hipError_tPvRmT1_T2_T3_mT4_P12ihipStream_tbEUlT_E1_NS1_11comp_targetILNS1_3genE9ELNS1_11target_archE1100ELNS1_3gpuE3ELNS1_3repE0EEENS1_30default_config_static_selectorELNS0_4arch9wavefront6targetE0EEEvSM_,comdat
	.protected	_ZN7rocprim17ROCPRIM_400000_NS6detail17trampoline_kernelINS0_14default_configENS1_22reduce_config_selectorIlEEZNS1_11reduce_implILb1ES3_PlS7_lN6hipcub16HIPCUB_304000_NS6detail34convert_binary_result_type_wrapperINS9_3SumENS9_22TransformInputIteratorIb7NonZeroIsEPslEElEEEE10hipError_tPvRmT1_T2_T3_mT4_P12ihipStream_tbEUlT_E1_NS1_11comp_targetILNS1_3genE9ELNS1_11target_archE1100ELNS1_3gpuE3ELNS1_3repE0EEENS1_30default_config_static_selectorELNS0_4arch9wavefront6targetE0EEEvSM_ ; -- Begin function _ZN7rocprim17ROCPRIM_400000_NS6detail17trampoline_kernelINS0_14default_configENS1_22reduce_config_selectorIlEEZNS1_11reduce_implILb1ES3_PlS7_lN6hipcub16HIPCUB_304000_NS6detail34convert_binary_result_type_wrapperINS9_3SumENS9_22TransformInputIteratorIb7NonZeroIsEPslEElEEEE10hipError_tPvRmT1_T2_T3_mT4_P12ihipStream_tbEUlT_E1_NS1_11comp_targetILNS1_3genE9ELNS1_11target_archE1100ELNS1_3gpuE3ELNS1_3repE0EEENS1_30default_config_static_selectorELNS0_4arch9wavefront6targetE0EEEvSM_
	.globl	_ZN7rocprim17ROCPRIM_400000_NS6detail17trampoline_kernelINS0_14default_configENS1_22reduce_config_selectorIlEEZNS1_11reduce_implILb1ES3_PlS7_lN6hipcub16HIPCUB_304000_NS6detail34convert_binary_result_type_wrapperINS9_3SumENS9_22TransformInputIteratorIb7NonZeroIsEPslEElEEEE10hipError_tPvRmT1_T2_T3_mT4_P12ihipStream_tbEUlT_E1_NS1_11comp_targetILNS1_3genE9ELNS1_11target_archE1100ELNS1_3gpuE3ELNS1_3repE0EEENS1_30default_config_static_selectorELNS0_4arch9wavefront6targetE0EEEvSM_
	.p2align	8
	.type	_ZN7rocprim17ROCPRIM_400000_NS6detail17trampoline_kernelINS0_14default_configENS1_22reduce_config_selectorIlEEZNS1_11reduce_implILb1ES3_PlS7_lN6hipcub16HIPCUB_304000_NS6detail34convert_binary_result_type_wrapperINS9_3SumENS9_22TransformInputIteratorIb7NonZeroIsEPslEElEEEE10hipError_tPvRmT1_T2_T3_mT4_P12ihipStream_tbEUlT_E1_NS1_11comp_targetILNS1_3genE9ELNS1_11target_archE1100ELNS1_3gpuE3ELNS1_3repE0EEENS1_30default_config_static_selectorELNS0_4arch9wavefront6targetE0EEEvSM_,@function
_ZN7rocprim17ROCPRIM_400000_NS6detail17trampoline_kernelINS0_14default_configENS1_22reduce_config_selectorIlEEZNS1_11reduce_implILb1ES3_PlS7_lN6hipcub16HIPCUB_304000_NS6detail34convert_binary_result_type_wrapperINS9_3SumENS9_22TransformInputIteratorIb7NonZeroIsEPslEElEEEE10hipError_tPvRmT1_T2_T3_mT4_P12ihipStream_tbEUlT_E1_NS1_11comp_targetILNS1_3genE9ELNS1_11target_archE1100ELNS1_3gpuE3ELNS1_3repE0EEENS1_30default_config_static_selectorELNS0_4arch9wavefront6targetE0EEEvSM_: ; @_ZN7rocprim17ROCPRIM_400000_NS6detail17trampoline_kernelINS0_14default_configENS1_22reduce_config_selectorIlEEZNS1_11reduce_implILb1ES3_PlS7_lN6hipcub16HIPCUB_304000_NS6detail34convert_binary_result_type_wrapperINS9_3SumENS9_22TransformInputIteratorIb7NonZeroIsEPslEElEEEE10hipError_tPvRmT1_T2_T3_mT4_P12ihipStream_tbEUlT_E1_NS1_11comp_targetILNS1_3genE9ELNS1_11target_archE1100ELNS1_3gpuE3ELNS1_3repE0EEENS1_30default_config_static_selectorELNS0_4arch9wavefront6targetE0EEEvSM_
; %bb.0:
	s_clause 0x1
	s_load_b32 s26, s[0:1], 0x4
	s_load_b256 s[16:23], s[0:1], 0x8
	s_mov_b32 s14, s15
	s_waitcnt lgkmcnt(0)
	s_cmp_lt_i32 s26, 4
	s_cbranch_scc1 .LBB97_11
; %bb.1:
	s_cmp_gt_i32 s26, 7
	s_cbranch_scc0 .LBB97_12
; %bb.2:
	s_cmp_gt_i32 s26, 15
	s_cbranch_scc0 .LBB97_13
; %bb.3:
	s_mov_b32 s27, 0
	s_cmp_eq_u32 s26, 16
	s_mov_b32 s0, 0
                                        ; implicit-def: $vgpr1_vgpr2
	s_cbranch_scc0 .LBB97_14
; %bb.4:
	s_mov_b32 s15, 0
	s_lshl_b32 s0, s14, 12
	s_mov_b32 s1, s15
	s_lshr_b64 s[4:5], s[18:19], 12
	s_lshl_b64 s[2:3], s[0:1], 3
	s_delay_alu instid0(SALU_CYCLE_1)
	s_add_u32 s24, s16, s2
	s_addc_u32 s25, s17, s3
	s_cmp_lg_u64 s[4:5], s[14:15]
	s_cbranch_scc0 .LBB97_22
; %bb.5:
	v_lshlrev_b32_e32 v3, 3, v0
	s_delay_alu instid0(VALU_DEP_1) | instskip(NEXT) | instid1(VALU_DEP_1)
	v_add_co_u32 v29, s1, s24, v3
	v_add_co_ci_u32_e64 v30, null, s25, 0, s1
	s_clause 0x1
	global_load_b64 v[1:2], v3, s[24:25]
	global_load_b64 v[3:4], v3, s[24:25] offset:2048
	v_add_co_u32 v5, vcc_lo, v29, 0x2000
	v_add_co_ci_u32_e32 v6, vcc_lo, 0, v30, vcc_lo
	v_add_co_u32 v7, vcc_lo, 0x1000, v29
	v_add_co_ci_u32_e32 v8, vcc_lo, 0, v30, vcc_lo
	v_add_co_u32 v11, vcc_lo, 0x2000, v29
	s_clause 0x1
	global_load_b64 v[9:10], v[5:6], off offset:-4096
	global_load_b64 v[7:8], v[7:8], off offset:2048
	v_add_co_ci_u32_e32 v12, vcc_lo, 0, v30, vcc_lo
	global_load_b64 v[5:6], v[5:6], off
	v_add_co_u32 v13, vcc_lo, v29, 0x4000
	global_load_b64 v[11:12], v[11:12], off offset:2048
	v_add_co_ci_u32_e32 v14, vcc_lo, 0, v30, vcc_lo
	v_add_co_u32 v15, vcc_lo, 0x3000, v29
	v_add_co_ci_u32_e32 v16, vcc_lo, 0, v30, vcc_lo
	s_clause 0x1
	global_load_b64 v[17:18], v[13:14], off offset:-4096
	global_load_b64 v[15:16], v[15:16], off offset:2048
	v_add_co_u32 v19, vcc_lo, 0x4000, v29
	v_add_co_ci_u32_e32 v20, vcc_lo, 0, v30, vcc_lo
	global_load_b64 v[13:14], v[13:14], off
	v_add_co_u32 v21, vcc_lo, v29, 0x6000
	global_load_b64 v[19:20], v[19:20], off offset:2048
	v_add_co_ci_u32_e32 v22, vcc_lo, 0, v30, vcc_lo
	v_add_co_u32 v23, vcc_lo, 0x5000, v29
	v_add_co_ci_u32_e32 v24, vcc_lo, 0, v30, vcc_lo
	s_clause 0x1
	global_load_b64 v[25:26], v[21:22], off offset:-4096
	global_load_b64 v[23:24], v[23:24], off offset:2048
	v_add_co_u32 v27, vcc_lo, 0x6000, v29
	v_add_co_ci_u32_e32 v28, vcc_lo, 0, v30, vcc_lo
	global_load_b64 v[21:22], v[21:22], off
	v_add_co_u32 v29, vcc_lo, 0x7000, v29
	v_add_co_ci_u32_e32 v30, vcc_lo, 0, v30, vcc_lo
	s_clause 0x2
	global_load_b64 v[27:28], v[27:28], off offset:2048
	global_load_b64 v[31:32], v[29:30], off
	global_load_b64 v[29:30], v[29:30], off offset:2048
	s_mov_b32 s1, exec_lo
	s_waitcnt vmcnt(14)
	v_add_co_u32 v1, vcc_lo, v3, v1
	v_add_co_ci_u32_e32 v2, vcc_lo, v4, v2, vcc_lo
	s_waitcnt vmcnt(13)
	s_delay_alu instid0(VALU_DEP_2) | instskip(NEXT) | instid1(VALU_DEP_2)
	v_add_co_u32 v1, vcc_lo, v1, v9
	v_add_co_ci_u32_e32 v2, vcc_lo, v2, v10, vcc_lo
	s_waitcnt vmcnt(12)
	s_delay_alu instid0(VALU_DEP_2) | instskip(NEXT) | instid1(VALU_DEP_2)
	;; [unrolled: 4-line block ×14, first 2 shown]
	v_add_co_u32 v1, vcc_lo, v1, v29
	v_add_co_ci_u32_e32 v2, vcc_lo, v2, v30, vcc_lo
	s_delay_alu instid0(VALU_DEP_2) | instskip(NEXT) | instid1(VALU_DEP_1)
	v_mov_b32_dpp v3, v1 quad_perm:[1,0,3,2] row_mask:0xf bank_mask:0xf
	v_add_co_u32 v1, vcc_lo, v1, v3
	s_delay_alu instid0(VALU_DEP_3) | instskip(SKIP_1) | instid1(VALU_DEP_3)
	v_mov_b32_dpp v3, v2 quad_perm:[1,0,3,2] row_mask:0xf bank_mask:0xf
	v_add_co_ci_u32_e32 v2, vcc_lo, 0, v2, vcc_lo
	v_mov_b32_dpp v4, v1 quad_perm:[2,3,0,1] row_mask:0xf bank_mask:0xf
	v_add_co_u32 v1, vcc_lo, 0, v1
	s_delay_alu instid0(VALU_DEP_3) | instskip(NEXT) | instid1(VALU_DEP_2)
	v_add_co_ci_u32_e32 v2, vcc_lo, v3, v2, vcc_lo
	v_add_co_u32 v1, vcc_lo, v1, v4
	s_delay_alu instid0(VALU_DEP_2) | instskip(SKIP_1) | instid1(VALU_DEP_3)
	v_mov_b32_dpp v3, v2 quad_perm:[2,3,0,1] row_mask:0xf bank_mask:0xf
	v_add_co_ci_u32_e32 v2, vcc_lo, 0, v2, vcc_lo
	v_mov_b32_dpp v4, v1 row_ror:4 row_mask:0xf bank_mask:0xf
	v_add_co_u32 v1, vcc_lo, v1, 0
	s_delay_alu instid0(VALU_DEP_3) | instskip(NEXT) | instid1(VALU_DEP_2)
	v_add_co_ci_u32_e32 v2, vcc_lo, v2, v3, vcc_lo
	v_add_co_u32 v1, vcc_lo, v1, v4
	s_delay_alu instid0(VALU_DEP_2) | instskip(SKIP_1) | instid1(VALU_DEP_3)
	v_mov_b32_dpp v3, v2 row_ror:4 row_mask:0xf bank_mask:0xf
	v_add_co_ci_u32_e32 v2, vcc_lo, 0, v2, vcc_lo
	v_mov_b32_dpp v4, v1 row_ror:8 row_mask:0xf bank_mask:0xf
	v_add_co_u32 v1, vcc_lo, v1, 0
	s_delay_alu instid0(VALU_DEP_3) | instskip(NEXT) | instid1(VALU_DEP_2)
	v_add_co_ci_u32_e32 v2, vcc_lo, v2, v3, vcc_lo
	v_add_co_u32 v1, vcc_lo, v1, v4
	s_delay_alu instid0(VALU_DEP_2)
	v_mov_b32_dpp v3, v2 row_ror:8 row_mask:0xf bank_mask:0xf
	v_add_co_ci_u32_e32 v2, vcc_lo, 0, v2, vcc_lo
	ds_swizzle_b32 v4, v1 offset:swizzle(BROADCAST,32,15)
	v_add_co_u32 v1, vcc_lo, v1, 0
	v_add_co_ci_u32_e32 v2, vcc_lo, v2, v3, vcc_lo
	ds_swizzle_b32 v3, v2 offset:swizzle(BROADCAST,32,15)
	s_waitcnt lgkmcnt(1)
	v_add_co_u32 v1, vcc_lo, v1, v4
	v_add_co_ci_u32_e32 v2, vcc_lo, 0, v2, vcc_lo
	v_mov_b32_e32 v4, 0
	s_waitcnt lgkmcnt(0)
	s_delay_alu instid0(VALU_DEP_2)
	v_add_nc_u32_e32 v2, v3, v2
	ds_bpermute_b32 v1, v4, v1 offset:124
	v_mbcnt_lo_u32_b32 v3, -1, 0
	ds_bpermute_b32 v2, v4, v2 offset:124
	v_cmpx_eq_u32_e32 0, v3
	s_cbranch_execz .LBB97_7
; %bb.6:
	v_lshrrev_b32_e32 v4, 2, v0
	s_delay_alu instid0(VALU_DEP_1)
	v_and_b32_e32 v4, 56, v4
	s_waitcnt lgkmcnt(0)
	ds_store_b64 v4, v[1:2]
.LBB97_7:
	s_or_b32 exec_lo, exec_lo, s1
	s_delay_alu instid0(SALU_CYCLE_1)
	s_mov_b32 s1, exec_lo
	s_waitcnt lgkmcnt(0)
	s_barrier
	buffer_gl0_inv
	v_cmpx_gt_u32_e32 32, v0
	s_cbranch_execz .LBB97_9
; %bb.8:
	v_and_b32_e32 v4, 7, v3
	s_delay_alu instid0(VALU_DEP_1) | instskip(SKIP_4) | instid1(VALU_DEP_2)
	v_lshlrev_b32_e32 v1, 3, v4
	v_cmp_ne_u32_e32 vcc_lo, 7, v4
	ds_load_b64 v[1:2], v1
	v_add_co_ci_u32_e32 v5, vcc_lo, 0, v3, vcc_lo
	v_cmp_gt_u32_e32 vcc_lo, 6, v4
	v_lshlrev_b32_e32 v5, 2, v5
	v_cndmask_b32_e64 v7, 0, 1, vcc_lo
	s_delay_alu instid0(VALU_DEP_1) | instskip(NEXT) | instid1(VALU_DEP_1)
	v_lshlrev_b32_e32 v7, 1, v7
	v_add_lshl_u32 v7, v7, v3, 2
	s_waitcnt lgkmcnt(0)
	ds_bpermute_b32 v6, v5, v1
	ds_bpermute_b32 v5, v5, v2
	s_waitcnt lgkmcnt(1)
	v_add_co_u32 v1, vcc_lo, v1, v6
	v_add_co_ci_u32_e32 v2, vcc_lo, 0, v2, vcc_lo
	ds_bpermute_b32 v6, v7, v1
	v_add_co_u32 v1, vcc_lo, 0, v1
	s_waitcnt lgkmcnt(1)
	v_add_co_ci_u32_e32 v2, vcc_lo, v5, v2, vcc_lo
	v_cmp_gt_u32_e32 vcc_lo, 4, v4
	ds_bpermute_b32 v5, v7, v2
	v_cndmask_b32_e64 v4, 0, 1, vcc_lo
	s_delay_alu instid0(VALU_DEP_1) | instskip(NEXT) | instid1(VALU_DEP_1)
	v_lshlrev_b32_e32 v4, 2, v4
	v_add_lshl_u32 v3, v4, v3, 2
	s_waitcnt lgkmcnt(1)
	v_add_co_u32 v1, vcc_lo, v1, v6
	v_add_co_ci_u32_e32 v2, vcc_lo, 0, v2, vcc_lo
	ds_bpermute_b32 v4, v3, v1
	v_add_co_u32 v1, vcc_lo, v1, 0
	s_waitcnt lgkmcnt(1)
	v_add_co_ci_u32_e32 v2, vcc_lo, v2, v5, vcc_lo
	ds_bpermute_b32 v3, v3, v2
	s_waitcnt lgkmcnt(1)
	v_add_co_u32 v1, vcc_lo, v1, v4
	v_add_co_ci_u32_e32 v2, vcc_lo, 0, v2, vcc_lo
	s_delay_alu instid0(VALU_DEP_2) | instskip(SKIP_1) | instid1(VALU_DEP_2)
	v_add_co_u32 v1, vcc_lo, v1, 0
	s_waitcnt lgkmcnt(0)
	v_add_co_ci_u32_e32 v2, vcc_lo, v2, v3, vcc_lo
.LBB97_9:
	s_or_b32 exec_lo, exec_lo, s1
.LBB97_10:
	v_cmp_eq_u32_e64 s0, 0, v0
	s_and_b32 vcc_lo, exec_lo, s27
	s_cbranch_vccnz .LBB97_15
	s_branch .LBB97_116
.LBB97_11:
	s_mov_b32 s0, 0
                                        ; implicit-def: $vgpr1_vgpr2
	s_cbranch_execnz .LBB97_156
	s_branch .LBB97_201
.LBB97_12:
	s_mov_b32 s0, 0
                                        ; implicit-def: $vgpr1_vgpr2
	s_cbranch_execnz .LBB97_117
	s_branch .LBB97_155
.LBB97_13:
	s_mov_b32 s27, -1
	s_mov_b32 s0, 0
                                        ; implicit-def: $vgpr1_vgpr2
.LBB97_14:
	s_and_b32 vcc_lo, exec_lo, s27
	s_cbranch_vccz .LBB97_116
.LBB97_15:
	s_cmp_eq_u32 s26, 8
                                        ; implicit-def: $vgpr1_vgpr2
	s_cbranch_scc0 .LBB97_116
; %bb.16:
	s_mov_b32 s15, 0
	s_lshl_b32 s0, s14, 11
	s_mov_b32 s1, s15
	s_lshr_b64 s[4:5], s[18:19], 11
	s_lshl_b64 s[2:3], s[0:1], 3
	s_delay_alu instid0(SALU_CYCLE_1)
	s_add_u32 s6, s16, s2
	s_addc_u32 s7, s17, s3
	s_cmp_lg_u64 s[4:5], s[14:15]
	s_cbranch_scc0 .LBB97_76
; %bb.17:
	s_waitcnt lgkmcnt(0)
	v_lshlrev_b32_e32 v3, 3, v0
	s_delay_alu instid0(VALU_DEP_1) | instskip(NEXT) | instid1(VALU_DEP_1)
	v_add_co_u32 v13, s1, s6, v3
	v_add_co_ci_u32_e64 v14, null, s7, 0, s1
	s_clause 0x1
	global_load_b64 v[1:2], v3, s[6:7]
	global_load_b64 v[3:4], v3, s[6:7] offset:2048
	v_add_co_u32 v5, vcc_lo, v13, 0x2000
	v_add_co_ci_u32_e32 v6, vcc_lo, 0, v14, vcc_lo
	v_add_co_u32 v7, vcc_lo, 0x1000, v13
	v_add_co_ci_u32_e32 v8, vcc_lo, 0, v14, vcc_lo
	v_add_co_u32 v11, vcc_lo, 0x2000, v13
	s_clause 0x1
	global_load_b64 v[9:10], v[5:6], off offset:-4096
	global_load_b64 v[7:8], v[7:8], off offset:2048
	v_add_co_ci_u32_e32 v12, vcc_lo, 0, v14, vcc_lo
	global_load_b64 v[5:6], v[5:6], off
	v_add_co_u32 v13, vcc_lo, 0x3000, v13
	v_add_co_ci_u32_e32 v14, vcc_lo, 0, v14, vcc_lo
	s_clause 0x2
	global_load_b64 v[11:12], v[11:12], off offset:2048
	global_load_b64 v[15:16], v[13:14], off
	global_load_b64 v[13:14], v[13:14], off offset:2048
	s_mov_b32 s1, exec_lo
	s_waitcnt vmcnt(6)
	v_add_co_u32 v1, vcc_lo, v3, v1
	v_add_co_ci_u32_e32 v2, vcc_lo, v4, v2, vcc_lo
	s_waitcnt vmcnt(5)
	s_delay_alu instid0(VALU_DEP_2) | instskip(NEXT) | instid1(VALU_DEP_2)
	v_add_co_u32 v1, vcc_lo, v1, v9
	v_add_co_ci_u32_e32 v2, vcc_lo, v2, v10, vcc_lo
	s_waitcnt vmcnt(4)
	s_delay_alu instid0(VALU_DEP_2) | instskip(NEXT) | instid1(VALU_DEP_2)
	;; [unrolled: 4-line block ×6, first 2 shown]
	v_add_co_u32 v1, vcc_lo, v1, v13
	v_add_co_ci_u32_e32 v2, vcc_lo, v2, v14, vcc_lo
	s_delay_alu instid0(VALU_DEP_2) | instskip(NEXT) | instid1(VALU_DEP_1)
	v_mov_b32_dpp v3, v1 quad_perm:[1,0,3,2] row_mask:0xf bank_mask:0xf
	v_add_co_u32 v1, vcc_lo, v1, v3
	s_delay_alu instid0(VALU_DEP_3) | instskip(SKIP_1) | instid1(VALU_DEP_3)
	v_mov_b32_dpp v3, v2 quad_perm:[1,0,3,2] row_mask:0xf bank_mask:0xf
	v_add_co_ci_u32_e32 v2, vcc_lo, 0, v2, vcc_lo
	v_mov_b32_dpp v4, v1 quad_perm:[2,3,0,1] row_mask:0xf bank_mask:0xf
	v_add_co_u32 v1, vcc_lo, 0, v1
	s_delay_alu instid0(VALU_DEP_3) | instskip(NEXT) | instid1(VALU_DEP_2)
	v_add_co_ci_u32_e32 v2, vcc_lo, v3, v2, vcc_lo
	v_add_co_u32 v1, vcc_lo, v1, v4
	s_delay_alu instid0(VALU_DEP_2) | instskip(SKIP_1) | instid1(VALU_DEP_3)
	v_mov_b32_dpp v3, v2 quad_perm:[2,3,0,1] row_mask:0xf bank_mask:0xf
	v_add_co_ci_u32_e32 v2, vcc_lo, 0, v2, vcc_lo
	v_mov_b32_dpp v4, v1 row_ror:4 row_mask:0xf bank_mask:0xf
	v_add_co_u32 v1, vcc_lo, v1, 0
	s_delay_alu instid0(VALU_DEP_3) | instskip(NEXT) | instid1(VALU_DEP_2)
	v_add_co_ci_u32_e32 v2, vcc_lo, v2, v3, vcc_lo
	v_add_co_u32 v1, vcc_lo, v1, v4
	s_delay_alu instid0(VALU_DEP_2) | instskip(SKIP_1) | instid1(VALU_DEP_3)
	v_mov_b32_dpp v3, v2 row_ror:4 row_mask:0xf bank_mask:0xf
	v_add_co_ci_u32_e32 v2, vcc_lo, 0, v2, vcc_lo
	v_mov_b32_dpp v4, v1 row_ror:8 row_mask:0xf bank_mask:0xf
	v_add_co_u32 v1, vcc_lo, v1, 0
	s_delay_alu instid0(VALU_DEP_3) | instskip(NEXT) | instid1(VALU_DEP_2)
	v_add_co_ci_u32_e32 v2, vcc_lo, v2, v3, vcc_lo
	v_add_co_u32 v1, vcc_lo, v1, v4
	s_delay_alu instid0(VALU_DEP_2)
	v_mov_b32_dpp v3, v2 row_ror:8 row_mask:0xf bank_mask:0xf
	v_add_co_ci_u32_e32 v2, vcc_lo, 0, v2, vcc_lo
	ds_swizzle_b32 v4, v1 offset:swizzle(BROADCAST,32,15)
	v_add_co_u32 v1, vcc_lo, v1, 0
	v_add_co_ci_u32_e32 v2, vcc_lo, v2, v3, vcc_lo
	ds_swizzle_b32 v3, v2 offset:swizzle(BROADCAST,32,15)
	s_waitcnt lgkmcnt(1)
	v_add_co_u32 v1, vcc_lo, v1, v4
	v_mov_b32_e32 v4, 0
	v_add_co_ci_u32_e32 v2, vcc_lo, 0, v2, vcc_lo
	ds_bpermute_b32 v1, v4, v1 offset:124
	s_waitcnt lgkmcnt(1)
	v_add_nc_u32_e32 v2, v3, v2
	v_mbcnt_lo_u32_b32 v3, -1, 0
	ds_bpermute_b32 v2, v4, v2 offset:124
	v_cmpx_eq_u32_e32 0, v3
	s_cbranch_execz .LBB97_19
; %bb.18:
	v_lshrrev_b32_e32 v4, 2, v0
	s_delay_alu instid0(VALU_DEP_1)
	v_and_b32_e32 v4, 56, v4
	s_waitcnt lgkmcnt(0)
	ds_store_b64 v4, v[1:2] offset:256
.LBB97_19:
	s_or_b32 exec_lo, exec_lo, s1
	s_delay_alu instid0(SALU_CYCLE_1)
	s_mov_b32 s1, exec_lo
	s_waitcnt lgkmcnt(0)
	s_barrier
	buffer_gl0_inv
	v_cmpx_gt_u32_e32 32, v0
	s_cbranch_execz .LBB97_21
; %bb.20:
	v_and_b32_e32 v4, 7, v3
	s_delay_alu instid0(VALU_DEP_1) | instskip(SKIP_4) | instid1(VALU_DEP_2)
	v_lshlrev_b32_e32 v1, 3, v4
	v_cmp_ne_u32_e32 vcc_lo, 7, v4
	ds_load_b64 v[1:2], v1 offset:256
	v_add_co_ci_u32_e32 v5, vcc_lo, 0, v3, vcc_lo
	v_cmp_gt_u32_e32 vcc_lo, 6, v4
	v_lshlrev_b32_e32 v5, 2, v5
	v_cndmask_b32_e64 v7, 0, 1, vcc_lo
	s_delay_alu instid0(VALU_DEP_1) | instskip(NEXT) | instid1(VALU_DEP_1)
	v_lshlrev_b32_e32 v7, 1, v7
	v_add_lshl_u32 v7, v7, v3, 2
	s_waitcnt lgkmcnt(0)
	ds_bpermute_b32 v6, v5, v1
	ds_bpermute_b32 v5, v5, v2
	s_waitcnt lgkmcnt(1)
	v_add_co_u32 v1, vcc_lo, v1, v6
	v_add_co_ci_u32_e32 v2, vcc_lo, 0, v2, vcc_lo
	ds_bpermute_b32 v6, v7, v1
	v_add_co_u32 v1, vcc_lo, 0, v1
	s_waitcnt lgkmcnt(1)
	v_add_co_ci_u32_e32 v2, vcc_lo, v5, v2, vcc_lo
	v_cmp_gt_u32_e32 vcc_lo, 4, v4
	ds_bpermute_b32 v5, v7, v2
	v_cndmask_b32_e64 v4, 0, 1, vcc_lo
	s_delay_alu instid0(VALU_DEP_1) | instskip(NEXT) | instid1(VALU_DEP_1)
	v_lshlrev_b32_e32 v4, 2, v4
	v_add_lshl_u32 v3, v4, v3, 2
	s_waitcnt lgkmcnt(1)
	v_add_co_u32 v1, vcc_lo, v1, v6
	v_add_co_ci_u32_e32 v2, vcc_lo, 0, v2, vcc_lo
	ds_bpermute_b32 v4, v3, v1
	v_add_co_u32 v1, vcc_lo, v1, 0
	s_waitcnt lgkmcnt(1)
	v_add_co_ci_u32_e32 v2, vcc_lo, v2, v5, vcc_lo
	ds_bpermute_b32 v3, v3, v2
	s_waitcnt lgkmcnt(1)
	v_add_co_u32 v1, vcc_lo, v1, v4
	v_add_co_ci_u32_e32 v2, vcc_lo, 0, v2, vcc_lo
	s_delay_alu instid0(VALU_DEP_2) | instskip(SKIP_1) | instid1(VALU_DEP_2)
	v_add_co_u32 v1, vcc_lo, v1, 0
	s_waitcnt lgkmcnt(0)
	v_add_co_ci_u32_e32 v2, vcc_lo, v2, v3, vcc_lo
.LBB97_21:
	s_or_b32 exec_lo, exec_lo, s1
	s_mov_b32 s1, 0
	s_branch .LBB97_77
.LBB97_22:
                                        ; implicit-def: $vgpr1_vgpr2
	s_cbranch_execz .LBB97_10
; %bb.23:
	s_sub_i32 s28, s18, s0
	s_mov_b32 s0, exec_lo
                                        ; implicit-def: $vgpr1_vgpr2_vgpr3_vgpr4_vgpr5_vgpr6_vgpr7_vgpr8_vgpr9_vgpr10_vgpr11_vgpr12_vgpr13_vgpr14_vgpr15_vgpr16_vgpr17_vgpr18_vgpr19_vgpr20_vgpr21_vgpr22_vgpr23_vgpr24_vgpr25_vgpr26_vgpr27_vgpr28_vgpr29_vgpr30_vgpr31_vgpr32
	v_cmpx_gt_u32_e64 s28, v0
	s_cbranch_execz .LBB97_25
; %bb.24:
	v_lshlrev_b32_e32 v1, 3, v0
	global_load_b64 v[1:2], v1, s[24:25]
.LBB97_25:
	s_or_b32 exec_lo, exec_lo, s0
	v_or_b32_e32 v33, 0x100, v0
	s_delay_alu instid0(VALU_DEP_1)
	v_cmp_gt_u32_e32 vcc_lo, s28, v33
	s_and_saveexec_b32 s0, vcc_lo
	s_cbranch_execz .LBB97_27
; %bb.26:
	v_lshlrev_b32_e32 v3, 3, v0
	global_load_b64 v[3:4], v3, s[24:25] offset:2048
.LBB97_27:
	s_or_b32 exec_lo, exec_lo, s0
	v_or_b32_e32 v33, 0x200, v0
	s_delay_alu instid0(VALU_DEP_1) | instskip(NEXT) | instid1(VALU_DEP_1)
	v_cmp_gt_u32_e64 s0, s28, v33
	s_and_saveexec_b32 s1, s0
	s_cbranch_execz .LBB97_29
; %bb.28:
	v_lshlrev_b32_e32 v5, 3, v33
	global_load_b64 v[5:6], v5, s[24:25]
.LBB97_29:
	s_or_b32 exec_lo, exec_lo, s1
	v_or_b32_e32 v33, 0x300, v0
	s_delay_alu instid0(VALU_DEP_1) | instskip(NEXT) | instid1(VALU_DEP_1)
	v_cmp_gt_u32_e64 s1, s28, v33
	s_and_saveexec_b32 s2, s1
	s_cbranch_execz .LBB97_31
; %bb.30:
	v_lshlrev_b32_e32 v7, 3, v33
	global_load_b64 v[7:8], v7, s[24:25]
.LBB97_31:
	;; [unrolled: 10-line block ×14, first 2 shown]
	s_or_b32 exec_lo, exec_lo, s29
	s_waitcnt vmcnt(0)
	v_dual_cndmask_b32 v3, 0, v3 :: v_dual_cndmask_b32 v4, 0, v4
	v_cndmask_b32_e64 v5, 0, v5, s0
	v_cndmask_b32_e64 v6, 0, v6, s0
	s_min_u32 s0, s28, 0x100
	s_delay_alu instid0(VALU_DEP_3) | instskip(SKIP_2) | instid1(VALU_DEP_3)
	v_add_co_u32 v1, vcc_lo, v3, v1
	v_add_co_ci_u32_e32 v2, vcc_lo, v4, v2, vcc_lo
	v_cndmask_b32_e64 v3, 0, v7, s1
	v_add_co_u32 v1, vcc_lo, v1, v5
	s_delay_alu instid0(VALU_DEP_3) | instskip(SKIP_2) | instid1(VALU_DEP_4)
	v_add_co_ci_u32_e32 v2, vcc_lo, v2, v6, vcc_lo
	v_cndmask_b32_e64 v4, 0, v8, s1
	v_cndmask_b32_e64 v5, 0, v9, s2
	v_add_co_u32 v1, vcc_lo, v1, v3
	v_cndmask_b32_e64 v3, 0, v10, s2
	s_delay_alu instid0(VALU_DEP_4) | instskip(SKIP_1) | instid1(VALU_DEP_4)
	v_add_co_ci_u32_e32 v2, vcc_lo, v2, v4, vcc_lo
	v_cndmask_b32_e64 v4, 0, v11, s3
	v_add_co_u32 v1, vcc_lo, v1, v5
	s_delay_alu instid0(VALU_DEP_3) | instskip(SKIP_2) | instid1(VALU_DEP_4)
	v_add_co_ci_u32_e32 v2, vcc_lo, v2, v3, vcc_lo
	v_cndmask_b32_e64 v3, 0, v12, s3
	v_cndmask_b32_e64 v5, 0, v13, s4
	v_add_co_u32 v1, vcc_lo, v1, v4
	v_cndmask_b32_e64 v4, 0, v15, s5
	s_delay_alu instid0(VALU_DEP_4) | instskip(SKIP_1) | instid1(VALU_DEP_4)
	v_add_co_ci_u32_e32 v2, vcc_lo, v2, v3, vcc_lo
	v_cndmask_b32_e64 v3, 0, v14, s4
	v_add_co_u32 v1, vcc_lo, v1, v5
	v_cndmask_b32_e64 v5, 0, v17, s6
	v_cndmask_b32_e64 v6, 0, v31, s13
	s_delay_alu instid0(VALU_DEP_4) | instskip(SKIP_3) | instid1(VALU_DEP_3)
	v_add_co_ci_u32_e32 v2, vcc_lo, v2, v3, vcc_lo
	v_cndmask_b32_e64 v3, 0, v16, s5
	v_add_co_u32 v1, vcc_lo, v1, v4
	v_cndmask_b32_e64 v4, 0, v19, s7
	v_add_co_ci_u32_e32 v2, vcc_lo, v2, v3, vcc_lo
	v_cndmask_b32_e64 v3, 0, v18, s6
	s_delay_alu instid0(VALU_DEP_4) | instskip(SKIP_1) | instid1(VALU_DEP_3)
	v_add_co_u32 v1, vcc_lo, v1, v5
	v_cndmask_b32_e64 v5, 0, v21, s8
	v_add_co_ci_u32_e32 v2, vcc_lo, v2, v3, vcc_lo
	v_cndmask_b32_e64 v3, 0, v20, s7
	s_delay_alu instid0(VALU_DEP_4) | instskip(SKIP_1) | instid1(VALU_DEP_3)
	;; [unrolled: 5-line block ×5, first 2 shown]
	v_add_co_u32 v1, vcc_lo, v1, v5
	v_cndmask_b32_e64 v5, 0, v28, s11
	v_add_co_ci_u32_e32 v2, vcc_lo, v2, v3, vcc_lo
	v_mbcnt_lo_u32_b32 v3, -1, 0
	s_delay_alu instid0(VALU_DEP_4) | instskip(NEXT) | instid1(VALU_DEP_3)
	v_add_co_u32 v1, vcc_lo, v1, v4
	v_add_co_ci_u32_e32 v2, vcc_lo, v2, v5, vcc_lo
	s_delay_alu instid0(VALU_DEP_3) | instskip(SKIP_3) | instid1(VALU_DEP_3)
	v_cmp_ne_u32_e32 vcc_lo, 31, v3
	v_cndmask_b32_e64 v5, 0, v29, s12
	v_cndmask_b32_e64 v4, 0, v30, s12
	v_add_co_ci_u32_e32 v7, vcc_lo, 0, v3, vcc_lo
	v_add_co_u32 v1, vcc_lo, v1, v5
	s_delay_alu instid0(VALU_DEP_3) | instskip(SKIP_1) | instid1(VALU_DEP_3)
	v_add_co_ci_u32_e32 v2, vcc_lo, v2, v4, vcc_lo
	v_cndmask_b32_e64 v4, 0, v32, s13
	v_add_co_u32 v1, vcc_lo, v1, v6
	v_lshlrev_b32_e32 v5, 2, v7
	s_delay_alu instid0(VALU_DEP_3)
	v_add_co_ci_u32_e32 v2, vcc_lo, v2, v4, vcc_lo
	v_and_b32_e32 v4, 0xe0, v0
	ds_bpermute_b32 v7, v5, v1
	ds_bpermute_b32 v6, v5, v2
	v_add_nc_u32_e32 v5, 1, v3
	v_sub_nc_u32_e64 v4, s0, v4 clamp
	s_delay_alu instid0(VALU_DEP_1)
	v_cmp_lt_u32_e32 vcc_lo, v5, v4
	v_mov_b32_e32 v5, v1
	s_and_saveexec_b32 s1, vcc_lo
	s_cbranch_execz .LBB97_57
; %bb.56:
	s_waitcnt lgkmcnt(1)
	v_add_co_u32 v5, vcc_lo, v1, v7
	v_add_co_ci_u32_e32 v2, vcc_lo, 0, v2, vcc_lo
	s_delay_alu instid0(VALU_DEP_2) | instskip(SKIP_1) | instid1(VALU_DEP_2)
	v_add_co_u32 v1, vcc_lo, v5, 0
	s_waitcnt lgkmcnt(0)
	v_add_co_ci_u32_e32 v2, vcc_lo, v2, v6, vcc_lo
.LBB97_57:
	s_or_b32 exec_lo, exec_lo, s1
	v_cmp_gt_u32_e32 vcc_lo, 30, v3
	v_add_nc_u32_e32 v8, 2, v3
	s_mov_b32 s1, exec_lo
	s_waitcnt lgkmcnt(0)
	v_cndmask_b32_e64 v6, 0, 1, vcc_lo
	s_delay_alu instid0(VALU_DEP_1) | instskip(NEXT) | instid1(VALU_DEP_1)
	v_lshlrev_b32_e32 v6, 1, v6
	v_add_lshl_u32 v6, v6, v3, 2
	ds_bpermute_b32 v7, v6, v5
	ds_bpermute_b32 v6, v6, v2
	v_cmpx_lt_u32_e64 v8, v4
	s_cbranch_execz .LBB97_59
; %bb.58:
	s_waitcnt lgkmcnt(1)
	v_add_co_u32 v5, vcc_lo, v1, v7
	v_add_co_ci_u32_e32 v2, vcc_lo, 0, v2, vcc_lo
	s_delay_alu instid0(VALU_DEP_2) | instskip(SKIP_1) | instid1(VALU_DEP_2)
	v_add_co_u32 v1, vcc_lo, 0, v5
	s_waitcnt lgkmcnt(0)
	v_add_co_ci_u32_e32 v2, vcc_lo, v6, v2, vcc_lo
.LBB97_59:
	s_or_b32 exec_lo, exec_lo, s1
	v_cmp_gt_u32_e32 vcc_lo, 28, v3
	v_add_nc_u32_e32 v8, 4, v3
	s_mov_b32 s1, exec_lo
	s_waitcnt lgkmcnt(0)
	v_cndmask_b32_e64 v6, 0, 1, vcc_lo
	s_delay_alu instid0(VALU_DEP_1) | instskip(NEXT) | instid1(VALU_DEP_1)
	v_lshlrev_b32_e32 v6, 2, v6
	v_add_lshl_u32 v6, v6, v3, 2
	ds_bpermute_b32 v7, v6, v5
	ds_bpermute_b32 v6, v6, v2
	v_cmpx_lt_u32_e64 v8, v4
	;; [unrolled: 22-line block ×3, first 2 shown]
	s_cbranch_execz .LBB97_63
; %bb.62:
	s_waitcnt lgkmcnt(1)
	v_add_co_u32 v5, vcc_lo, v1, v7
	v_add_co_ci_u32_e32 v2, vcc_lo, 0, v2, vcc_lo
	s_delay_alu instid0(VALU_DEP_2) | instskip(SKIP_1) | instid1(VALU_DEP_2)
	v_add_co_u32 v1, vcc_lo, 0, v5
	s_waitcnt lgkmcnt(0)
	v_add_co_ci_u32_e32 v2, vcc_lo, v6, v2, vcc_lo
.LBB97_63:
	s_or_b32 exec_lo, exec_lo, s1
	v_cmp_gt_u32_e32 vcc_lo, 16, v3
	s_mov_b32 s1, exec_lo
	s_waitcnt lgkmcnt(0)
	v_cndmask_b32_e64 v6, 0, 1, vcc_lo
	s_delay_alu instid0(VALU_DEP_1) | instskip(NEXT) | instid1(VALU_DEP_1)
	v_lshlrev_b32_e32 v6, 4, v6
	v_add_lshl_u32 v7, v6, v3, 2
	ds_bpermute_b32 v6, v7, v5
	ds_bpermute_b32 v5, v7, v2
	v_add_nc_u32_e32 v7, 16, v3
	s_delay_alu instid0(VALU_DEP_1)
	v_cmpx_lt_u32_e64 v7, v4
	s_cbranch_execz .LBB97_65
; %bb.64:
	s_waitcnt lgkmcnt(1)
	v_add_co_u32 v1, vcc_lo, v1, v6
	v_add_co_ci_u32_e32 v2, vcc_lo, 0, v2, vcc_lo
	s_delay_alu instid0(VALU_DEP_2) | instskip(SKIP_1) | instid1(VALU_DEP_2)
	v_add_co_u32 v1, vcc_lo, v1, 0
	s_waitcnt lgkmcnt(0)
	v_add_co_ci_u32_e32 v2, vcc_lo, v2, v5, vcc_lo
.LBB97_65:
	s_or_b32 exec_lo, exec_lo, s1
	s_delay_alu instid0(SALU_CYCLE_1)
	s_mov_b32 s1, exec_lo
	v_cmpx_eq_u32_e32 0, v3
	s_cbranch_execz .LBB97_67
; %bb.66:
	v_lshrrev_b32_e32 v4, 2, v0
	s_delay_alu instid0(VALU_DEP_1)
	v_and_b32_e32 v4, 56, v4
	ds_store_b64 v4, v[1:2] offset:320
.LBB97_67:
	s_or_b32 exec_lo, exec_lo, s1
	s_delay_alu instid0(SALU_CYCLE_1)
	s_mov_b32 s1, exec_lo
	s_waitcnt lgkmcnt(0)
	s_barrier
	buffer_gl0_inv
	v_cmpx_gt_u32_e32 8, v0
	s_cbranch_execz .LBB97_75
; %bb.68:
	v_lshlrev_b32_e32 v1, 3, v3
	s_add_i32 s0, s0, 31
	s_delay_alu instid0(SALU_CYCLE_1) | instskip(SKIP_2) | instid1(VALU_DEP_1)
	s_lshr_b32 s0, s0, 5
	ds_load_b64 v[1:2], v1 offset:320
	v_and_b32_e32 v4, 7, v3
	v_cmp_ne_u32_e32 vcc_lo, 7, v4
	v_add_co_ci_u32_e32 v5, vcc_lo, 0, v3, vcc_lo
	s_delay_alu instid0(VALU_DEP_1) | instskip(SKIP_4) | instid1(VALU_DEP_1)
	v_lshlrev_b32_e32 v5, 2, v5
	s_waitcnt lgkmcnt(0)
	ds_bpermute_b32 v7, v5, v1
	ds_bpermute_b32 v6, v5, v2
	v_add_nc_u32_e32 v5, 1, v4
	v_cmp_gt_u32_e32 vcc_lo, s0, v5
	v_mov_b32_e32 v5, v1
	s_and_saveexec_b32 s2, vcc_lo
	s_cbranch_execz .LBB97_70
; %bb.69:
	s_waitcnt lgkmcnt(1)
	v_add_co_u32 v5, vcc_lo, v1, v7
	v_add_co_ci_u32_e32 v2, vcc_lo, 0, v2, vcc_lo
	s_delay_alu instid0(VALU_DEP_2) | instskip(SKIP_1) | instid1(VALU_DEP_2)
	v_add_co_u32 v1, vcc_lo, 0, v5
	s_waitcnt lgkmcnt(0)
	v_add_co_ci_u32_e32 v2, vcc_lo, v6, v2, vcc_lo
.LBB97_70:
	s_or_b32 exec_lo, exec_lo, s2
	v_cmp_gt_u32_e32 vcc_lo, 6, v4
	v_add_nc_u32_e32 v8, 2, v4
	s_mov_b32 s2, exec_lo
	s_waitcnt lgkmcnt(0)
	v_cndmask_b32_e64 v6, 0, 1, vcc_lo
	s_delay_alu instid0(VALU_DEP_1) | instskip(NEXT) | instid1(VALU_DEP_1)
	v_lshlrev_b32_e32 v6, 1, v6
	v_add_lshl_u32 v6, v6, v3, 2
	ds_bpermute_b32 v7, v6, v5
	ds_bpermute_b32 v6, v6, v2
	v_cmpx_gt_u32_e64 s0, v8
	s_cbranch_execz .LBB97_72
; %bb.71:
	s_waitcnt lgkmcnt(1)
	v_add_co_u32 v5, vcc_lo, v1, v7
	v_add_co_ci_u32_e32 v2, vcc_lo, 0, v2, vcc_lo
	s_delay_alu instid0(VALU_DEP_2) | instskip(SKIP_1) | instid1(VALU_DEP_2)
	v_add_co_u32 v1, vcc_lo, 0, v5
	s_waitcnt lgkmcnt(0)
	v_add_co_ci_u32_e32 v2, vcc_lo, v6, v2, vcc_lo
.LBB97_72:
	s_or_b32 exec_lo, exec_lo, s2
	v_cmp_gt_u32_e32 vcc_lo, 4, v4
	v_add_nc_u32_e32 v4, 4, v4
	s_waitcnt lgkmcnt(0)
	v_cndmask_b32_e64 v6, 0, 1, vcc_lo
	s_delay_alu instid0(VALU_DEP_2) | instskip(NEXT) | instid1(VALU_DEP_2)
	v_cmp_gt_u32_e32 vcc_lo, s0, v4
	v_lshlrev_b32_e32 v6, 2, v6
	s_delay_alu instid0(VALU_DEP_1)
	v_add_lshl_u32 v3, v6, v3, 2
	ds_bpermute_b32 v5, v3, v5
	ds_bpermute_b32 v3, v3, v2
	s_and_saveexec_b32 s0, vcc_lo
	s_cbranch_execz .LBB97_74
; %bb.73:
	s_waitcnt lgkmcnt(1)
	v_add_co_u32 v1, vcc_lo, v1, v5
	v_add_co_ci_u32_e32 v2, vcc_lo, 0, v2, vcc_lo
	s_delay_alu instid0(VALU_DEP_2) | instskip(SKIP_1) | instid1(VALU_DEP_2)
	v_add_co_u32 v1, vcc_lo, v1, 0
	s_waitcnt lgkmcnt(0)
	v_add_co_ci_u32_e32 v2, vcc_lo, v2, v3, vcc_lo
.LBB97_74:
	s_or_b32 exec_lo, exec_lo, s0
.LBB97_75:
	s_delay_alu instid0(SALU_CYCLE_1)
	s_or_b32 exec_lo, exec_lo, s1
	v_cmp_eq_u32_e64 s0, 0, v0
	s_and_b32 vcc_lo, exec_lo, s27
	s_cbranch_vccnz .LBB97_15
	s_branch .LBB97_116
.LBB97_76:
	s_mov_b32 s1, -1
                                        ; implicit-def: $vgpr1_vgpr2
.LBB97_77:
	s_delay_alu instid0(SALU_CYCLE_1)
	s_and_b32 vcc_lo, exec_lo, s1
	s_cbranch_vccz .LBB97_115
; %bb.78:
	s_sub_i32 s8, s18, s0
	s_mov_b32 s0, exec_lo
                                        ; implicit-def: $vgpr1_vgpr2_vgpr3_vgpr4_vgpr5_vgpr6_vgpr7_vgpr8_vgpr9_vgpr10_vgpr11_vgpr12_vgpr13_vgpr14_vgpr15_vgpr16
	v_cmpx_gt_u32_e64 s8, v0
	s_cbranch_execz .LBB97_80
; %bb.79:
	v_lshlrev_b32_e32 v1, 3, v0
	global_load_b64 v[1:2], v1, s[6:7]
.LBB97_80:
	s_or_b32 exec_lo, exec_lo, s0
	v_or_b32_e32 v17, 0x100, v0
	s_delay_alu instid0(VALU_DEP_1)
	v_cmp_gt_u32_e32 vcc_lo, s8, v17
	s_and_saveexec_b32 s0, vcc_lo
	s_cbranch_execz .LBB97_82
; %bb.81:
	s_waitcnt lgkmcnt(0)
	v_lshlrev_b32_e32 v3, 3, v0
	global_load_b64 v[3:4], v3, s[6:7] offset:2048
.LBB97_82:
	s_or_b32 exec_lo, exec_lo, s0
	v_or_b32_e32 v17, 0x200, v0
	s_delay_alu instid0(VALU_DEP_1) | instskip(NEXT) | instid1(VALU_DEP_1)
	v_cmp_gt_u32_e64 s0, s8, v17
	s_and_saveexec_b32 s1, s0
	s_cbranch_execz .LBB97_84
; %bb.83:
	s_waitcnt lgkmcnt(1)
	v_lshlrev_b32_e32 v5, 3, v17
	global_load_b64 v[5:6], v5, s[6:7]
.LBB97_84:
	s_or_b32 exec_lo, exec_lo, s1
	v_or_b32_e32 v17, 0x300, v0
	s_delay_alu instid0(VALU_DEP_1) | instskip(NEXT) | instid1(VALU_DEP_1)
	v_cmp_gt_u32_e64 s1, s8, v17
	s_and_saveexec_b32 s2, s1
	s_cbranch_execz .LBB97_86
; %bb.85:
	v_lshlrev_b32_e32 v7, 3, v17
	global_load_b64 v[7:8], v7, s[6:7]
.LBB97_86:
	s_or_b32 exec_lo, exec_lo, s2
	v_or_b32_e32 v17, 0x400, v0
	s_delay_alu instid0(VALU_DEP_1) | instskip(NEXT) | instid1(VALU_DEP_1)
	v_cmp_gt_u32_e64 s2, s8, v17
	s_and_saveexec_b32 s3, s2
	s_cbranch_execz .LBB97_88
; %bb.87:
	v_lshlrev_b32_e32 v9, 3, v17
	global_load_b64 v[9:10], v9, s[6:7]
.LBB97_88:
	;; [unrolled: 10-line block ×5, first 2 shown]
	s_or_b32 exec_lo, exec_lo, s9
	s_waitcnt vmcnt(0) lgkmcnt(0)
	v_dual_cndmask_b32 v3, 0, v3 :: v_dual_cndmask_b32 v4, 0, v4
	v_cndmask_b32_e64 v5, 0, v5, s0
	v_cndmask_b32_e64 v6, 0, v6, s0
	s_min_u32 s0, s8, 0x100
	s_delay_alu instid0(VALU_DEP_3) | instskip(SKIP_2) | instid1(VALU_DEP_3)
	v_add_co_u32 v1, vcc_lo, v3, v1
	v_add_co_ci_u32_e32 v2, vcc_lo, v4, v2, vcc_lo
	v_cndmask_b32_e64 v3, 0, v7, s1
	v_add_co_u32 v1, vcc_lo, v1, v5
	s_delay_alu instid0(VALU_DEP_3) | instskip(SKIP_2) | instid1(VALU_DEP_4)
	v_add_co_ci_u32_e32 v2, vcc_lo, v2, v6, vcc_lo
	v_cndmask_b32_e64 v4, 0, v8, s1
	v_cndmask_b32_e64 v5, 0, v9, s2
	v_add_co_u32 v1, vcc_lo, v1, v3
	v_cndmask_b32_e64 v3, 0, v10, s2
	s_delay_alu instid0(VALU_DEP_4) | instskip(SKIP_1) | instid1(VALU_DEP_4)
	v_add_co_ci_u32_e32 v2, vcc_lo, v2, v4, vcc_lo
	v_cndmask_b32_e64 v4, 0, v11, s3
	v_add_co_u32 v1, vcc_lo, v1, v5
	s_delay_alu instid0(VALU_DEP_3) | instskip(SKIP_2) | instid1(VALU_DEP_4)
	v_add_co_ci_u32_e32 v2, vcc_lo, v2, v3, vcc_lo
	v_cndmask_b32_e64 v5, 0, v12, s3
	v_mbcnt_lo_u32_b32 v3, -1, 0
	v_add_co_u32 v1, vcc_lo, v1, v4
	v_cndmask_b32_e64 v4, 0, v14, s4
	s_delay_alu instid0(VALU_DEP_4) | instskip(NEXT) | instid1(VALU_DEP_4)
	v_add_co_ci_u32_e32 v2, vcc_lo, v2, v5, vcc_lo
	v_cmp_ne_u32_e32 vcc_lo, 31, v3
	v_cndmask_b32_e64 v5, 0, v13, s4
	v_cndmask_b32_e64 v6, 0, v15, s5
	v_add_co_ci_u32_e32 v7, vcc_lo, 0, v3, vcc_lo
	s_delay_alu instid0(VALU_DEP_3) | instskip(SKIP_2) | instid1(VALU_DEP_3)
	v_add_co_u32 v1, vcc_lo, v1, v5
	v_add_co_ci_u32_e32 v2, vcc_lo, v2, v4, vcc_lo
	v_cndmask_b32_e64 v4, 0, v16, s5
	v_add_co_u32 v1, vcc_lo, v1, v6
	v_lshlrev_b32_e32 v5, 2, v7
	s_delay_alu instid0(VALU_DEP_3)
	v_add_co_ci_u32_e32 v2, vcc_lo, v2, v4, vcc_lo
	v_and_b32_e32 v4, 0xe0, v0
	ds_bpermute_b32 v7, v5, v1
	ds_bpermute_b32 v6, v5, v2
	v_add_nc_u32_e32 v5, 1, v3
	v_sub_nc_u32_e64 v4, s0, v4 clamp
	s_delay_alu instid0(VALU_DEP_1)
	v_cmp_lt_u32_e32 vcc_lo, v5, v4
	v_mov_b32_e32 v5, v1
	s_and_saveexec_b32 s1, vcc_lo
	s_cbranch_execz .LBB97_96
; %bb.95:
	s_waitcnt lgkmcnt(1)
	v_add_co_u32 v5, vcc_lo, v1, v7
	v_add_co_ci_u32_e32 v2, vcc_lo, 0, v2, vcc_lo
	s_delay_alu instid0(VALU_DEP_2) | instskip(SKIP_1) | instid1(VALU_DEP_2)
	v_add_co_u32 v1, vcc_lo, v5, 0
	s_waitcnt lgkmcnt(0)
	v_add_co_ci_u32_e32 v2, vcc_lo, v2, v6, vcc_lo
.LBB97_96:
	s_or_b32 exec_lo, exec_lo, s1
	v_cmp_gt_u32_e32 vcc_lo, 30, v3
	v_add_nc_u32_e32 v8, 2, v3
	s_mov_b32 s1, exec_lo
	s_waitcnt lgkmcnt(0)
	v_cndmask_b32_e64 v6, 0, 1, vcc_lo
	s_delay_alu instid0(VALU_DEP_1) | instskip(NEXT) | instid1(VALU_DEP_1)
	v_lshlrev_b32_e32 v6, 1, v6
	v_add_lshl_u32 v6, v6, v3, 2
	ds_bpermute_b32 v7, v6, v5
	ds_bpermute_b32 v6, v6, v2
	v_cmpx_lt_u32_e64 v8, v4
	s_cbranch_execz .LBB97_98
; %bb.97:
	s_waitcnt lgkmcnt(1)
	v_add_co_u32 v5, vcc_lo, v1, v7
	v_add_co_ci_u32_e32 v2, vcc_lo, 0, v2, vcc_lo
	s_delay_alu instid0(VALU_DEP_2) | instskip(SKIP_1) | instid1(VALU_DEP_2)
	v_add_co_u32 v1, vcc_lo, 0, v5
	s_waitcnt lgkmcnt(0)
	v_add_co_ci_u32_e32 v2, vcc_lo, v6, v2, vcc_lo
.LBB97_98:
	s_or_b32 exec_lo, exec_lo, s1
	v_cmp_gt_u32_e32 vcc_lo, 28, v3
	v_add_nc_u32_e32 v8, 4, v3
	s_mov_b32 s1, exec_lo
	s_waitcnt lgkmcnt(0)
	v_cndmask_b32_e64 v6, 0, 1, vcc_lo
	s_delay_alu instid0(VALU_DEP_1) | instskip(NEXT) | instid1(VALU_DEP_1)
	v_lshlrev_b32_e32 v6, 2, v6
	v_add_lshl_u32 v6, v6, v3, 2
	ds_bpermute_b32 v7, v6, v5
	ds_bpermute_b32 v6, v6, v2
	v_cmpx_lt_u32_e64 v8, v4
	;; [unrolled: 22-line block ×3, first 2 shown]
	s_cbranch_execz .LBB97_102
; %bb.101:
	s_waitcnt lgkmcnt(1)
	v_add_co_u32 v5, vcc_lo, v1, v7
	v_add_co_ci_u32_e32 v2, vcc_lo, 0, v2, vcc_lo
	s_delay_alu instid0(VALU_DEP_2) | instskip(SKIP_1) | instid1(VALU_DEP_2)
	v_add_co_u32 v1, vcc_lo, 0, v5
	s_waitcnt lgkmcnt(0)
	v_add_co_ci_u32_e32 v2, vcc_lo, v6, v2, vcc_lo
.LBB97_102:
	s_or_b32 exec_lo, exec_lo, s1
	v_cmp_gt_u32_e32 vcc_lo, 16, v3
	s_mov_b32 s1, exec_lo
	s_waitcnt lgkmcnt(0)
	v_cndmask_b32_e64 v6, 0, 1, vcc_lo
	s_delay_alu instid0(VALU_DEP_1) | instskip(NEXT) | instid1(VALU_DEP_1)
	v_lshlrev_b32_e32 v6, 4, v6
	v_add_lshl_u32 v7, v6, v3, 2
	ds_bpermute_b32 v6, v7, v5
	ds_bpermute_b32 v5, v7, v2
	v_add_nc_u32_e32 v7, 16, v3
	s_delay_alu instid0(VALU_DEP_1)
	v_cmpx_lt_u32_e64 v7, v4
	s_cbranch_execz .LBB97_104
; %bb.103:
	s_waitcnt lgkmcnt(1)
	v_add_co_u32 v1, vcc_lo, v1, v6
	v_add_co_ci_u32_e32 v2, vcc_lo, 0, v2, vcc_lo
	s_delay_alu instid0(VALU_DEP_2) | instskip(SKIP_1) | instid1(VALU_DEP_2)
	v_add_co_u32 v1, vcc_lo, v1, 0
	s_waitcnt lgkmcnt(0)
	v_add_co_ci_u32_e32 v2, vcc_lo, v2, v5, vcc_lo
.LBB97_104:
	s_or_b32 exec_lo, exec_lo, s1
	s_delay_alu instid0(SALU_CYCLE_1)
	s_mov_b32 s1, exec_lo
	v_cmpx_eq_u32_e32 0, v3
	s_cbranch_execz .LBB97_106
; %bb.105:
	v_lshrrev_b32_e32 v4, 2, v0
	s_delay_alu instid0(VALU_DEP_1)
	v_and_b32_e32 v4, 56, v4
	ds_store_b64 v4, v[1:2] offset:320
.LBB97_106:
	s_or_b32 exec_lo, exec_lo, s1
	s_delay_alu instid0(SALU_CYCLE_1)
	s_mov_b32 s1, exec_lo
	s_waitcnt lgkmcnt(0)
	s_barrier
	buffer_gl0_inv
	v_cmpx_gt_u32_e32 8, v0
	s_cbranch_execz .LBB97_114
; %bb.107:
	v_lshlrev_b32_e32 v1, 3, v3
	s_add_i32 s0, s0, 31
	s_delay_alu instid0(SALU_CYCLE_1) | instskip(SKIP_2) | instid1(VALU_DEP_1)
	s_lshr_b32 s0, s0, 5
	ds_load_b64 v[1:2], v1 offset:320
	v_and_b32_e32 v4, 7, v3
	v_cmp_ne_u32_e32 vcc_lo, 7, v4
	v_add_co_ci_u32_e32 v5, vcc_lo, 0, v3, vcc_lo
	s_delay_alu instid0(VALU_DEP_1) | instskip(SKIP_4) | instid1(VALU_DEP_1)
	v_lshlrev_b32_e32 v5, 2, v5
	s_waitcnt lgkmcnt(0)
	ds_bpermute_b32 v7, v5, v1
	ds_bpermute_b32 v6, v5, v2
	v_add_nc_u32_e32 v5, 1, v4
	v_cmp_gt_u32_e32 vcc_lo, s0, v5
	v_mov_b32_e32 v5, v1
	s_and_saveexec_b32 s2, vcc_lo
	s_cbranch_execz .LBB97_109
; %bb.108:
	s_waitcnt lgkmcnt(1)
	v_add_co_u32 v5, vcc_lo, v1, v7
	v_add_co_ci_u32_e32 v2, vcc_lo, 0, v2, vcc_lo
	s_delay_alu instid0(VALU_DEP_2) | instskip(SKIP_1) | instid1(VALU_DEP_2)
	v_add_co_u32 v1, vcc_lo, 0, v5
	s_waitcnt lgkmcnt(0)
	v_add_co_ci_u32_e32 v2, vcc_lo, v6, v2, vcc_lo
.LBB97_109:
	s_or_b32 exec_lo, exec_lo, s2
	v_cmp_gt_u32_e32 vcc_lo, 6, v4
	v_add_nc_u32_e32 v8, 2, v4
	s_mov_b32 s2, exec_lo
	s_waitcnt lgkmcnt(0)
	v_cndmask_b32_e64 v6, 0, 1, vcc_lo
	s_delay_alu instid0(VALU_DEP_1) | instskip(NEXT) | instid1(VALU_DEP_1)
	v_lshlrev_b32_e32 v6, 1, v6
	v_add_lshl_u32 v6, v6, v3, 2
	ds_bpermute_b32 v7, v6, v5
	ds_bpermute_b32 v6, v6, v2
	v_cmpx_gt_u32_e64 s0, v8
	s_cbranch_execz .LBB97_111
; %bb.110:
	s_waitcnt lgkmcnt(1)
	v_add_co_u32 v5, vcc_lo, v1, v7
	v_add_co_ci_u32_e32 v2, vcc_lo, 0, v2, vcc_lo
	s_delay_alu instid0(VALU_DEP_2) | instskip(SKIP_1) | instid1(VALU_DEP_2)
	v_add_co_u32 v1, vcc_lo, 0, v5
	s_waitcnt lgkmcnt(0)
	v_add_co_ci_u32_e32 v2, vcc_lo, v6, v2, vcc_lo
.LBB97_111:
	s_or_b32 exec_lo, exec_lo, s2
	v_cmp_gt_u32_e32 vcc_lo, 4, v4
	v_add_nc_u32_e32 v4, 4, v4
	s_waitcnt lgkmcnt(0)
	v_cndmask_b32_e64 v6, 0, 1, vcc_lo
	s_delay_alu instid0(VALU_DEP_2) | instskip(NEXT) | instid1(VALU_DEP_2)
	v_cmp_gt_u32_e32 vcc_lo, s0, v4
	v_lshlrev_b32_e32 v6, 2, v6
	s_delay_alu instid0(VALU_DEP_1)
	v_add_lshl_u32 v3, v6, v3, 2
	ds_bpermute_b32 v5, v3, v5
	ds_bpermute_b32 v3, v3, v2
	s_and_saveexec_b32 s0, vcc_lo
	s_cbranch_execz .LBB97_113
; %bb.112:
	s_waitcnt lgkmcnt(1)
	v_add_co_u32 v1, vcc_lo, v1, v5
	v_add_co_ci_u32_e32 v2, vcc_lo, 0, v2, vcc_lo
	s_delay_alu instid0(VALU_DEP_2) | instskip(SKIP_1) | instid1(VALU_DEP_2)
	v_add_co_u32 v1, vcc_lo, v1, 0
	s_waitcnt lgkmcnt(0)
	v_add_co_ci_u32_e32 v2, vcc_lo, v2, v3, vcc_lo
.LBB97_113:
	s_or_b32 exec_lo, exec_lo, s0
.LBB97_114:
	s_delay_alu instid0(SALU_CYCLE_1)
	s_or_b32 exec_lo, exec_lo, s1
.LBB97_115:
	v_cmp_eq_u32_e64 s0, 0, v0
.LBB97_116:
	s_branch .LBB97_155
.LBB97_117:
	s_cmp_eq_u32 s26, 4
                                        ; implicit-def: $vgpr1_vgpr2
	s_cbranch_scc0 .LBB97_155
; %bb.118:
	s_mov_b32 s15, 0
	s_lshl_b32 s0, s14, 10
	s_mov_b32 s1, s15
	s_lshr_b64 s[4:5], s[18:19], 10
	s_lshl_b64 s[2:3], s[0:1], 3
	s_delay_alu instid0(SALU_CYCLE_1)
	s_add_u32 s2, s16, s2
	s_addc_u32 s3, s17, s3
	s_cmp_lg_u64 s[4:5], s[14:15]
	s_cbranch_scc0 .LBB97_124
; %bb.119:
	s_waitcnt lgkmcnt(1)
	v_lshlrev_b32_e32 v5, 3, v0
	s_delay_alu instid0(VALU_DEP_1) | instskip(NEXT) | instid1(VALU_DEP_1)
	v_add_co_u32 v1, s1, s2, v5
	v_add_co_ci_u32_e64 v2, null, s3, 0, s1
	s_mov_b32 s1, exec_lo
	s_delay_alu instid0(VALU_DEP_2) | instskip(NEXT) | instid1(VALU_DEP_2)
	v_add_co_u32 v1, vcc_lo, 0x1000, v1
	v_add_co_ci_u32_e32 v2, vcc_lo, 0, v2, vcc_lo
	s_waitcnt lgkmcnt(0)
	s_clause 0x3
	global_load_b64 v[3:4], v5, s[2:3]
	global_load_b64 v[5:6], v5, s[2:3] offset:2048
	global_load_b64 v[7:8], v[1:2], off
	global_load_b64 v[1:2], v[1:2], off offset:2048
	s_waitcnt vmcnt(2)
	v_add_co_u32 v3, vcc_lo, v5, v3
	v_add_co_ci_u32_e32 v4, vcc_lo, v6, v4, vcc_lo
	s_waitcnt vmcnt(1)
	s_delay_alu instid0(VALU_DEP_2) | instskip(NEXT) | instid1(VALU_DEP_2)
	v_add_co_u32 v3, vcc_lo, v3, v7
	v_add_co_ci_u32_e32 v4, vcc_lo, v4, v8, vcc_lo
	s_waitcnt vmcnt(0)
	s_delay_alu instid0(VALU_DEP_2) | instskip(NEXT) | instid1(VALU_DEP_2)
	v_add_co_u32 v1, vcc_lo, v3, v1
	v_add_co_ci_u32_e32 v2, vcc_lo, v4, v2, vcc_lo
	s_delay_alu instid0(VALU_DEP_2) | instskip(NEXT) | instid1(VALU_DEP_1)
	v_mov_b32_dpp v3, v1 quad_perm:[1,0,3,2] row_mask:0xf bank_mask:0xf
	v_add_co_u32 v1, vcc_lo, v1, v3
	s_delay_alu instid0(VALU_DEP_3) | instskip(SKIP_1) | instid1(VALU_DEP_3)
	v_mov_b32_dpp v3, v2 quad_perm:[1,0,3,2] row_mask:0xf bank_mask:0xf
	v_add_co_ci_u32_e32 v2, vcc_lo, 0, v2, vcc_lo
	v_mov_b32_dpp v4, v1 quad_perm:[2,3,0,1] row_mask:0xf bank_mask:0xf
	v_add_co_u32 v1, vcc_lo, 0, v1
	s_delay_alu instid0(VALU_DEP_3) | instskip(NEXT) | instid1(VALU_DEP_2)
	v_add_co_ci_u32_e32 v2, vcc_lo, v3, v2, vcc_lo
	v_add_co_u32 v1, vcc_lo, v1, v4
	s_delay_alu instid0(VALU_DEP_2) | instskip(SKIP_1) | instid1(VALU_DEP_3)
	v_mov_b32_dpp v3, v2 quad_perm:[2,3,0,1] row_mask:0xf bank_mask:0xf
	v_add_co_ci_u32_e32 v2, vcc_lo, 0, v2, vcc_lo
	v_mov_b32_dpp v4, v1 row_ror:4 row_mask:0xf bank_mask:0xf
	v_add_co_u32 v1, vcc_lo, v1, 0
	s_delay_alu instid0(VALU_DEP_3) | instskip(NEXT) | instid1(VALU_DEP_2)
	v_add_co_ci_u32_e32 v2, vcc_lo, v2, v3, vcc_lo
	v_add_co_u32 v1, vcc_lo, v1, v4
	s_delay_alu instid0(VALU_DEP_2) | instskip(SKIP_1) | instid1(VALU_DEP_3)
	v_mov_b32_dpp v3, v2 row_ror:4 row_mask:0xf bank_mask:0xf
	v_add_co_ci_u32_e32 v2, vcc_lo, 0, v2, vcc_lo
	v_mov_b32_dpp v4, v1 row_ror:8 row_mask:0xf bank_mask:0xf
	v_add_co_u32 v1, vcc_lo, v1, 0
	s_delay_alu instid0(VALU_DEP_3) | instskip(NEXT) | instid1(VALU_DEP_2)
	v_add_co_ci_u32_e32 v2, vcc_lo, v2, v3, vcc_lo
	v_add_co_u32 v1, vcc_lo, v1, v4
	s_delay_alu instid0(VALU_DEP_2)
	v_mov_b32_dpp v3, v2 row_ror:8 row_mask:0xf bank_mask:0xf
	v_add_co_ci_u32_e32 v2, vcc_lo, 0, v2, vcc_lo
	ds_swizzle_b32 v4, v1 offset:swizzle(BROADCAST,32,15)
	v_add_co_u32 v1, vcc_lo, v1, 0
	v_add_co_ci_u32_e32 v2, vcc_lo, v2, v3, vcc_lo
	ds_swizzle_b32 v3, v2 offset:swizzle(BROADCAST,32,15)
	s_waitcnt lgkmcnt(1)
	v_add_co_u32 v1, vcc_lo, v1, v4
	v_mov_b32_e32 v4, 0
	v_add_co_ci_u32_e32 v2, vcc_lo, 0, v2, vcc_lo
	ds_bpermute_b32 v1, v4, v1 offset:124
	s_waitcnt lgkmcnt(1)
	v_add_nc_u32_e32 v2, v3, v2
	v_mbcnt_lo_u32_b32 v3, -1, 0
	ds_bpermute_b32 v2, v4, v2 offset:124
	v_cmpx_eq_u32_e32 0, v3
	s_cbranch_execz .LBB97_121
; %bb.120:
	v_lshrrev_b32_e32 v4, 2, v0
	s_delay_alu instid0(VALU_DEP_1)
	v_and_b32_e32 v4, 56, v4
	s_waitcnt lgkmcnt(0)
	ds_store_b64 v4, v[1:2] offset:192
.LBB97_121:
	s_or_b32 exec_lo, exec_lo, s1
	s_delay_alu instid0(SALU_CYCLE_1)
	s_mov_b32 s1, exec_lo
	s_waitcnt lgkmcnt(0)
	s_barrier
	buffer_gl0_inv
	v_cmpx_gt_u32_e32 32, v0
	s_cbranch_execz .LBB97_123
; %bb.122:
	v_lshl_or_b32 v1, v3, 3, 0xc0
	v_and_b32_e32 v4, 7, v3
	ds_load_b64 v[1:2], v1
	v_cmp_ne_u32_e32 vcc_lo, 7, v4
	v_add_co_ci_u32_e32 v5, vcc_lo, 0, v3, vcc_lo
	v_cmp_gt_u32_e32 vcc_lo, 6, v4
	s_delay_alu instid0(VALU_DEP_2) | instskip(SKIP_1) | instid1(VALU_DEP_1)
	v_lshlrev_b32_e32 v5, 2, v5
	v_cndmask_b32_e64 v7, 0, 1, vcc_lo
	v_lshlrev_b32_e32 v7, 1, v7
	s_waitcnt lgkmcnt(0)
	ds_bpermute_b32 v6, v5, v1
	ds_bpermute_b32 v5, v5, v2
	v_add_lshl_u32 v7, v7, v3, 2
	s_waitcnt lgkmcnt(1)
	v_add_co_u32 v1, vcc_lo, v1, v6
	v_add_co_ci_u32_e32 v2, vcc_lo, 0, v2, vcc_lo
	ds_bpermute_b32 v6, v7, v1
	v_add_co_u32 v1, vcc_lo, 0, v1
	s_waitcnt lgkmcnt(1)
	v_add_co_ci_u32_e32 v2, vcc_lo, v5, v2, vcc_lo
	v_cmp_gt_u32_e32 vcc_lo, 4, v4
	ds_bpermute_b32 v5, v7, v2
	v_cndmask_b32_e64 v4, 0, 1, vcc_lo
	s_delay_alu instid0(VALU_DEP_1) | instskip(NEXT) | instid1(VALU_DEP_1)
	v_lshlrev_b32_e32 v4, 2, v4
	v_add_lshl_u32 v3, v4, v3, 2
	s_waitcnt lgkmcnt(1)
	v_add_co_u32 v1, vcc_lo, v1, v6
	v_add_co_ci_u32_e32 v2, vcc_lo, 0, v2, vcc_lo
	ds_bpermute_b32 v4, v3, v1
	v_add_co_u32 v1, vcc_lo, v1, 0
	s_waitcnt lgkmcnt(1)
	v_add_co_ci_u32_e32 v2, vcc_lo, v2, v5, vcc_lo
	ds_bpermute_b32 v3, v3, v2
	s_waitcnt lgkmcnt(1)
	v_add_co_u32 v1, vcc_lo, v1, v4
	v_add_co_ci_u32_e32 v2, vcc_lo, 0, v2, vcc_lo
	s_delay_alu instid0(VALU_DEP_2) | instskip(SKIP_1) | instid1(VALU_DEP_2)
	v_add_co_u32 v1, vcc_lo, v1, 0
	s_waitcnt lgkmcnt(0)
	v_add_co_ci_u32_e32 v2, vcc_lo, v2, v3, vcc_lo
.LBB97_123:
	s_or_b32 exec_lo, exec_lo, s1
	s_branch .LBB97_154
.LBB97_124:
                                        ; implicit-def: $vgpr1_vgpr2
	s_cbranch_execz .LBB97_154
; %bb.125:
	s_sub_i32 s4, s18, s0
	s_mov_b32 s0, exec_lo
                                        ; implicit-def: $vgpr1_vgpr2_vgpr3_vgpr4_vgpr5_vgpr6_vgpr7_vgpr8
	v_cmpx_gt_u32_e64 s4, v0
	s_cbranch_execz .LBB97_127
; %bb.126:
	v_lshlrev_b32_e32 v1, 3, v0
	global_load_b64 v[1:2], v1, s[2:3]
.LBB97_127:
	s_or_b32 exec_lo, exec_lo, s0
	v_or_b32_e32 v9, 0x100, v0
	s_delay_alu instid0(VALU_DEP_1)
	v_cmp_gt_u32_e32 vcc_lo, s4, v9
	s_and_saveexec_b32 s0, vcc_lo
	s_cbranch_execz .LBB97_129
; %bb.128:
	s_waitcnt lgkmcnt(0)
	v_lshlrev_b32_e32 v3, 3, v0
	global_load_b64 v[3:4], v3, s[2:3] offset:2048
.LBB97_129:
	s_or_b32 exec_lo, exec_lo, s0
	v_or_b32_e32 v9, 0x200, v0
	s_delay_alu instid0(VALU_DEP_1) | instskip(NEXT) | instid1(VALU_DEP_1)
	v_cmp_gt_u32_e64 s0, s4, v9
	s_and_saveexec_b32 s1, s0
	s_cbranch_execz .LBB97_131
; %bb.130:
	s_waitcnt lgkmcnt(1)
	v_lshlrev_b32_e32 v5, 3, v9
	global_load_b64 v[5:6], v5, s[2:3]
.LBB97_131:
	s_or_b32 exec_lo, exec_lo, s1
	v_or_b32_e32 v9, 0x300, v0
	s_delay_alu instid0(VALU_DEP_1) | instskip(NEXT) | instid1(VALU_DEP_1)
	v_cmp_gt_u32_e64 s1, s4, v9
	s_and_saveexec_b32 s5, s1
	s_cbranch_execz .LBB97_133
; %bb.132:
	v_lshlrev_b32_e32 v7, 3, v9
	global_load_b64 v[7:8], v7, s[2:3]
.LBB97_133:
	s_or_b32 exec_lo, exec_lo, s5
	s_waitcnt vmcnt(0) lgkmcnt(0)
	v_dual_cndmask_b32 v9, 0, v3 :: v_dual_cndmask_b32 v4, 0, v4
	v_mbcnt_lo_u32_b32 v3, -1, 0
	v_cndmask_b32_e64 v5, 0, v5, s0
	s_delay_alu instid0(VALU_DEP_3) | instskip(NEXT) | instid1(VALU_DEP_4)
	v_add_co_u32 v1, vcc_lo, v9, v1
	v_add_co_ci_u32_e32 v2, vcc_lo, v4, v2, vcc_lo
	s_delay_alu instid0(VALU_DEP_4)
	v_cmp_ne_u32_e32 vcc_lo, 31, v3
	v_cndmask_b32_e64 v4, 0, v6, s0
	v_cndmask_b32_e64 v6, 0, v7, s1
	s_min_u32 s0, s4, 0x100
	v_add_co_ci_u32_e32 v7, vcc_lo, 0, v3, vcc_lo
	v_add_co_u32 v1, vcc_lo, v1, v5
	v_add_co_ci_u32_e32 v2, vcc_lo, v2, v4, vcc_lo
	v_cndmask_b32_e64 v4, 0, v8, s1
	s_delay_alu instid0(VALU_DEP_3) | instskip(SKIP_1) | instid1(VALU_DEP_3)
	v_add_co_u32 v1, vcc_lo, v1, v6
	v_lshlrev_b32_e32 v5, 2, v7
	v_add_co_ci_u32_e32 v2, vcc_lo, v2, v4, vcc_lo
	v_and_b32_e32 v4, 0xe0, v0
	ds_bpermute_b32 v7, v5, v1
	ds_bpermute_b32 v6, v5, v2
	v_add_nc_u32_e32 v5, 1, v3
	v_sub_nc_u32_e64 v4, s0, v4 clamp
	s_delay_alu instid0(VALU_DEP_1)
	v_cmp_lt_u32_e32 vcc_lo, v5, v4
	v_mov_b32_e32 v5, v1
	s_and_saveexec_b32 s1, vcc_lo
	s_cbranch_execz .LBB97_135
; %bb.134:
	s_waitcnt lgkmcnt(1)
	v_add_co_u32 v5, vcc_lo, v1, v7
	v_add_co_ci_u32_e32 v2, vcc_lo, 0, v2, vcc_lo
	s_delay_alu instid0(VALU_DEP_2) | instskip(SKIP_1) | instid1(VALU_DEP_2)
	v_add_co_u32 v1, vcc_lo, v5, 0
	s_waitcnt lgkmcnt(0)
	v_add_co_ci_u32_e32 v2, vcc_lo, v2, v6, vcc_lo
.LBB97_135:
	s_or_b32 exec_lo, exec_lo, s1
	v_cmp_gt_u32_e32 vcc_lo, 30, v3
	v_add_nc_u32_e32 v8, 2, v3
	s_mov_b32 s1, exec_lo
	s_waitcnt lgkmcnt(0)
	v_cndmask_b32_e64 v6, 0, 1, vcc_lo
	s_delay_alu instid0(VALU_DEP_1) | instskip(NEXT) | instid1(VALU_DEP_1)
	v_lshlrev_b32_e32 v6, 1, v6
	v_add_lshl_u32 v6, v6, v3, 2
	ds_bpermute_b32 v7, v6, v5
	ds_bpermute_b32 v6, v6, v2
	v_cmpx_lt_u32_e64 v8, v4
	s_cbranch_execz .LBB97_137
; %bb.136:
	s_waitcnt lgkmcnt(1)
	v_add_co_u32 v5, vcc_lo, v1, v7
	v_add_co_ci_u32_e32 v2, vcc_lo, 0, v2, vcc_lo
	s_delay_alu instid0(VALU_DEP_2) | instskip(SKIP_1) | instid1(VALU_DEP_2)
	v_add_co_u32 v1, vcc_lo, 0, v5
	s_waitcnt lgkmcnt(0)
	v_add_co_ci_u32_e32 v2, vcc_lo, v6, v2, vcc_lo
.LBB97_137:
	s_or_b32 exec_lo, exec_lo, s1
	v_cmp_gt_u32_e32 vcc_lo, 28, v3
	v_add_nc_u32_e32 v8, 4, v3
	s_mov_b32 s1, exec_lo
	s_waitcnt lgkmcnt(0)
	v_cndmask_b32_e64 v6, 0, 1, vcc_lo
	s_delay_alu instid0(VALU_DEP_1) | instskip(NEXT) | instid1(VALU_DEP_1)
	v_lshlrev_b32_e32 v6, 2, v6
	v_add_lshl_u32 v6, v6, v3, 2
	ds_bpermute_b32 v7, v6, v5
	ds_bpermute_b32 v6, v6, v2
	v_cmpx_lt_u32_e64 v8, v4
	;; [unrolled: 22-line block ×3, first 2 shown]
	s_cbranch_execz .LBB97_141
; %bb.140:
	s_waitcnt lgkmcnt(1)
	v_add_co_u32 v5, vcc_lo, v1, v7
	v_add_co_ci_u32_e32 v2, vcc_lo, 0, v2, vcc_lo
	s_delay_alu instid0(VALU_DEP_2) | instskip(SKIP_1) | instid1(VALU_DEP_2)
	v_add_co_u32 v1, vcc_lo, 0, v5
	s_waitcnt lgkmcnt(0)
	v_add_co_ci_u32_e32 v2, vcc_lo, v6, v2, vcc_lo
.LBB97_141:
	s_or_b32 exec_lo, exec_lo, s1
	v_cmp_gt_u32_e32 vcc_lo, 16, v3
	s_mov_b32 s1, exec_lo
	s_waitcnt lgkmcnt(0)
	v_cndmask_b32_e64 v6, 0, 1, vcc_lo
	s_delay_alu instid0(VALU_DEP_1) | instskip(NEXT) | instid1(VALU_DEP_1)
	v_lshlrev_b32_e32 v6, 4, v6
	v_add_lshl_u32 v7, v6, v3, 2
	ds_bpermute_b32 v6, v7, v5
	ds_bpermute_b32 v5, v7, v2
	v_add_nc_u32_e32 v7, 16, v3
	s_delay_alu instid0(VALU_DEP_1)
	v_cmpx_lt_u32_e64 v7, v4
	s_cbranch_execz .LBB97_143
; %bb.142:
	s_waitcnt lgkmcnt(1)
	v_add_co_u32 v1, vcc_lo, v1, v6
	v_add_co_ci_u32_e32 v2, vcc_lo, 0, v2, vcc_lo
	s_delay_alu instid0(VALU_DEP_2) | instskip(SKIP_1) | instid1(VALU_DEP_2)
	v_add_co_u32 v1, vcc_lo, v1, 0
	s_waitcnt lgkmcnt(0)
	v_add_co_ci_u32_e32 v2, vcc_lo, v2, v5, vcc_lo
.LBB97_143:
	s_or_b32 exec_lo, exec_lo, s1
	s_delay_alu instid0(SALU_CYCLE_1)
	s_mov_b32 s1, exec_lo
	v_cmpx_eq_u32_e32 0, v3
	s_cbranch_execz .LBB97_145
; %bb.144:
	v_lshrrev_b32_e32 v4, 2, v0
	s_delay_alu instid0(VALU_DEP_1)
	v_and_b32_e32 v4, 56, v4
	ds_store_b64 v4, v[1:2] offset:320
.LBB97_145:
	s_or_b32 exec_lo, exec_lo, s1
	s_delay_alu instid0(SALU_CYCLE_1)
	s_mov_b32 s1, exec_lo
	s_waitcnt lgkmcnt(0)
	s_barrier
	buffer_gl0_inv
	v_cmpx_gt_u32_e32 8, v0
	s_cbranch_execz .LBB97_153
; %bb.146:
	v_lshlrev_b32_e32 v1, 3, v3
	s_add_i32 s0, s0, 31
	s_delay_alu instid0(SALU_CYCLE_1) | instskip(SKIP_2) | instid1(VALU_DEP_1)
	s_lshr_b32 s0, s0, 5
	ds_load_b64 v[1:2], v1 offset:320
	v_and_b32_e32 v4, 7, v3
	v_cmp_ne_u32_e32 vcc_lo, 7, v4
	v_add_co_ci_u32_e32 v5, vcc_lo, 0, v3, vcc_lo
	s_delay_alu instid0(VALU_DEP_1) | instskip(SKIP_4) | instid1(VALU_DEP_1)
	v_lshlrev_b32_e32 v5, 2, v5
	s_waitcnt lgkmcnt(0)
	ds_bpermute_b32 v7, v5, v1
	ds_bpermute_b32 v6, v5, v2
	v_add_nc_u32_e32 v5, 1, v4
	v_cmp_gt_u32_e32 vcc_lo, s0, v5
	v_mov_b32_e32 v5, v1
	s_and_saveexec_b32 s2, vcc_lo
	s_cbranch_execz .LBB97_148
; %bb.147:
	s_waitcnt lgkmcnt(1)
	v_add_co_u32 v5, vcc_lo, v1, v7
	v_add_co_ci_u32_e32 v2, vcc_lo, 0, v2, vcc_lo
	s_delay_alu instid0(VALU_DEP_2) | instskip(SKIP_1) | instid1(VALU_DEP_2)
	v_add_co_u32 v1, vcc_lo, 0, v5
	s_waitcnt lgkmcnt(0)
	v_add_co_ci_u32_e32 v2, vcc_lo, v6, v2, vcc_lo
.LBB97_148:
	s_or_b32 exec_lo, exec_lo, s2
	v_cmp_gt_u32_e32 vcc_lo, 6, v4
	v_add_nc_u32_e32 v8, 2, v4
	s_mov_b32 s2, exec_lo
	s_waitcnt lgkmcnt(0)
	v_cndmask_b32_e64 v6, 0, 1, vcc_lo
	s_delay_alu instid0(VALU_DEP_1) | instskip(NEXT) | instid1(VALU_DEP_1)
	v_lshlrev_b32_e32 v6, 1, v6
	v_add_lshl_u32 v6, v6, v3, 2
	ds_bpermute_b32 v7, v6, v5
	ds_bpermute_b32 v6, v6, v2
	v_cmpx_gt_u32_e64 s0, v8
	s_cbranch_execz .LBB97_150
; %bb.149:
	s_waitcnt lgkmcnt(1)
	v_add_co_u32 v5, vcc_lo, v1, v7
	v_add_co_ci_u32_e32 v2, vcc_lo, 0, v2, vcc_lo
	s_delay_alu instid0(VALU_DEP_2) | instskip(SKIP_1) | instid1(VALU_DEP_2)
	v_add_co_u32 v1, vcc_lo, 0, v5
	s_waitcnt lgkmcnt(0)
	v_add_co_ci_u32_e32 v2, vcc_lo, v6, v2, vcc_lo
.LBB97_150:
	s_or_b32 exec_lo, exec_lo, s2
	v_cmp_gt_u32_e32 vcc_lo, 4, v4
	v_add_nc_u32_e32 v4, 4, v4
	s_waitcnt lgkmcnt(0)
	v_cndmask_b32_e64 v6, 0, 1, vcc_lo
	s_delay_alu instid0(VALU_DEP_2) | instskip(NEXT) | instid1(VALU_DEP_2)
	v_cmp_gt_u32_e32 vcc_lo, s0, v4
	v_lshlrev_b32_e32 v6, 2, v6
	s_delay_alu instid0(VALU_DEP_1)
	v_add_lshl_u32 v3, v6, v3, 2
	ds_bpermute_b32 v5, v3, v5
	ds_bpermute_b32 v3, v3, v2
	s_and_saveexec_b32 s0, vcc_lo
	s_cbranch_execz .LBB97_152
; %bb.151:
	s_waitcnt lgkmcnt(1)
	v_add_co_u32 v1, vcc_lo, v1, v5
	v_add_co_ci_u32_e32 v2, vcc_lo, 0, v2, vcc_lo
	s_delay_alu instid0(VALU_DEP_2) | instskip(SKIP_1) | instid1(VALU_DEP_2)
	v_add_co_u32 v1, vcc_lo, v1, 0
	s_waitcnt lgkmcnt(0)
	v_add_co_ci_u32_e32 v2, vcc_lo, v2, v3, vcc_lo
.LBB97_152:
	s_or_b32 exec_lo, exec_lo, s0
.LBB97_153:
	s_delay_alu instid0(SALU_CYCLE_1)
	s_or_b32 exec_lo, exec_lo, s1
.LBB97_154:
	v_cmp_eq_u32_e64 s0, 0, v0
.LBB97_155:
	s_branch .LBB97_201
.LBB97_156:
	s_cmp_gt_i32 s26, 1
	s_cbranch_scc0 .LBB97_165
; %bb.157:
	s_cmp_eq_u32 s26, 2
                                        ; implicit-def: $vgpr1_vgpr2
	s_cbranch_scc0 .LBB97_166
; %bb.158:
	s_mov_b32 s15, 0
	s_lshl_b32 s2, s14, 9
	s_mov_b32 s3, s15
	s_lshr_b64 s[4:5], s[18:19], 9
	s_lshl_b64 s[0:1], s[2:3], 3
	s_delay_alu instid0(SALU_CYCLE_1)
	s_add_u32 s0, s16, s0
	s_addc_u32 s1, s17, s1
	s_cmp_lg_u64 s[4:5], s[14:15]
	s_cbranch_scc0 .LBB97_167
; %bb.159:
	s_waitcnt lgkmcnt(0)
	v_lshlrev_b32_e32 v3, 3, v0
	s_mov_b32 s3, exec_lo
	s_clause 0x1
	global_load_b64 v[1:2], v3, s[0:1]
	global_load_b64 v[3:4], v3, s[0:1] offset:2048
	s_waitcnt vmcnt(0)
	v_add_co_u32 v1, vcc_lo, v3, v1
	v_add_co_ci_u32_e32 v2, vcc_lo, v4, v2, vcc_lo
	s_delay_alu instid0(VALU_DEP_2) | instskip(NEXT) | instid1(VALU_DEP_1)
	v_mov_b32_dpp v3, v1 quad_perm:[1,0,3,2] row_mask:0xf bank_mask:0xf
	v_add_co_u32 v1, vcc_lo, v1, v3
	s_delay_alu instid0(VALU_DEP_3) | instskip(SKIP_1) | instid1(VALU_DEP_3)
	v_mov_b32_dpp v3, v2 quad_perm:[1,0,3,2] row_mask:0xf bank_mask:0xf
	v_add_co_ci_u32_e32 v2, vcc_lo, 0, v2, vcc_lo
	v_mov_b32_dpp v4, v1 quad_perm:[2,3,0,1] row_mask:0xf bank_mask:0xf
	v_add_co_u32 v1, vcc_lo, 0, v1
	s_delay_alu instid0(VALU_DEP_3) | instskip(NEXT) | instid1(VALU_DEP_2)
	v_add_co_ci_u32_e32 v2, vcc_lo, v3, v2, vcc_lo
	v_add_co_u32 v1, vcc_lo, v1, v4
	s_delay_alu instid0(VALU_DEP_2) | instskip(SKIP_1) | instid1(VALU_DEP_3)
	v_mov_b32_dpp v3, v2 quad_perm:[2,3,0,1] row_mask:0xf bank_mask:0xf
	v_add_co_ci_u32_e32 v2, vcc_lo, 0, v2, vcc_lo
	v_mov_b32_dpp v4, v1 row_ror:4 row_mask:0xf bank_mask:0xf
	v_add_co_u32 v1, vcc_lo, v1, 0
	s_delay_alu instid0(VALU_DEP_3) | instskip(NEXT) | instid1(VALU_DEP_2)
	v_add_co_ci_u32_e32 v2, vcc_lo, v2, v3, vcc_lo
	v_add_co_u32 v1, vcc_lo, v1, v4
	s_delay_alu instid0(VALU_DEP_2) | instskip(SKIP_1) | instid1(VALU_DEP_3)
	v_mov_b32_dpp v3, v2 row_ror:4 row_mask:0xf bank_mask:0xf
	v_add_co_ci_u32_e32 v2, vcc_lo, 0, v2, vcc_lo
	v_mov_b32_dpp v4, v1 row_ror:8 row_mask:0xf bank_mask:0xf
	v_add_co_u32 v1, vcc_lo, v1, 0
	s_delay_alu instid0(VALU_DEP_3) | instskip(NEXT) | instid1(VALU_DEP_2)
	v_add_co_ci_u32_e32 v2, vcc_lo, v2, v3, vcc_lo
	v_add_co_u32 v1, vcc_lo, v1, v4
	s_delay_alu instid0(VALU_DEP_2)
	v_mov_b32_dpp v3, v2 row_ror:8 row_mask:0xf bank_mask:0xf
	v_add_co_ci_u32_e32 v2, vcc_lo, 0, v2, vcc_lo
	ds_swizzle_b32 v4, v1 offset:swizzle(BROADCAST,32,15)
	v_add_co_u32 v1, vcc_lo, v1, 0
	v_add_co_ci_u32_e32 v2, vcc_lo, v2, v3, vcc_lo
	ds_swizzle_b32 v3, v2 offset:swizzle(BROADCAST,32,15)
	s_waitcnt lgkmcnt(1)
	v_add_co_u32 v1, vcc_lo, v1, v4
	v_mov_b32_e32 v4, 0
	v_add_co_ci_u32_e32 v2, vcc_lo, 0, v2, vcc_lo
	ds_bpermute_b32 v1, v4, v1 offset:124
	s_waitcnt lgkmcnt(1)
	v_add_nc_u32_e32 v2, v3, v2
	v_mbcnt_lo_u32_b32 v3, -1, 0
	ds_bpermute_b32 v2, v4, v2 offset:124
	v_cmpx_eq_u32_e32 0, v3
	s_cbranch_execz .LBB97_161
; %bb.160:
	v_lshrrev_b32_e32 v4, 2, v0
	s_delay_alu instid0(VALU_DEP_1)
	v_and_b32_e32 v4, 56, v4
	s_waitcnt lgkmcnt(0)
	ds_store_b64 v4, v[1:2] offset:128
.LBB97_161:
	s_or_b32 exec_lo, exec_lo, s3
	s_delay_alu instid0(SALU_CYCLE_1)
	s_mov_b32 s3, exec_lo
	s_waitcnt lgkmcnt(0)
	s_barrier
	buffer_gl0_inv
	v_cmpx_gt_u32_e32 32, v0
	s_cbranch_execz .LBB97_163
; %bb.162:
	v_and_b32_e32 v4, 7, v3
	s_delay_alu instid0(VALU_DEP_1) | instskip(SKIP_4) | instid1(VALU_DEP_2)
	v_lshlrev_b32_e32 v1, 3, v4
	v_cmp_ne_u32_e32 vcc_lo, 7, v4
	ds_load_b64 v[1:2], v1 offset:128
	v_add_co_ci_u32_e32 v5, vcc_lo, 0, v3, vcc_lo
	v_cmp_gt_u32_e32 vcc_lo, 6, v4
	v_lshlrev_b32_e32 v5, 2, v5
	v_cndmask_b32_e64 v7, 0, 1, vcc_lo
	s_delay_alu instid0(VALU_DEP_1) | instskip(NEXT) | instid1(VALU_DEP_1)
	v_lshlrev_b32_e32 v7, 1, v7
	v_add_lshl_u32 v7, v7, v3, 2
	s_waitcnt lgkmcnt(0)
	ds_bpermute_b32 v6, v5, v1
	ds_bpermute_b32 v5, v5, v2
	s_waitcnt lgkmcnt(1)
	v_add_co_u32 v1, vcc_lo, v1, v6
	v_add_co_ci_u32_e32 v2, vcc_lo, 0, v2, vcc_lo
	ds_bpermute_b32 v6, v7, v1
	v_add_co_u32 v1, vcc_lo, 0, v1
	s_waitcnt lgkmcnt(1)
	v_add_co_ci_u32_e32 v2, vcc_lo, v5, v2, vcc_lo
	v_cmp_gt_u32_e32 vcc_lo, 4, v4
	ds_bpermute_b32 v5, v7, v2
	v_cndmask_b32_e64 v4, 0, 1, vcc_lo
	s_delay_alu instid0(VALU_DEP_1) | instskip(NEXT) | instid1(VALU_DEP_1)
	v_lshlrev_b32_e32 v4, 2, v4
	v_add_lshl_u32 v3, v4, v3, 2
	s_waitcnt lgkmcnt(1)
	v_add_co_u32 v1, vcc_lo, v1, v6
	v_add_co_ci_u32_e32 v2, vcc_lo, 0, v2, vcc_lo
	ds_bpermute_b32 v4, v3, v1
	v_add_co_u32 v1, vcc_lo, v1, 0
	s_waitcnt lgkmcnt(1)
	v_add_co_ci_u32_e32 v2, vcc_lo, v2, v5, vcc_lo
	ds_bpermute_b32 v3, v3, v2
	s_waitcnt lgkmcnt(1)
	v_add_co_u32 v1, vcc_lo, v1, v4
	v_add_co_ci_u32_e32 v2, vcc_lo, 0, v2, vcc_lo
	s_delay_alu instid0(VALU_DEP_2) | instskip(SKIP_1) | instid1(VALU_DEP_2)
	v_add_co_u32 v1, vcc_lo, v1, 0
	s_waitcnt lgkmcnt(0)
	v_add_co_ci_u32_e32 v2, vcc_lo, v2, v3, vcc_lo
.LBB97_163:
	s_or_b32 exec_lo, exec_lo, s3
.LBB97_164:
	v_cmp_eq_u32_e64 s0, 0, v0
	s_branch .LBB97_201
.LBB97_165:
                                        ; implicit-def: $vgpr1_vgpr2
	s_cbranch_execnz .LBB97_193
	s_branch .LBB97_201
.LBB97_166:
	s_branch .LBB97_201
.LBB97_167:
                                        ; implicit-def: $vgpr1_vgpr2
	s_cbranch_execz .LBB97_164
; %bb.168:
	s_sub_i32 s2, s18, s2
	s_mov_b32 s3, exec_lo
                                        ; implicit-def: $vgpr1_vgpr2_vgpr3_vgpr4
	v_cmpx_gt_u32_e64 s2, v0
	s_cbranch_execz .LBB97_170
; %bb.169:
	v_lshlrev_b32_e32 v1, 3, v0
	global_load_b64 v[1:2], v1, s[0:1]
.LBB97_170:
	s_or_b32 exec_lo, exec_lo, s3
	s_waitcnt lgkmcnt(1)
	v_or_b32_e32 v5, 0x100, v0
	s_delay_alu instid0(VALU_DEP_1)
	v_cmp_gt_u32_e32 vcc_lo, s2, v5
	s_and_saveexec_b32 s3, vcc_lo
	s_cbranch_execz .LBB97_172
; %bb.171:
	s_waitcnt lgkmcnt(0)
	v_lshlrev_b32_e32 v3, 3, v0
	global_load_b64 v[3:4], v3, s[0:1] offset:2048
.LBB97_172:
	s_or_b32 exec_lo, exec_lo, s3
	v_mbcnt_lo_u32_b32 v5, -1, 0
	s_waitcnt vmcnt(0) lgkmcnt(0)
	v_dual_cndmask_b32 v3, 0, v3 :: v_dual_cndmask_b32 v4, 0, v4
	s_delay_alu instid0(VALU_DEP_2) | instskip(NEXT) | instid1(VALU_DEP_2)
	v_cmp_ne_u32_e64 s0, 31, v5
	v_add_co_u32 v1, vcc_lo, v3, v1
	s_delay_alu instid0(VALU_DEP_3) | instskip(NEXT) | instid1(VALU_DEP_3)
	v_add_co_ci_u32_e32 v2, vcc_lo, v4, v2, vcc_lo
	v_add_co_ci_u32_e64 v6, s0, 0, v5, s0
	v_and_b32_e32 v3, 0xe0, v0
	s_min_u32 s0, s2, 0x100
	v_add_nc_u32_e32 v4, 1, v5
	s_delay_alu instid0(VALU_DEP_3) | instskip(NEXT) | instid1(VALU_DEP_3)
	v_lshlrev_b32_e32 v6, 2, v6
	v_sub_nc_u32_e64 v3, s0, v3 clamp
	ds_bpermute_b32 v7, v6, v1
	ds_bpermute_b32 v6, v6, v2
	v_cmp_lt_u32_e32 vcc_lo, v4, v3
	v_mov_b32_e32 v4, v1
	s_and_saveexec_b32 s1, vcc_lo
	s_cbranch_execz .LBB97_174
; %bb.173:
	s_waitcnt lgkmcnt(1)
	v_add_co_u32 v4, vcc_lo, v1, v7
	v_add_co_ci_u32_e32 v2, vcc_lo, 0, v2, vcc_lo
	s_delay_alu instid0(VALU_DEP_2) | instskip(SKIP_1) | instid1(VALU_DEP_2)
	v_add_co_u32 v1, vcc_lo, 0, v4
	s_waitcnt lgkmcnt(0)
	v_add_co_ci_u32_e32 v2, vcc_lo, v6, v2, vcc_lo
.LBB97_174:
	s_or_b32 exec_lo, exec_lo, s1
	v_cmp_gt_u32_e32 vcc_lo, 30, v5
	v_add_nc_u32_e32 v8, 2, v5
	s_mov_b32 s1, exec_lo
	s_waitcnt lgkmcnt(0)
	v_cndmask_b32_e64 v6, 0, 1, vcc_lo
	s_delay_alu instid0(VALU_DEP_1) | instskip(NEXT) | instid1(VALU_DEP_1)
	v_lshlrev_b32_e32 v6, 1, v6
	v_add_lshl_u32 v6, v6, v5, 2
	ds_bpermute_b32 v7, v6, v4
	ds_bpermute_b32 v6, v6, v2
	v_cmpx_lt_u32_e64 v8, v3
	s_cbranch_execz .LBB97_176
; %bb.175:
	s_waitcnt lgkmcnt(1)
	v_add_co_u32 v4, vcc_lo, v1, v7
	v_add_co_ci_u32_e32 v2, vcc_lo, 0, v2, vcc_lo
	s_delay_alu instid0(VALU_DEP_2) | instskip(SKIP_1) | instid1(VALU_DEP_2)
	v_add_co_u32 v1, vcc_lo, 0, v4
	s_waitcnt lgkmcnt(0)
	v_add_co_ci_u32_e32 v2, vcc_lo, v6, v2, vcc_lo
.LBB97_176:
	s_or_b32 exec_lo, exec_lo, s1
	v_cmp_gt_u32_e32 vcc_lo, 28, v5
	v_add_nc_u32_e32 v8, 4, v5
	s_mov_b32 s1, exec_lo
	s_waitcnt lgkmcnt(0)
	v_cndmask_b32_e64 v6, 0, 1, vcc_lo
	s_delay_alu instid0(VALU_DEP_1) | instskip(NEXT) | instid1(VALU_DEP_1)
	v_lshlrev_b32_e32 v6, 2, v6
	v_add_lshl_u32 v6, v6, v5, 2
	ds_bpermute_b32 v7, v6, v4
	ds_bpermute_b32 v6, v6, v2
	v_cmpx_lt_u32_e64 v8, v3
	;; [unrolled: 22-line block ×3, first 2 shown]
	s_cbranch_execz .LBB97_180
; %bb.179:
	s_waitcnt lgkmcnt(1)
	v_add_co_u32 v4, vcc_lo, v1, v7
	v_add_co_ci_u32_e32 v2, vcc_lo, 0, v2, vcc_lo
	s_delay_alu instid0(VALU_DEP_2) | instskip(SKIP_1) | instid1(VALU_DEP_2)
	v_add_co_u32 v1, vcc_lo, 0, v4
	s_waitcnt lgkmcnt(0)
	v_add_co_ci_u32_e32 v2, vcc_lo, v6, v2, vcc_lo
.LBB97_180:
	s_or_b32 exec_lo, exec_lo, s1
	v_cmp_gt_u32_e32 vcc_lo, 16, v5
	s_mov_b32 s1, exec_lo
	s_waitcnt lgkmcnt(0)
	v_cndmask_b32_e64 v6, 0, 1, vcc_lo
	s_delay_alu instid0(VALU_DEP_1) | instskip(NEXT) | instid1(VALU_DEP_1)
	v_lshlrev_b32_e32 v6, 4, v6
	v_add_lshl_u32 v7, v6, v5, 2
	ds_bpermute_b32 v6, v7, v4
	ds_bpermute_b32 v4, v7, v2
	v_add_nc_u32_e32 v7, 16, v5
	s_delay_alu instid0(VALU_DEP_1)
	v_cmpx_lt_u32_e64 v7, v3
	s_cbranch_execz .LBB97_182
; %bb.181:
	s_waitcnt lgkmcnt(1)
	v_add_co_u32 v1, vcc_lo, v1, v6
	v_add_co_ci_u32_e32 v2, vcc_lo, 0, v2, vcc_lo
	s_delay_alu instid0(VALU_DEP_2) | instskip(SKIP_1) | instid1(VALU_DEP_2)
	v_add_co_u32 v1, vcc_lo, v1, 0
	s_waitcnt lgkmcnt(0)
	v_add_co_ci_u32_e32 v2, vcc_lo, v2, v4, vcc_lo
.LBB97_182:
	s_or_b32 exec_lo, exec_lo, s1
	s_delay_alu instid0(SALU_CYCLE_1)
	s_mov_b32 s1, exec_lo
	v_cmpx_eq_u32_e32 0, v5
	s_cbranch_execz .LBB97_184
; %bb.183:
	v_lshrrev_b32_e32 v3, 2, v0
	s_delay_alu instid0(VALU_DEP_1)
	v_and_b32_e32 v3, 56, v3
	ds_store_b64 v3, v[1:2] offset:320
.LBB97_184:
	s_or_b32 exec_lo, exec_lo, s1
	s_delay_alu instid0(SALU_CYCLE_1)
	s_mov_b32 s1, exec_lo
	s_waitcnt lgkmcnt(0)
	s_barrier
	buffer_gl0_inv
	v_cmpx_gt_u32_e32 8, v0
	s_cbranch_execz .LBB97_192
; %bb.185:
	v_lshlrev_b32_e32 v1, 3, v5
	s_add_i32 s0, s0, 31
	s_delay_alu instid0(SALU_CYCLE_1) | instskip(SKIP_2) | instid1(VALU_DEP_1)
	s_lshr_b32 s0, s0, 5
	ds_load_b64 v[1:2], v1 offset:320
	v_and_b32_e32 v3, 7, v5
	v_cmp_ne_u32_e32 vcc_lo, 7, v3
	v_add_co_ci_u32_e32 v4, vcc_lo, 0, v5, vcc_lo
	s_delay_alu instid0(VALU_DEP_1) | instskip(SKIP_4) | instid1(VALU_DEP_1)
	v_lshlrev_b32_e32 v4, 2, v4
	s_waitcnt lgkmcnt(0)
	ds_bpermute_b32 v7, v4, v1
	ds_bpermute_b32 v6, v4, v2
	v_add_nc_u32_e32 v4, 1, v3
	v_cmp_gt_u32_e32 vcc_lo, s0, v4
	v_mov_b32_e32 v4, v1
	s_and_saveexec_b32 s2, vcc_lo
	s_cbranch_execz .LBB97_187
; %bb.186:
	s_waitcnt lgkmcnt(1)
	v_add_co_u32 v4, vcc_lo, v1, v7
	v_add_co_ci_u32_e32 v2, vcc_lo, 0, v2, vcc_lo
	s_delay_alu instid0(VALU_DEP_2) | instskip(SKIP_1) | instid1(VALU_DEP_2)
	v_add_co_u32 v1, vcc_lo, 0, v4
	s_waitcnt lgkmcnt(0)
	v_add_co_ci_u32_e32 v2, vcc_lo, v6, v2, vcc_lo
.LBB97_187:
	s_or_b32 exec_lo, exec_lo, s2
	v_cmp_gt_u32_e32 vcc_lo, 6, v3
	v_add_nc_u32_e32 v8, 2, v3
	s_mov_b32 s2, exec_lo
	s_waitcnt lgkmcnt(0)
	v_cndmask_b32_e64 v6, 0, 1, vcc_lo
	s_delay_alu instid0(VALU_DEP_1) | instskip(NEXT) | instid1(VALU_DEP_1)
	v_lshlrev_b32_e32 v6, 1, v6
	v_add_lshl_u32 v6, v6, v5, 2
	ds_bpermute_b32 v7, v6, v4
	ds_bpermute_b32 v6, v6, v2
	v_cmpx_gt_u32_e64 s0, v8
	s_cbranch_execz .LBB97_189
; %bb.188:
	s_waitcnt lgkmcnt(1)
	v_add_co_u32 v4, vcc_lo, v1, v7
	v_add_co_ci_u32_e32 v2, vcc_lo, 0, v2, vcc_lo
	s_delay_alu instid0(VALU_DEP_2) | instskip(SKIP_1) | instid1(VALU_DEP_2)
	v_add_co_u32 v1, vcc_lo, 0, v4
	s_waitcnt lgkmcnt(0)
	v_add_co_ci_u32_e32 v2, vcc_lo, v6, v2, vcc_lo
.LBB97_189:
	s_or_b32 exec_lo, exec_lo, s2
	v_cmp_gt_u32_e32 vcc_lo, 4, v3
	v_add_nc_u32_e32 v3, 4, v3
	s_waitcnt lgkmcnt(0)
	v_cndmask_b32_e64 v6, 0, 1, vcc_lo
	s_delay_alu instid0(VALU_DEP_2) | instskip(NEXT) | instid1(VALU_DEP_2)
	v_cmp_gt_u32_e32 vcc_lo, s0, v3
	v_lshlrev_b32_e32 v6, 2, v6
	s_delay_alu instid0(VALU_DEP_1)
	v_add_lshl_u32 v6, v6, v5, 2
	ds_bpermute_b32 v5, v6, v4
	ds_bpermute_b32 v4, v6, v2
	s_and_saveexec_b32 s0, vcc_lo
	s_cbranch_execz .LBB97_191
; %bb.190:
	s_waitcnt lgkmcnt(1)
	v_add_co_u32 v1, vcc_lo, v1, v5
	v_add_co_ci_u32_e32 v2, vcc_lo, 0, v2, vcc_lo
	s_delay_alu instid0(VALU_DEP_2) | instskip(SKIP_1) | instid1(VALU_DEP_2)
	v_add_co_u32 v1, vcc_lo, v1, 0
	s_waitcnt lgkmcnt(0)
	v_add_co_ci_u32_e32 v2, vcc_lo, v2, v4, vcc_lo
.LBB97_191:
	s_or_b32 exec_lo, exec_lo, s0
.LBB97_192:
	s_delay_alu instid0(SALU_CYCLE_1)
	s_or_b32 exec_lo, exec_lo, s1
	v_cmp_eq_u32_e64 s0, 0, v0
	s_branch .LBB97_201
.LBB97_193:
	s_cmp_eq_u32 s26, 1
                                        ; implicit-def: $vgpr1_vgpr2
	s_cbranch_scc0 .LBB97_201
; %bb.194:
	s_mov_b32 s1, 0
	s_waitcnt lgkmcnt(0)
	v_mbcnt_lo_u32_b32 v3, -1, 0
	s_lshr_b64 s[2:3], s[18:19], 8
	s_mov_b32 s15, s1
	s_lshl_b32 s0, s14, 8
	s_cmp_lg_u64 s[2:3], s[14:15]
	s_cbranch_scc0 .LBB97_204
; %bb.195:
	s_lshl_b64 s[2:3], s[0:1], 3
	v_lshlrev_b32_e32 v1, 3, v0
	s_add_u32 s2, s16, s2
	s_addc_u32 s3, s17, s3
	global_load_b64 v[1:2], v1, s[2:3]
	s_mov_b32 s2, exec_lo
	s_waitcnt vmcnt(0)
	v_mov_b32_dpp v4, v1 quad_perm:[1,0,3,2] row_mask:0xf bank_mask:0xf
	s_delay_alu instid0(VALU_DEP_1) | instskip(SKIP_2) | instid1(VALU_DEP_3)
	v_add_co_u32 v1, vcc_lo, v1, v4
	v_mov_b32_dpp v4, v2 quad_perm:[1,0,3,2] row_mask:0xf bank_mask:0xf
	v_add_co_ci_u32_e32 v2, vcc_lo, 0, v2, vcc_lo
	v_mov_b32_dpp v5, v1 quad_perm:[2,3,0,1] row_mask:0xf bank_mask:0xf
	v_add_co_u32 v1, vcc_lo, 0, v1
	s_delay_alu instid0(VALU_DEP_3) | instskip(NEXT) | instid1(VALU_DEP_2)
	v_add_co_ci_u32_e32 v2, vcc_lo, v4, v2, vcc_lo
	v_add_co_u32 v1, vcc_lo, v1, v5
	s_delay_alu instid0(VALU_DEP_2) | instskip(SKIP_1) | instid1(VALU_DEP_3)
	v_mov_b32_dpp v4, v2 quad_perm:[2,3,0,1] row_mask:0xf bank_mask:0xf
	v_add_co_ci_u32_e32 v2, vcc_lo, 0, v2, vcc_lo
	v_mov_b32_dpp v5, v1 row_ror:4 row_mask:0xf bank_mask:0xf
	v_add_co_u32 v1, vcc_lo, v1, 0
	s_delay_alu instid0(VALU_DEP_3) | instskip(NEXT) | instid1(VALU_DEP_2)
	v_add_co_ci_u32_e32 v2, vcc_lo, v2, v4, vcc_lo
	v_add_co_u32 v1, vcc_lo, v1, v5
	s_delay_alu instid0(VALU_DEP_2) | instskip(SKIP_1) | instid1(VALU_DEP_3)
	v_mov_b32_dpp v4, v2 row_ror:4 row_mask:0xf bank_mask:0xf
	v_add_co_ci_u32_e32 v2, vcc_lo, 0, v2, vcc_lo
	v_mov_b32_dpp v5, v1 row_ror:8 row_mask:0xf bank_mask:0xf
	v_add_co_u32 v1, vcc_lo, v1, 0
	s_delay_alu instid0(VALU_DEP_3) | instskip(NEXT) | instid1(VALU_DEP_2)
	v_add_co_ci_u32_e32 v2, vcc_lo, v2, v4, vcc_lo
	v_add_co_u32 v1, vcc_lo, v1, v5
	s_delay_alu instid0(VALU_DEP_2)
	v_mov_b32_dpp v4, v2 row_ror:8 row_mask:0xf bank_mask:0xf
	v_add_co_ci_u32_e32 v2, vcc_lo, 0, v2, vcc_lo
	ds_swizzle_b32 v5, v1 offset:swizzle(BROADCAST,32,15)
	v_add_co_u32 v1, vcc_lo, v1, 0
	v_add_co_ci_u32_e32 v2, vcc_lo, v2, v4, vcc_lo
	ds_swizzle_b32 v4, v2 offset:swizzle(BROADCAST,32,15)
	s_waitcnt lgkmcnt(1)
	v_add_co_u32 v1, vcc_lo, v1, v5
	v_add_co_ci_u32_e32 v2, vcc_lo, 0, v2, vcc_lo
	s_waitcnt lgkmcnt(0)
	s_delay_alu instid0(VALU_DEP_1)
	v_dual_mov_b32 v5, 0 :: v_dual_add_nc_u32 v2, v4, v2
	ds_bpermute_b32 v1, v5, v1 offset:124
	ds_bpermute_b32 v2, v5, v2 offset:124
	v_cmpx_eq_u32_e32 0, v3
	s_cbranch_execz .LBB97_197
; %bb.196:
	v_lshrrev_b32_e32 v4, 2, v0
	s_delay_alu instid0(VALU_DEP_1)
	v_and_b32_e32 v4, 56, v4
	s_waitcnt lgkmcnt(0)
	ds_store_b64 v4, v[1:2] offset:64
.LBB97_197:
	s_or_b32 exec_lo, exec_lo, s2
	s_delay_alu instid0(SALU_CYCLE_1)
	s_mov_b32 s2, exec_lo
	s_waitcnt lgkmcnt(0)
	s_barrier
	buffer_gl0_inv
	v_cmpx_gt_u32_e32 32, v0
	s_cbranch_execz .LBB97_199
; %bb.198:
	v_and_b32_e32 v4, 7, v3
	s_delay_alu instid0(VALU_DEP_1) | instskip(SKIP_4) | instid1(VALU_DEP_2)
	v_lshlrev_b32_e32 v1, 3, v4
	v_cmp_ne_u32_e32 vcc_lo, 7, v4
	ds_load_b64 v[1:2], v1 offset:64
	v_add_co_ci_u32_e32 v5, vcc_lo, 0, v3, vcc_lo
	v_cmp_gt_u32_e32 vcc_lo, 6, v4
	v_lshlrev_b32_e32 v5, 2, v5
	v_cndmask_b32_e64 v7, 0, 1, vcc_lo
	s_delay_alu instid0(VALU_DEP_1) | instskip(NEXT) | instid1(VALU_DEP_1)
	v_lshlrev_b32_e32 v7, 1, v7
	v_add_lshl_u32 v7, v7, v3, 2
	s_waitcnt lgkmcnt(0)
	ds_bpermute_b32 v6, v5, v1
	ds_bpermute_b32 v5, v5, v2
	s_waitcnt lgkmcnt(1)
	v_add_co_u32 v1, vcc_lo, v1, v6
	v_add_co_ci_u32_e32 v2, vcc_lo, 0, v2, vcc_lo
	ds_bpermute_b32 v6, v7, v1
	v_add_co_u32 v1, vcc_lo, 0, v1
	s_waitcnt lgkmcnt(1)
	v_add_co_ci_u32_e32 v2, vcc_lo, v5, v2, vcc_lo
	v_cmp_gt_u32_e32 vcc_lo, 4, v4
	ds_bpermute_b32 v5, v7, v2
	v_cndmask_b32_e64 v4, 0, 1, vcc_lo
	s_delay_alu instid0(VALU_DEP_1) | instskip(NEXT) | instid1(VALU_DEP_1)
	v_lshlrev_b32_e32 v4, 2, v4
	v_add_lshl_u32 v4, v4, v3, 2
	s_waitcnt lgkmcnt(1)
	v_add_co_u32 v1, vcc_lo, v1, v6
	v_add_co_ci_u32_e32 v2, vcc_lo, 0, v2, vcc_lo
	ds_bpermute_b32 v6, v4, v1
	v_add_co_u32 v1, vcc_lo, v1, 0
	s_waitcnt lgkmcnt(1)
	v_add_co_ci_u32_e32 v2, vcc_lo, v2, v5, vcc_lo
	ds_bpermute_b32 v4, v4, v2
	s_waitcnt lgkmcnt(1)
	v_add_co_u32 v1, vcc_lo, v1, v6
	v_add_co_ci_u32_e32 v2, vcc_lo, 0, v2, vcc_lo
	s_delay_alu instid0(VALU_DEP_2) | instskip(SKIP_1) | instid1(VALU_DEP_2)
	v_add_co_u32 v1, vcc_lo, v1, 0
	s_waitcnt lgkmcnt(0)
	v_add_co_ci_u32_e32 v2, vcc_lo, v2, v4, vcc_lo
.LBB97_199:
	s_or_b32 exec_lo, exec_lo, s2
.LBB97_200:
	v_cmp_eq_u32_e64 s0, 0, v0
.LBB97_201:
	s_delay_alu instid0(VALU_DEP_1)
	s_and_saveexec_b32 s1, s0
	s_cbranch_execz .LBB97_203
.LBB97_202:
	s_lshl_b64 s[0:1], s[14:15], 3
	s_waitcnt lgkmcnt(0)
	v_mov_b32_e32 v3, 0
	s_add_u32 s0, s20, s0
	s_addc_u32 s1, s21, s1
	s_cmp_lg_u64 s[18:19], 0
	s_cselect_b32 vcc_lo, -1, 0
	v_cndmask_b32_e32 v0, 0, v1, vcc_lo
	v_cndmask_b32_e32 v2, 0, v2, vcc_lo
	s_delay_alu instid0(VALU_DEP_2) | instskip(NEXT) | instid1(VALU_DEP_2)
	v_add_co_u32 v0, vcc_lo, v0, s22
	v_add_co_ci_u32_e32 v1, vcc_lo, s23, v2, vcc_lo
	global_store_b64 v3, v[0:1], s[0:1]
.LBB97_203:
	s_nop 0
	s_sendmsg sendmsg(MSG_DEALLOC_VGPRS)
	s_endpgm
.LBB97_204:
                                        ; implicit-def: $vgpr1_vgpr2
	s_cbranch_execz .LBB97_200
; %bb.205:
	s_sub_i32 s2, s18, s0
	s_mov_b32 s3, exec_lo
                                        ; implicit-def: $vgpr1_vgpr2
	v_cmpx_gt_u32_e64 s2, v0
	s_cbranch_execz .LBB97_207
; %bb.206:
	s_lshl_b64 s[0:1], s[0:1], 3
	v_lshlrev_b32_e32 v1, 3, v0
	s_add_u32 s0, s16, s0
	s_addc_u32 s1, s17, s1
	global_load_b64 v[1:2], v1, s[0:1]
.LBB97_207:
	s_or_b32 exec_lo, exec_lo, s3
	v_cmp_ne_u32_e32 vcc_lo, 31, v3
	s_min_u32 s0, s2, 0x100
	v_add_nc_u32_e32 v5, 1, v3
	v_add_co_ci_u32_e32 v4, vcc_lo, 0, v3, vcc_lo
	s_delay_alu instid0(VALU_DEP_1) | instskip(SKIP_4) | instid1(VALU_DEP_1)
	v_lshlrev_b32_e32 v4, 2, v4
	s_waitcnt vmcnt(0)
	ds_bpermute_b32 v7, v4, v1
	ds_bpermute_b32 v6, v4, v2
	v_and_b32_e32 v4, 0xe0, v0
	v_sub_nc_u32_e64 v4, s0, v4 clamp
	s_delay_alu instid0(VALU_DEP_1)
	v_cmp_lt_u32_e32 vcc_lo, v5, v4
	v_mov_b32_e32 v5, v1
	s_and_saveexec_b32 s1, vcc_lo
	s_cbranch_execz .LBB97_209
; %bb.208:
	s_waitcnt lgkmcnt(1)
	v_add_co_u32 v5, vcc_lo, v1, v7
	v_add_co_ci_u32_e32 v2, vcc_lo, 0, v2, vcc_lo
	s_delay_alu instid0(VALU_DEP_2) | instskip(SKIP_1) | instid1(VALU_DEP_2)
	v_add_co_u32 v1, vcc_lo, 0, v5
	s_waitcnt lgkmcnt(0)
	v_add_co_ci_u32_e32 v2, vcc_lo, v6, v2, vcc_lo
.LBB97_209:
	s_or_b32 exec_lo, exec_lo, s1
	v_cmp_gt_u32_e32 vcc_lo, 30, v3
	v_add_nc_u32_e32 v8, 2, v3
	s_mov_b32 s1, exec_lo
	s_waitcnt lgkmcnt(0)
	v_cndmask_b32_e64 v6, 0, 1, vcc_lo
	s_delay_alu instid0(VALU_DEP_1) | instskip(NEXT) | instid1(VALU_DEP_1)
	v_lshlrev_b32_e32 v6, 1, v6
	v_add_lshl_u32 v6, v6, v3, 2
	ds_bpermute_b32 v7, v6, v5
	ds_bpermute_b32 v6, v6, v2
	v_cmpx_lt_u32_e64 v8, v4
	s_cbranch_execz .LBB97_211
; %bb.210:
	s_waitcnt lgkmcnt(1)
	v_add_co_u32 v5, vcc_lo, v1, v7
	v_add_co_ci_u32_e32 v2, vcc_lo, 0, v2, vcc_lo
	s_delay_alu instid0(VALU_DEP_2) | instskip(SKIP_1) | instid1(VALU_DEP_2)
	v_add_co_u32 v1, vcc_lo, 0, v5
	s_waitcnt lgkmcnt(0)
	v_add_co_ci_u32_e32 v2, vcc_lo, v6, v2, vcc_lo
.LBB97_211:
	s_or_b32 exec_lo, exec_lo, s1
	v_cmp_gt_u32_e32 vcc_lo, 28, v3
	v_add_nc_u32_e32 v8, 4, v3
	s_mov_b32 s1, exec_lo
	s_waitcnt lgkmcnt(0)
	v_cndmask_b32_e64 v6, 0, 1, vcc_lo
	s_delay_alu instid0(VALU_DEP_1) | instskip(NEXT) | instid1(VALU_DEP_1)
	v_lshlrev_b32_e32 v6, 2, v6
	v_add_lshl_u32 v6, v6, v3, 2
	ds_bpermute_b32 v7, v6, v5
	ds_bpermute_b32 v6, v6, v2
	v_cmpx_lt_u32_e64 v8, v4
	;; [unrolled: 22-line block ×3, first 2 shown]
	s_cbranch_execz .LBB97_215
; %bb.214:
	s_waitcnt lgkmcnt(1)
	v_add_co_u32 v5, vcc_lo, v1, v7
	v_add_co_ci_u32_e32 v2, vcc_lo, 0, v2, vcc_lo
	s_delay_alu instid0(VALU_DEP_2) | instskip(SKIP_1) | instid1(VALU_DEP_2)
	v_add_co_u32 v1, vcc_lo, 0, v5
	s_waitcnt lgkmcnt(0)
	v_add_co_ci_u32_e32 v2, vcc_lo, v6, v2, vcc_lo
.LBB97_215:
	s_or_b32 exec_lo, exec_lo, s1
	v_cmp_gt_u32_e32 vcc_lo, 16, v3
	s_mov_b32 s1, exec_lo
	s_waitcnt lgkmcnt(0)
	v_cndmask_b32_e64 v6, 0, 1, vcc_lo
	s_delay_alu instid0(VALU_DEP_1) | instskip(NEXT) | instid1(VALU_DEP_1)
	v_lshlrev_b32_e32 v6, 4, v6
	v_add_lshl_u32 v7, v6, v3, 2
	ds_bpermute_b32 v6, v7, v5
	ds_bpermute_b32 v5, v7, v2
	v_add_nc_u32_e32 v7, 16, v3
	s_delay_alu instid0(VALU_DEP_1)
	v_cmpx_lt_u32_e64 v7, v4
	s_cbranch_execz .LBB97_217
; %bb.216:
	s_waitcnt lgkmcnt(1)
	v_add_co_u32 v1, vcc_lo, v1, v6
	v_add_co_ci_u32_e32 v2, vcc_lo, 0, v2, vcc_lo
	s_delay_alu instid0(VALU_DEP_2) | instskip(SKIP_1) | instid1(VALU_DEP_2)
	v_add_co_u32 v1, vcc_lo, v1, 0
	s_waitcnt lgkmcnt(0)
	v_add_co_ci_u32_e32 v2, vcc_lo, v2, v5, vcc_lo
.LBB97_217:
	s_or_b32 exec_lo, exec_lo, s1
	s_delay_alu instid0(SALU_CYCLE_1)
	s_mov_b32 s1, exec_lo
	v_cmpx_eq_u32_e32 0, v3
	s_cbranch_execz .LBB97_219
; %bb.218:
	v_lshrrev_b32_e32 v4, 2, v0
	s_delay_alu instid0(VALU_DEP_1)
	v_and_b32_e32 v4, 56, v4
	ds_store_b64 v4, v[1:2] offset:320
.LBB97_219:
	s_or_b32 exec_lo, exec_lo, s1
	s_delay_alu instid0(SALU_CYCLE_1)
	s_mov_b32 s1, exec_lo
	s_waitcnt lgkmcnt(0)
	s_barrier
	buffer_gl0_inv
	v_cmpx_gt_u32_e32 8, v0
	s_cbranch_execz .LBB97_227
; %bb.220:
	v_lshlrev_b32_e32 v1, 3, v3
	s_add_i32 s0, s0, 31
	s_delay_alu instid0(SALU_CYCLE_1) | instskip(SKIP_2) | instid1(VALU_DEP_1)
	s_lshr_b32 s0, s0, 5
	ds_load_b64 v[1:2], v1 offset:320
	v_and_b32_e32 v4, 7, v3
	v_cmp_ne_u32_e32 vcc_lo, 7, v4
	v_add_co_ci_u32_e32 v5, vcc_lo, 0, v3, vcc_lo
	s_delay_alu instid0(VALU_DEP_1) | instskip(SKIP_4) | instid1(VALU_DEP_1)
	v_lshlrev_b32_e32 v5, 2, v5
	s_waitcnt lgkmcnt(0)
	ds_bpermute_b32 v7, v5, v1
	ds_bpermute_b32 v6, v5, v2
	v_add_nc_u32_e32 v5, 1, v4
	v_cmp_gt_u32_e32 vcc_lo, s0, v5
	v_mov_b32_e32 v5, v1
	s_and_saveexec_b32 s2, vcc_lo
	s_cbranch_execz .LBB97_222
; %bb.221:
	s_waitcnt lgkmcnt(1)
	v_add_co_u32 v5, vcc_lo, v1, v7
	v_add_co_ci_u32_e32 v2, vcc_lo, 0, v2, vcc_lo
	s_delay_alu instid0(VALU_DEP_2) | instskip(SKIP_1) | instid1(VALU_DEP_2)
	v_add_co_u32 v1, vcc_lo, 0, v5
	s_waitcnt lgkmcnt(0)
	v_add_co_ci_u32_e32 v2, vcc_lo, v6, v2, vcc_lo
.LBB97_222:
	s_or_b32 exec_lo, exec_lo, s2
	v_cmp_gt_u32_e32 vcc_lo, 6, v4
	v_add_nc_u32_e32 v8, 2, v4
	s_mov_b32 s2, exec_lo
	s_waitcnt lgkmcnt(0)
	v_cndmask_b32_e64 v6, 0, 1, vcc_lo
	s_delay_alu instid0(VALU_DEP_1) | instskip(NEXT) | instid1(VALU_DEP_1)
	v_lshlrev_b32_e32 v6, 1, v6
	v_add_lshl_u32 v6, v6, v3, 2
	ds_bpermute_b32 v7, v6, v5
	ds_bpermute_b32 v6, v6, v2
	v_cmpx_gt_u32_e64 s0, v8
	s_cbranch_execz .LBB97_224
; %bb.223:
	s_waitcnt lgkmcnt(1)
	v_add_co_u32 v5, vcc_lo, v1, v7
	v_add_co_ci_u32_e32 v2, vcc_lo, 0, v2, vcc_lo
	s_delay_alu instid0(VALU_DEP_2) | instskip(SKIP_1) | instid1(VALU_DEP_2)
	v_add_co_u32 v1, vcc_lo, 0, v5
	s_waitcnt lgkmcnt(0)
	v_add_co_ci_u32_e32 v2, vcc_lo, v6, v2, vcc_lo
.LBB97_224:
	s_or_b32 exec_lo, exec_lo, s2
	v_cmp_gt_u32_e32 vcc_lo, 4, v4
	v_add_nc_u32_e32 v4, 4, v4
	s_waitcnt lgkmcnt(0)
	v_cndmask_b32_e64 v6, 0, 1, vcc_lo
	s_delay_alu instid0(VALU_DEP_2) | instskip(NEXT) | instid1(VALU_DEP_2)
	v_cmp_gt_u32_e32 vcc_lo, s0, v4
	v_lshlrev_b32_e32 v6, 2, v6
	s_delay_alu instid0(VALU_DEP_1)
	v_add_lshl_u32 v3, v6, v3, 2
	ds_bpermute_b32 v5, v3, v5
	ds_bpermute_b32 v3, v3, v2
	s_and_saveexec_b32 s0, vcc_lo
	s_cbranch_execz .LBB97_226
; %bb.225:
	s_waitcnt lgkmcnt(1)
	v_add_co_u32 v1, vcc_lo, v1, v5
	v_add_co_ci_u32_e32 v2, vcc_lo, 0, v2, vcc_lo
	s_delay_alu instid0(VALU_DEP_2) | instskip(SKIP_1) | instid1(VALU_DEP_2)
	v_add_co_u32 v1, vcc_lo, v1, 0
	s_waitcnt lgkmcnt(0)
	v_add_co_ci_u32_e32 v2, vcc_lo, v2, v3, vcc_lo
.LBB97_226:
	s_or_b32 exec_lo, exec_lo, s0
.LBB97_227:
	s_delay_alu instid0(SALU_CYCLE_1) | instskip(SKIP_1) | instid1(VALU_DEP_1)
	s_or_b32 exec_lo, exec_lo, s1
	v_cmp_eq_u32_e64 s0, 0, v0
	s_and_saveexec_b32 s1, s0
	s_cbranch_execnz .LBB97_202
	s_branch .LBB97_203
	.section	.rodata,"a",@progbits
	.p2align	6, 0x0
	.amdhsa_kernel _ZN7rocprim17ROCPRIM_400000_NS6detail17trampoline_kernelINS0_14default_configENS1_22reduce_config_selectorIlEEZNS1_11reduce_implILb1ES3_PlS7_lN6hipcub16HIPCUB_304000_NS6detail34convert_binary_result_type_wrapperINS9_3SumENS9_22TransformInputIteratorIb7NonZeroIsEPslEElEEEE10hipError_tPvRmT1_T2_T3_mT4_P12ihipStream_tbEUlT_E1_NS1_11comp_targetILNS1_3genE9ELNS1_11target_archE1100ELNS1_3gpuE3ELNS1_3repE0EEENS1_30default_config_static_selectorELNS0_4arch9wavefront6targetE0EEEvSM_
		.amdhsa_group_segment_fixed_size 384
		.amdhsa_private_segment_fixed_size 0
		.amdhsa_kernarg_size 48
		.amdhsa_user_sgpr_count 15
		.amdhsa_user_sgpr_dispatch_ptr 0
		.amdhsa_user_sgpr_queue_ptr 0
		.amdhsa_user_sgpr_kernarg_segment_ptr 1
		.amdhsa_user_sgpr_dispatch_id 0
		.amdhsa_user_sgpr_private_segment_size 0
		.amdhsa_wavefront_size32 1
		.amdhsa_uses_dynamic_stack 0
		.amdhsa_enable_private_segment 0
		.amdhsa_system_sgpr_workgroup_id_x 1
		.amdhsa_system_sgpr_workgroup_id_y 0
		.amdhsa_system_sgpr_workgroup_id_z 0
		.amdhsa_system_sgpr_workgroup_info 0
		.amdhsa_system_vgpr_workitem_id 0
		.amdhsa_next_free_vgpr 34
		.amdhsa_next_free_sgpr 30
		.amdhsa_reserve_vcc 1
		.amdhsa_float_round_mode_32 0
		.amdhsa_float_round_mode_16_64 0
		.amdhsa_float_denorm_mode_32 3
		.amdhsa_float_denorm_mode_16_64 3
		.amdhsa_dx10_clamp 1
		.amdhsa_ieee_mode 1
		.amdhsa_fp16_overflow 0
		.amdhsa_workgroup_processor_mode 1
		.amdhsa_memory_ordered 1
		.amdhsa_forward_progress 0
		.amdhsa_shared_vgpr_count 0
		.amdhsa_exception_fp_ieee_invalid_op 0
		.amdhsa_exception_fp_denorm_src 0
		.amdhsa_exception_fp_ieee_div_zero 0
		.amdhsa_exception_fp_ieee_overflow 0
		.amdhsa_exception_fp_ieee_underflow 0
		.amdhsa_exception_fp_ieee_inexact 0
		.amdhsa_exception_int_div_zero 0
	.end_amdhsa_kernel
	.section	.text._ZN7rocprim17ROCPRIM_400000_NS6detail17trampoline_kernelINS0_14default_configENS1_22reduce_config_selectorIlEEZNS1_11reduce_implILb1ES3_PlS7_lN6hipcub16HIPCUB_304000_NS6detail34convert_binary_result_type_wrapperINS9_3SumENS9_22TransformInputIteratorIb7NonZeroIsEPslEElEEEE10hipError_tPvRmT1_T2_T3_mT4_P12ihipStream_tbEUlT_E1_NS1_11comp_targetILNS1_3genE9ELNS1_11target_archE1100ELNS1_3gpuE3ELNS1_3repE0EEENS1_30default_config_static_selectorELNS0_4arch9wavefront6targetE0EEEvSM_,"axG",@progbits,_ZN7rocprim17ROCPRIM_400000_NS6detail17trampoline_kernelINS0_14default_configENS1_22reduce_config_selectorIlEEZNS1_11reduce_implILb1ES3_PlS7_lN6hipcub16HIPCUB_304000_NS6detail34convert_binary_result_type_wrapperINS9_3SumENS9_22TransformInputIteratorIb7NonZeroIsEPslEElEEEE10hipError_tPvRmT1_T2_T3_mT4_P12ihipStream_tbEUlT_E1_NS1_11comp_targetILNS1_3genE9ELNS1_11target_archE1100ELNS1_3gpuE3ELNS1_3repE0EEENS1_30default_config_static_selectorELNS0_4arch9wavefront6targetE0EEEvSM_,comdat
.Lfunc_end97:
	.size	_ZN7rocprim17ROCPRIM_400000_NS6detail17trampoline_kernelINS0_14default_configENS1_22reduce_config_selectorIlEEZNS1_11reduce_implILb1ES3_PlS7_lN6hipcub16HIPCUB_304000_NS6detail34convert_binary_result_type_wrapperINS9_3SumENS9_22TransformInputIteratorIb7NonZeroIsEPslEElEEEE10hipError_tPvRmT1_T2_T3_mT4_P12ihipStream_tbEUlT_E1_NS1_11comp_targetILNS1_3genE9ELNS1_11target_archE1100ELNS1_3gpuE3ELNS1_3repE0EEENS1_30default_config_static_selectorELNS0_4arch9wavefront6targetE0EEEvSM_, .Lfunc_end97-_ZN7rocprim17ROCPRIM_400000_NS6detail17trampoline_kernelINS0_14default_configENS1_22reduce_config_selectorIlEEZNS1_11reduce_implILb1ES3_PlS7_lN6hipcub16HIPCUB_304000_NS6detail34convert_binary_result_type_wrapperINS9_3SumENS9_22TransformInputIteratorIb7NonZeroIsEPslEElEEEE10hipError_tPvRmT1_T2_T3_mT4_P12ihipStream_tbEUlT_E1_NS1_11comp_targetILNS1_3genE9ELNS1_11target_archE1100ELNS1_3gpuE3ELNS1_3repE0EEENS1_30default_config_static_selectorELNS0_4arch9wavefront6targetE0EEEvSM_
                                        ; -- End function
	.section	.AMDGPU.csdata,"",@progbits
; Kernel info:
; codeLenInByte = 11700
; NumSgprs: 32
; NumVgprs: 34
; ScratchSize: 0
; MemoryBound: 0
; FloatMode: 240
; IeeeMode: 1
; LDSByteSize: 384 bytes/workgroup (compile time only)
; SGPRBlocks: 3
; VGPRBlocks: 4
; NumSGPRsForWavesPerEU: 32
; NumVGPRsForWavesPerEU: 34
; Occupancy: 16
; WaveLimiterHint : 1
; COMPUTE_PGM_RSRC2:SCRATCH_EN: 0
; COMPUTE_PGM_RSRC2:USER_SGPR: 15
; COMPUTE_PGM_RSRC2:TRAP_HANDLER: 0
; COMPUTE_PGM_RSRC2:TGID_X_EN: 1
; COMPUTE_PGM_RSRC2:TGID_Y_EN: 0
; COMPUTE_PGM_RSRC2:TGID_Z_EN: 0
; COMPUTE_PGM_RSRC2:TIDIG_COMP_CNT: 0
	.section	.text._ZN7rocprim17ROCPRIM_400000_NS6detail17trampoline_kernelINS0_14default_configENS1_22reduce_config_selectorIlEEZNS1_11reduce_implILb1ES3_PlS7_lN6hipcub16HIPCUB_304000_NS6detail34convert_binary_result_type_wrapperINS9_3SumENS9_22TransformInputIteratorIb7NonZeroIsEPslEElEEEE10hipError_tPvRmT1_T2_T3_mT4_P12ihipStream_tbEUlT_E1_NS1_11comp_targetILNS1_3genE8ELNS1_11target_archE1030ELNS1_3gpuE2ELNS1_3repE0EEENS1_30default_config_static_selectorELNS0_4arch9wavefront6targetE0EEEvSM_,"axG",@progbits,_ZN7rocprim17ROCPRIM_400000_NS6detail17trampoline_kernelINS0_14default_configENS1_22reduce_config_selectorIlEEZNS1_11reduce_implILb1ES3_PlS7_lN6hipcub16HIPCUB_304000_NS6detail34convert_binary_result_type_wrapperINS9_3SumENS9_22TransformInputIteratorIb7NonZeroIsEPslEElEEEE10hipError_tPvRmT1_T2_T3_mT4_P12ihipStream_tbEUlT_E1_NS1_11comp_targetILNS1_3genE8ELNS1_11target_archE1030ELNS1_3gpuE2ELNS1_3repE0EEENS1_30default_config_static_selectorELNS0_4arch9wavefront6targetE0EEEvSM_,comdat
	.protected	_ZN7rocprim17ROCPRIM_400000_NS6detail17trampoline_kernelINS0_14default_configENS1_22reduce_config_selectorIlEEZNS1_11reduce_implILb1ES3_PlS7_lN6hipcub16HIPCUB_304000_NS6detail34convert_binary_result_type_wrapperINS9_3SumENS9_22TransformInputIteratorIb7NonZeroIsEPslEElEEEE10hipError_tPvRmT1_T2_T3_mT4_P12ihipStream_tbEUlT_E1_NS1_11comp_targetILNS1_3genE8ELNS1_11target_archE1030ELNS1_3gpuE2ELNS1_3repE0EEENS1_30default_config_static_selectorELNS0_4arch9wavefront6targetE0EEEvSM_ ; -- Begin function _ZN7rocprim17ROCPRIM_400000_NS6detail17trampoline_kernelINS0_14default_configENS1_22reduce_config_selectorIlEEZNS1_11reduce_implILb1ES3_PlS7_lN6hipcub16HIPCUB_304000_NS6detail34convert_binary_result_type_wrapperINS9_3SumENS9_22TransformInputIteratorIb7NonZeroIsEPslEElEEEE10hipError_tPvRmT1_T2_T3_mT4_P12ihipStream_tbEUlT_E1_NS1_11comp_targetILNS1_3genE8ELNS1_11target_archE1030ELNS1_3gpuE2ELNS1_3repE0EEENS1_30default_config_static_selectorELNS0_4arch9wavefront6targetE0EEEvSM_
	.globl	_ZN7rocprim17ROCPRIM_400000_NS6detail17trampoline_kernelINS0_14default_configENS1_22reduce_config_selectorIlEEZNS1_11reduce_implILb1ES3_PlS7_lN6hipcub16HIPCUB_304000_NS6detail34convert_binary_result_type_wrapperINS9_3SumENS9_22TransformInputIteratorIb7NonZeroIsEPslEElEEEE10hipError_tPvRmT1_T2_T3_mT4_P12ihipStream_tbEUlT_E1_NS1_11comp_targetILNS1_3genE8ELNS1_11target_archE1030ELNS1_3gpuE2ELNS1_3repE0EEENS1_30default_config_static_selectorELNS0_4arch9wavefront6targetE0EEEvSM_
	.p2align	8
	.type	_ZN7rocprim17ROCPRIM_400000_NS6detail17trampoline_kernelINS0_14default_configENS1_22reduce_config_selectorIlEEZNS1_11reduce_implILb1ES3_PlS7_lN6hipcub16HIPCUB_304000_NS6detail34convert_binary_result_type_wrapperINS9_3SumENS9_22TransformInputIteratorIb7NonZeroIsEPslEElEEEE10hipError_tPvRmT1_T2_T3_mT4_P12ihipStream_tbEUlT_E1_NS1_11comp_targetILNS1_3genE8ELNS1_11target_archE1030ELNS1_3gpuE2ELNS1_3repE0EEENS1_30default_config_static_selectorELNS0_4arch9wavefront6targetE0EEEvSM_,@function
_ZN7rocprim17ROCPRIM_400000_NS6detail17trampoline_kernelINS0_14default_configENS1_22reduce_config_selectorIlEEZNS1_11reduce_implILb1ES3_PlS7_lN6hipcub16HIPCUB_304000_NS6detail34convert_binary_result_type_wrapperINS9_3SumENS9_22TransformInputIteratorIb7NonZeroIsEPslEElEEEE10hipError_tPvRmT1_T2_T3_mT4_P12ihipStream_tbEUlT_E1_NS1_11comp_targetILNS1_3genE8ELNS1_11target_archE1030ELNS1_3gpuE2ELNS1_3repE0EEENS1_30default_config_static_selectorELNS0_4arch9wavefront6targetE0EEEvSM_: ; @_ZN7rocprim17ROCPRIM_400000_NS6detail17trampoline_kernelINS0_14default_configENS1_22reduce_config_selectorIlEEZNS1_11reduce_implILb1ES3_PlS7_lN6hipcub16HIPCUB_304000_NS6detail34convert_binary_result_type_wrapperINS9_3SumENS9_22TransformInputIteratorIb7NonZeroIsEPslEElEEEE10hipError_tPvRmT1_T2_T3_mT4_P12ihipStream_tbEUlT_E1_NS1_11comp_targetILNS1_3genE8ELNS1_11target_archE1030ELNS1_3gpuE2ELNS1_3repE0EEENS1_30default_config_static_selectorELNS0_4arch9wavefront6targetE0EEEvSM_
; %bb.0:
	.section	.rodata,"a",@progbits
	.p2align	6, 0x0
	.amdhsa_kernel _ZN7rocprim17ROCPRIM_400000_NS6detail17trampoline_kernelINS0_14default_configENS1_22reduce_config_selectorIlEEZNS1_11reduce_implILb1ES3_PlS7_lN6hipcub16HIPCUB_304000_NS6detail34convert_binary_result_type_wrapperINS9_3SumENS9_22TransformInputIteratorIb7NonZeroIsEPslEElEEEE10hipError_tPvRmT1_T2_T3_mT4_P12ihipStream_tbEUlT_E1_NS1_11comp_targetILNS1_3genE8ELNS1_11target_archE1030ELNS1_3gpuE2ELNS1_3repE0EEENS1_30default_config_static_selectorELNS0_4arch9wavefront6targetE0EEEvSM_
		.amdhsa_group_segment_fixed_size 0
		.amdhsa_private_segment_fixed_size 0
		.amdhsa_kernarg_size 48
		.amdhsa_user_sgpr_count 15
		.amdhsa_user_sgpr_dispatch_ptr 0
		.amdhsa_user_sgpr_queue_ptr 0
		.amdhsa_user_sgpr_kernarg_segment_ptr 1
		.amdhsa_user_sgpr_dispatch_id 0
		.amdhsa_user_sgpr_private_segment_size 0
		.amdhsa_wavefront_size32 1
		.amdhsa_uses_dynamic_stack 0
		.amdhsa_enable_private_segment 0
		.amdhsa_system_sgpr_workgroup_id_x 1
		.amdhsa_system_sgpr_workgroup_id_y 0
		.amdhsa_system_sgpr_workgroup_id_z 0
		.amdhsa_system_sgpr_workgroup_info 0
		.amdhsa_system_vgpr_workitem_id 0
		.amdhsa_next_free_vgpr 1
		.amdhsa_next_free_sgpr 1
		.amdhsa_reserve_vcc 0
		.amdhsa_float_round_mode_32 0
		.amdhsa_float_round_mode_16_64 0
		.amdhsa_float_denorm_mode_32 3
		.amdhsa_float_denorm_mode_16_64 3
		.amdhsa_dx10_clamp 1
		.amdhsa_ieee_mode 1
		.amdhsa_fp16_overflow 0
		.amdhsa_workgroup_processor_mode 1
		.amdhsa_memory_ordered 1
		.amdhsa_forward_progress 0
		.amdhsa_shared_vgpr_count 0
		.amdhsa_exception_fp_ieee_invalid_op 0
		.amdhsa_exception_fp_denorm_src 0
		.amdhsa_exception_fp_ieee_div_zero 0
		.amdhsa_exception_fp_ieee_overflow 0
		.amdhsa_exception_fp_ieee_underflow 0
		.amdhsa_exception_fp_ieee_inexact 0
		.amdhsa_exception_int_div_zero 0
	.end_amdhsa_kernel
	.section	.text._ZN7rocprim17ROCPRIM_400000_NS6detail17trampoline_kernelINS0_14default_configENS1_22reduce_config_selectorIlEEZNS1_11reduce_implILb1ES3_PlS7_lN6hipcub16HIPCUB_304000_NS6detail34convert_binary_result_type_wrapperINS9_3SumENS9_22TransformInputIteratorIb7NonZeroIsEPslEElEEEE10hipError_tPvRmT1_T2_T3_mT4_P12ihipStream_tbEUlT_E1_NS1_11comp_targetILNS1_3genE8ELNS1_11target_archE1030ELNS1_3gpuE2ELNS1_3repE0EEENS1_30default_config_static_selectorELNS0_4arch9wavefront6targetE0EEEvSM_,"axG",@progbits,_ZN7rocprim17ROCPRIM_400000_NS6detail17trampoline_kernelINS0_14default_configENS1_22reduce_config_selectorIlEEZNS1_11reduce_implILb1ES3_PlS7_lN6hipcub16HIPCUB_304000_NS6detail34convert_binary_result_type_wrapperINS9_3SumENS9_22TransformInputIteratorIb7NonZeroIsEPslEElEEEE10hipError_tPvRmT1_T2_T3_mT4_P12ihipStream_tbEUlT_E1_NS1_11comp_targetILNS1_3genE8ELNS1_11target_archE1030ELNS1_3gpuE2ELNS1_3repE0EEENS1_30default_config_static_selectorELNS0_4arch9wavefront6targetE0EEEvSM_,comdat
.Lfunc_end98:
	.size	_ZN7rocprim17ROCPRIM_400000_NS6detail17trampoline_kernelINS0_14default_configENS1_22reduce_config_selectorIlEEZNS1_11reduce_implILb1ES3_PlS7_lN6hipcub16HIPCUB_304000_NS6detail34convert_binary_result_type_wrapperINS9_3SumENS9_22TransformInputIteratorIb7NonZeroIsEPslEElEEEE10hipError_tPvRmT1_T2_T3_mT4_P12ihipStream_tbEUlT_E1_NS1_11comp_targetILNS1_3genE8ELNS1_11target_archE1030ELNS1_3gpuE2ELNS1_3repE0EEENS1_30default_config_static_selectorELNS0_4arch9wavefront6targetE0EEEvSM_, .Lfunc_end98-_ZN7rocprim17ROCPRIM_400000_NS6detail17trampoline_kernelINS0_14default_configENS1_22reduce_config_selectorIlEEZNS1_11reduce_implILb1ES3_PlS7_lN6hipcub16HIPCUB_304000_NS6detail34convert_binary_result_type_wrapperINS9_3SumENS9_22TransformInputIteratorIb7NonZeroIsEPslEElEEEE10hipError_tPvRmT1_T2_T3_mT4_P12ihipStream_tbEUlT_E1_NS1_11comp_targetILNS1_3genE8ELNS1_11target_archE1030ELNS1_3gpuE2ELNS1_3repE0EEENS1_30default_config_static_selectorELNS0_4arch9wavefront6targetE0EEEvSM_
                                        ; -- End function
	.section	.AMDGPU.csdata,"",@progbits
; Kernel info:
; codeLenInByte = 0
; NumSgprs: 0
; NumVgprs: 0
; ScratchSize: 0
; MemoryBound: 0
; FloatMode: 240
; IeeeMode: 1
; LDSByteSize: 0 bytes/workgroup (compile time only)
; SGPRBlocks: 0
; VGPRBlocks: 0
; NumSGPRsForWavesPerEU: 1
; NumVGPRsForWavesPerEU: 1
; Occupancy: 16
; WaveLimiterHint : 0
; COMPUTE_PGM_RSRC2:SCRATCH_EN: 0
; COMPUTE_PGM_RSRC2:USER_SGPR: 15
; COMPUTE_PGM_RSRC2:TRAP_HANDLER: 0
; COMPUTE_PGM_RSRC2:TGID_X_EN: 1
; COMPUTE_PGM_RSRC2:TGID_Y_EN: 0
; COMPUTE_PGM_RSRC2:TGID_Z_EN: 0
; COMPUTE_PGM_RSRC2:TIDIG_COMP_CNT: 0
	.section	.text._ZN7rocprim17ROCPRIM_400000_NS6detail17trampoline_kernelINS0_14default_configENS1_22reduce_config_selectorIbEEZNS1_11reduce_implILb1ES3_N6hipcub16HIPCUB_304000_NS22TransformInputIteratorIb7NonZeroIsEPslEEPllNS8_6detail34convert_binary_result_type_wrapperINS8_3SumESD_lEEEE10hipError_tPvRmT1_T2_T3_mT4_P12ihipStream_tbEUlT_E0_NS1_11comp_targetILNS1_3genE0ELNS1_11target_archE4294967295ELNS1_3gpuE0ELNS1_3repE0EEENS1_30default_config_static_selectorELNS0_4arch9wavefront6targetE0EEEvSM_,"axG",@progbits,_ZN7rocprim17ROCPRIM_400000_NS6detail17trampoline_kernelINS0_14default_configENS1_22reduce_config_selectorIbEEZNS1_11reduce_implILb1ES3_N6hipcub16HIPCUB_304000_NS22TransformInputIteratorIb7NonZeroIsEPslEEPllNS8_6detail34convert_binary_result_type_wrapperINS8_3SumESD_lEEEE10hipError_tPvRmT1_T2_T3_mT4_P12ihipStream_tbEUlT_E0_NS1_11comp_targetILNS1_3genE0ELNS1_11target_archE4294967295ELNS1_3gpuE0ELNS1_3repE0EEENS1_30default_config_static_selectorELNS0_4arch9wavefront6targetE0EEEvSM_,comdat
	.protected	_ZN7rocprim17ROCPRIM_400000_NS6detail17trampoline_kernelINS0_14default_configENS1_22reduce_config_selectorIbEEZNS1_11reduce_implILb1ES3_N6hipcub16HIPCUB_304000_NS22TransformInputIteratorIb7NonZeroIsEPslEEPllNS8_6detail34convert_binary_result_type_wrapperINS8_3SumESD_lEEEE10hipError_tPvRmT1_T2_T3_mT4_P12ihipStream_tbEUlT_E0_NS1_11comp_targetILNS1_3genE0ELNS1_11target_archE4294967295ELNS1_3gpuE0ELNS1_3repE0EEENS1_30default_config_static_selectorELNS0_4arch9wavefront6targetE0EEEvSM_ ; -- Begin function _ZN7rocprim17ROCPRIM_400000_NS6detail17trampoline_kernelINS0_14default_configENS1_22reduce_config_selectorIbEEZNS1_11reduce_implILb1ES3_N6hipcub16HIPCUB_304000_NS22TransformInputIteratorIb7NonZeroIsEPslEEPllNS8_6detail34convert_binary_result_type_wrapperINS8_3SumESD_lEEEE10hipError_tPvRmT1_T2_T3_mT4_P12ihipStream_tbEUlT_E0_NS1_11comp_targetILNS1_3genE0ELNS1_11target_archE4294967295ELNS1_3gpuE0ELNS1_3repE0EEENS1_30default_config_static_selectorELNS0_4arch9wavefront6targetE0EEEvSM_
	.globl	_ZN7rocprim17ROCPRIM_400000_NS6detail17trampoline_kernelINS0_14default_configENS1_22reduce_config_selectorIbEEZNS1_11reduce_implILb1ES3_N6hipcub16HIPCUB_304000_NS22TransformInputIteratorIb7NonZeroIsEPslEEPllNS8_6detail34convert_binary_result_type_wrapperINS8_3SumESD_lEEEE10hipError_tPvRmT1_T2_T3_mT4_P12ihipStream_tbEUlT_E0_NS1_11comp_targetILNS1_3genE0ELNS1_11target_archE4294967295ELNS1_3gpuE0ELNS1_3repE0EEENS1_30default_config_static_selectorELNS0_4arch9wavefront6targetE0EEEvSM_
	.p2align	8
	.type	_ZN7rocprim17ROCPRIM_400000_NS6detail17trampoline_kernelINS0_14default_configENS1_22reduce_config_selectorIbEEZNS1_11reduce_implILb1ES3_N6hipcub16HIPCUB_304000_NS22TransformInputIteratorIb7NonZeroIsEPslEEPllNS8_6detail34convert_binary_result_type_wrapperINS8_3SumESD_lEEEE10hipError_tPvRmT1_T2_T3_mT4_P12ihipStream_tbEUlT_E0_NS1_11comp_targetILNS1_3genE0ELNS1_11target_archE4294967295ELNS1_3gpuE0ELNS1_3repE0EEENS1_30default_config_static_selectorELNS0_4arch9wavefront6targetE0EEEvSM_,@function
_ZN7rocprim17ROCPRIM_400000_NS6detail17trampoline_kernelINS0_14default_configENS1_22reduce_config_selectorIbEEZNS1_11reduce_implILb1ES3_N6hipcub16HIPCUB_304000_NS22TransformInputIteratorIb7NonZeroIsEPslEEPllNS8_6detail34convert_binary_result_type_wrapperINS8_3SumESD_lEEEE10hipError_tPvRmT1_T2_T3_mT4_P12ihipStream_tbEUlT_E0_NS1_11comp_targetILNS1_3genE0ELNS1_11target_archE4294967295ELNS1_3gpuE0ELNS1_3repE0EEENS1_30default_config_static_selectorELNS0_4arch9wavefront6targetE0EEEvSM_: ; @_ZN7rocprim17ROCPRIM_400000_NS6detail17trampoline_kernelINS0_14default_configENS1_22reduce_config_selectorIbEEZNS1_11reduce_implILb1ES3_N6hipcub16HIPCUB_304000_NS22TransformInputIteratorIb7NonZeroIsEPslEEPllNS8_6detail34convert_binary_result_type_wrapperINS8_3SumESD_lEEEE10hipError_tPvRmT1_T2_T3_mT4_P12ihipStream_tbEUlT_E0_NS1_11comp_targetILNS1_3genE0ELNS1_11target_archE4294967295ELNS1_3gpuE0ELNS1_3repE0EEENS1_30default_config_static_selectorELNS0_4arch9wavefront6targetE0EEEvSM_
; %bb.0:
	.section	.rodata,"a",@progbits
	.p2align	6, 0x0
	.amdhsa_kernel _ZN7rocprim17ROCPRIM_400000_NS6detail17trampoline_kernelINS0_14default_configENS1_22reduce_config_selectorIbEEZNS1_11reduce_implILb1ES3_N6hipcub16HIPCUB_304000_NS22TransformInputIteratorIb7NonZeroIsEPslEEPllNS8_6detail34convert_binary_result_type_wrapperINS8_3SumESD_lEEEE10hipError_tPvRmT1_T2_T3_mT4_P12ihipStream_tbEUlT_E0_NS1_11comp_targetILNS1_3genE0ELNS1_11target_archE4294967295ELNS1_3gpuE0ELNS1_3repE0EEENS1_30default_config_static_selectorELNS0_4arch9wavefront6targetE0EEEvSM_
		.amdhsa_group_segment_fixed_size 0
		.amdhsa_private_segment_fixed_size 0
		.amdhsa_kernarg_size 72
		.amdhsa_user_sgpr_count 15
		.amdhsa_user_sgpr_dispatch_ptr 0
		.amdhsa_user_sgpr_queue_ptr 0
		.amdhsa_user_sgpr_kernarg_segment_ptr 1
		.amdhsa_user_sgpr_dispatch_id 0
		.amdhsa_user_sgpr_private_segment_size 0
		.amdhsa_wavefront_size32 1
		.amdhsa_uses_dynamic_stack 0
		.amdhsa_enable_private_segment 0
		.amdhsa_system_sgpr_workgroup_id_x 1
		.amdhsa_system_sgpr_workgroup_id_y 0
		.amdhsa_system_sgpr_workgroup_id_z 0
		.amdhsa_system_sgpr_workgroup_info 0
		.amdhsa_system_vgpr_workitem_id 0
		.amdhsa_next_free_vgpr 1
		.amdhsa_next_free_sgpr 1
		.amdhsa_reserve_vcc 0
		.amdhsa_float_round_mode_32 0
		.amdhsa_float_round_mode_16_64 0
		.amdhsa_float_denorm_mode_32 3
		.amdhsa_float_denorm_mode_16_64 3
		.amdhsa_dx10_clamp 1
		.amdhsa_ieee_mode 1
		.amdhsa_fp16_overflow 0
		.amdhsa_workgroup_processor_mode 1
		.amdhsa_memory_ordered 1
		.amdhsa_forward_progress 0
		.amdhsa_shared_vgpr_count 0
		.amdhsa_exception_fp_ieee_invalid_op 0
		.amdhsa_exception_fp_denorm_src 0
		.amdhsa_exception_fp_ieee_div_zero 0
		.amdhsa_exception_fp_ieee_overflow 0
		.amdhsa_exception_fp_ieee_underflow 0
		.amdhsa_exception_fp_ieee_inexact 0
		.amdhsa_exception_int_div_zero 0
	.end_amdhsa_kernel
	.section	.text._ZN7rocprim17ROCPRIM_400000_NS6detail17trampoline_kernelINS0_14default_configENS1_22reduce_config_selectorIbEEZNS1_11reduce_implILb1ES3_N6hipcub16HIPCUB_304000_NS22TransformInputIteratorIb7NonZeroIsEPslEEPllNS8_6detail34convert_binary_result_type_wrapperINS8_3SumESD_lEEEE10hipError_tPvRmT1_T2_T3_mT4_P12ihipStream_tbEUlT_E0_NS1_11comp_targetILNS1_3genE0ELNS1_11target_archE4294967295ELNS1_3gpuE0ELNS1_3repE0EEENS1_30default_config_static_selectorELNS0_4arch9wavefront6targetE0EEEvSM_,"axG",@progbits,_ZN7rocprim17ROCPRIM_400000_NS6detail17trampoline_kernelINS0_14default_configENS1_22reduce_config_selectorIbEEZNS1_11reduce_implILb1ES3_N6hipcub16HIPCUB_304000_NS22TransformInputIteratorIb7NonZeroIsEPslEEPllNS8_6detail34convert_binary_result_type_wrapperINS8_3SumESD_lEEEE10hipError_tPvRmT1_T2_T3_mT4_P12ihipStream_tbEUlT_E0_NS1_11comp_targetILNS1_3genE0ELNS1_11target_archE4294967295ELNS1_3gpuE0ELNS1_3repE0EEENS1_30default_config_static_selectorELNS0_4arch9wavefront6targetE0EEEvSM_,comdat
.Lfunc_end99:
	.size	_ZN7rocprim17ROCPRIM_400000_NS6detail17trampoline_kernelINS0_14default_configENS1_22reduce_config_selectorIbEEZNS1_11reduce_implILb1ES3_N6hipcub16HIPCUB_304000_NS22TransformInputIteratorIb7NonZeroIsEPslEEPllNS8_6detail34convert_binary_result_type_wrapperINS8_3SumESD_lEEEE10hipError_tPvRmT1_T2_T3_mT4_P12ihipStream_tbEUlT_E0_NS1_11comp_targetILNS1_3genE0ELNS1_11target_archE4294967295ELNS1_3gpuE0ELNS1_3repE0EEENS1_30default_config_static_selectorELNS0_4arch9wavefront6targetE0EEEvSM_, .Lfunc_end99-_ZN7rocprim17ROCPRIM_400000_NS6detail17trampoline_kernelINS0_14default_configENS1_22reduce_config_selectorIbEEZNS1_11reduce_implILb1ES3_N6hipcub16HIPCUB_304000_NS22TransformInputIteratorIb7NonZeroIsEPslEEPllNS8_6detail34convert_binary_result_type_wrapperINS8_3SumESD_lEEEE10hipError_tPvRmT1_T2_T3_mT4_P12ihipStream_tbEUlT_E0_NS1_11comp_targetILNS1_3genE0ELNS1_11target_archE4294967295ELNS1_3gpuE0ELNS1_3repE0EEENS1_30default_config_static_selectorELNS0_4arch9wavefront6targetE0EEEvSM_
                                        ; -- End function
	.section	.AMDGPU.csdata,"",@progbits
; Kernel info:
; codeLenInByte = 0
; NumSgprs: 0
; NumVgprs: 0
; ScratchSize: 0
; MemoryBound: 0
; FloatMode: 240
; IeeeMode: 1
; LDSByteSize: 0 bytes/workgroup (compile time only)
; SGPRBlocks: 0
; VGPRBlocks: 0
; NumSGPRsForWavesPerEU: 1
; NumVGPRsForWavesPerEU: 1
; Occupancy: 16
; WaveLimiterHint : 0
; COMPUTE_PGM_RSRC2:SCRATCH_EN: 0
; COMPUTE_PGM_RSRC2:USER_SGPR: 15
; COMPUTE_PGM_RSRC2:TRAP_HANDLER: 0
; COMPUTE_PGM_RSRC2:TGID_X_EN: 1
; COMPUTE_PGM_RSRC2:TGID_Y_EN: 0
; COMPUTE_PGM_RSRC2:TGID_Z_EN: 0
; COMPUTE_PGM_RSRC2:TIDIG_COMP_CNT: 0
	.section	.text._ZN7rocprim17ROCPRIM_400000_NS6detail17trampoline_kernelINS0_14default_configENS1_22reduce_config_selectorIbEEZNS1_11reduce_implILb1ES3_N6hipcub16HIPCUB_304000_NS22TransformInputIteratorIb7NonZeroIsEPslEEPllNS8_6detail34convert_binary_result_type_wrapperINS8_3SumESD_lEEEE10hipError_tPvRmT1_T2_T3_mT4_P12ihipStream_tbEUlT_E0_NS1_11comp_targetILNS1_3genE5ELNS1_11target_archE942ELNS1_3gpuE9ELNS1_3repE0EEENS1_30default_config_static_selectorELNS0_4arch9wavefront6targetE0EEEvSM_,"axG",@progbits,_ZN7rocprim17ROCPRIM_400000_NS6detail17trampoline_kernelINS0_14default_configENS1_22reduce_config_selectorIbEEZNS1_11reduce_implILb1ES3_N6hipcub16HIPCUB_304000_NS22TransformInputIteratorIb7NonZeroIsEPslEEPllNS8_6detail34convert_binary_result_type_wrapperINS8_3SumESD_lEEEE10hipError_tPvRmT1_T2_T3_mT4_P12ihipStream_tbEUlT_E0_NS1_11comp_targetILNS1_3genE5ELNS1_11target_archE942ELNS1_3gpuE9ELNS1_3repE0EEENS1_30default_config_static_selectorELNS0_4arch9wavefront6targetE0EEEvSM_,comdat
	.protected	_ZN7rocprim17ROCPRIM_400000_NS6detail17trampoline_kernelINS0_14default_configENS1_22reduce_config_selectorIbEEZNS1_11reduce_implILb1ES3_N6hipcub16HIPCUB_304000_NS22TransformInputIteratorIb7NonZeroIsEPslEEPllNS8_6detail34convert_binary_result_type_wrapperINS8_3SumESD_lEEEE10hipError_tPvRmT1_T2_T3_mT4_P12ihipStream_tbEUlT_E0_NS1_11comp_targetILNS1_3genE5ELNS1_11target_archE942ELNS1_3gpuE9ELNS1_3repE0EEENS1_30default_config_static_selectorELNS0_4arch9wavefront6targetE0EEEvSM_ ; -- Begin function _ZN7rocprim17ROCPRIM_400000_NS6detail17trampoline_kernelINS0_14default_configENS1_22reduce_config_selectorIbEEZNS1_11reduce_implILb1ES3_N6hipcub16HIPCUB_304000_NS22TransformInputIteratorIb7NonZeroIsEPslEEPllNS8_6detail34convert_binary_result_type_wrapperINS8_3SumESD_lEEEE10hipError_tPvRmT1_T2_T3_mT4_P12ihipStream_tbEUlT_E0_NS1_11comp_targetILNS1_3genE5ELNS1_11target_archE942ELNS1_3gpuE9ELNS1_3repE0EEENS1_30default_config_static_selectorELNS0_4arch9wavefront6targetE0EEEvSM_
	.globl	_ZN7rocprim17ROCPRIM_400000_NS6detail17trampoline_kernelINS0_14default_configENS1_22reduce_config_selectorIbEEZNS1_11reduce_implILb1ES3_N6hipcub16HIPCUB_304000_NS22TransformInputIteratorIb7NonZeroIsEPslEEPllNS8_6detail34convert_binary_result_type_wrapperINS8_3SumESD_lEEEE10hipError_tPvRmT1_T2_T3_mT4_P12ihipStream_tbEUlT_E0_NS1_11comp_targetILNS1_3genE5ELNS1_11target_archE942ELNS1_3gpuE9ELNS1_3repE0EEENS1_30default_config_static_selectorELNS0_4arch9wavefront6targetE0EEEvSM_
	.p2align	8
	.type	_ZN7rocprim17ROCPRIM_400000_NS6detail17trampoline_kernelINS0_14default_configENS1_22reduce_config_selectorIbEEZNS1_11reduce_implILb1ES3_N6hipcub16HIPCUB_304000_NS22TransformInputIteratorIb7NonZeroIsEPslEEPllNS8_6detail34convert_binary_result_type_wrapperINS8_3SumESD_lEEEE10hipError_tPvRmT1_T2_T3_mT4_P12ihipStream_tbEUlT_E0_NS1_11comp_targetILNS1_3genE5ELNS1_11target_archE942ELNS1_3gpuE9ELNS1_3repE0EEENS1_30default_config_static_selectorELNS0_4arch9wavefront6targetE0EEEvSM_,@function
_ZN7rocprim17ROCPRIM_400000_NS6detail17trampoline_kernelINS0_14default_configENS1_22reduce_config_selectorIbEEZNS1_11reduce_implILb1ES3_N6hipcub16HIPCUB_304000_NS22TransformInputIteratorIb7NonZeroIsEPslEEPllNS8_6detail34convert_binary_result_type_wrapperINS8_3SumESD_lEEEE10hipError_tPvRmT1_T2_T3_mT4_P12ihipStream_tbEUlT_E0_NS1_11comp_targetILNS1_3genE5ELNS1_11target_archE942ELNS1_3gpuE9ELNS1_3repE0EEENS1_30default_config_static_selectorELNS0_4arch9wavefront6targetE0EEEvSM_: ; @_ZN7rocprim17ROCPRIM_400000_NS6detail17trampoline_kernelINS0_14default_configENS1_22reduce_config_selectorIbEEZNS1_11reduce_implILb1ES3_N6hipcub16HIPCUB_304000_NS22TransformInputIteratorIb7NonZeroIsEPslEEPllNS8_6detail34convert_binary_result_type_wrapperINS8_3SumESD_lEEEE10hipError_tPvRmT1_T2_T3_mT4_P12ihipStream_tbEUlT_E0_NS1_11comp_targetILNS1_3genE5ELNS1_11target_archE942ELNS1_3gpuE9ELNS1_3repE0EEENS1_30default_config_static_selectorELNS0_4arch9wavefront6targetE0EEEvSM_
; %bb.0:
	.section	.rodata,"a",@progbits
	.p2align	6, 0x0
	.amdhsa_kernel _ZN7rocprim17ROCPRIM_400000_NS6detail17trampoline_kernelINS0_14default_configENS1_22reduce_config_selectorIbEEZNS1_11reduce_implILb1ES3_N6hipcub16HIPCUB_304000_NS22TransformInputIteratorIb7NonZeroIsEPslEEPllNS8_6detail34convert_binary_result_type_wrapperINS8_3SumESD_lEEEE10hipError_tPvRmT1_T2_T3_mT4_P12ihipStream_tbEUlT_E0_NS1_11comp_targetILNS1_3genE5ELNS1_11target_archE942ELNS1_3gpuE9ELNS1_3repE0EEENS1_30default_config_static_selectorELNS0_4arch9wavefront6targetE0EEEvSM_
		.amdhsa_group_segment_fixed_size 0
		.amdhsa_private_segment_fixed_size 0
		.amdhsa_kernarg_size 72
		.amdhsa_user_sgpr_count 15
		.amdhsa_user_sgpr_dispatch_ptr 0
		.amdhsa_user_sgpr_queue_ptr 0
		.amdhsa_user_sgpr_kernarg_segment_ptr 1
		.amdhsa_user_sgpr_dispatch_id 0
		.amdhsa_user_sgpr_private_segment_size 0
		.amdhsa_wavefront_size32 1
		.amdhsa_uses_dynamic_stack 0
		.amdhsa_enable_private_segment 0
		.amdhsa_system_sgpr_workgroup_id_x 1
		.amdhsa_system_sgpr_workgroup_id_y 0
		.amdhsa_system_sgpr_workgroup_id_z 0
		.amdhsa_system_sgpr_workgroup_info 0
		.amdhsa_system_vgpr_workitem_id 0
		.amdhsa_next_free_vgpr 1
		.amdhsa_next_free_sgpr 1
		.amdhsa_reserve_vcc 0
		.amdhsa_float_round_mode_32 0
		.amdhsa_float_round_mode_16_64 0
		.amdhsa_float_denorm_mode_32 3
		.amdhsa_float_denorm_mode_16_64 3
		.amdhsa_dx10_clamp 1
		.amdhsa_ieee_mode 1
		.amdhsa_fp16_overflow 0
		.amdhsa_workgroup_processor_mode 1
		.amdhsa_memory_ordered 1
		.amdhsa_forward_progress 0
		.amdhsa_shared_vgpr_count 0
		.amdhsa_exception_fp_ieee_invalid_op 0
		.amdhsa_exception_fp_denorm_src 0
		.amdhsa_exception_fp_ieee_div_zero 0
		.amdhsa_exception_fp_ieee_overflow 0
		.amdhsa_exception_fp_ieee_underflow 0
		.amdhsa_exception_fp_ieee_inexact 0
		.amdhsa_exception_int_div_zero 0
	.end_amdhsa_kernel
	.section	.text._ZN7rocprim17ROCPRIM_400000_NS6detail17trampoline_kernelINS0_14default_configENS1_22reduce_config_selectorIbEEZNS1_11reduce_implILb1ES3_N6hipcub16HIPCUB_304000_NS22TransformInputIteratorIb7NonZeroIsEPslEEPllNS8_6detail34convert_binary_result_type_wrapperINS8_3SumESD_lEEEE10hipError_tPvRmT1_T2_T3_mT4_P12ihipStream_tbEUlT_E0_NS1_11comp_targetILNS1_3genE5ELNS1_11target_archE942ELNS1_3gpuE9ELNS1_3repE0EEENS1_30default_config_static_selectorELNS0_4arch9wavefront6targetE0EEEvSM_,"axG",@progbits,_ZN7rocprim17ROCPRIM_400000_NS6detail17trampoline_kernelINS0_14default_configENS1_22reduce_config_selectorIbEEZNS1_11reduce_implILb1ES3_N6hipcub16HIPCUB_304000_NS22TransformInputIteratorIb7NonZeroIsEPslEEPllNS8_6detail34convert_binary_result_type_wrapperINS8_3SumESD_lEEEE10hipError_tPvRmT1_T2_T3_mT4_P12ihipStream_tbEUlT_E0_NS1_11comp_targetILNS1_3genE5ELNS1_11target_archE942ELNS1_3gpuE9ELNS1_3repE0EEENS1_30default_config_static_selectorELNS0_4arch9wavefront6targetE0EEEvSM_,comdat
.Lfunc_end100:
	.size	_ZN7rocprim17ROCPRIM_400000_NS6detail17trampoline_kernelINS0_14default_configENS1_22reduce_config_selectorIbEEZNS1_11reduce_implILb1ES3_N6hipcub16HIPCUB_304000_NS22TransformInputIteratorIb7NonZeroIsEPslEEPllNS8_6detail34convert_binary_result_type_wrapperINS8_3SumESD_lEEEE10hipError_tPvRmT1_T2_T3_mT4_P12ihipStream_tbEUlT_E0_NS1_11comp_targetILNS1_3genE5ELNS1_11target_archE942ELNS1_3gpuE9ELNS1_3repE0EEENS1_30default_config_static_selectorELNS0_4arch9wavefront6targetE0EEEvSM_, .Lfunc_end100-_ZN7rocprim17ROCPRIM_400000_NS6detail17trampoline_kernelINS0_14default_configENS1_22reduce_config_selectorIbEEZNS1_11reduce_implILb1ES3_N6hipcub16HIPCUB_304000_NS22TransformInputIteratorIb7NonZeroIsEPslEEPllNS8_6detail34convert_binary_result_type_wrapperINS8_3SumESD_lEEEE10hipError_tPvRmT1_T2_T3_mT4_P12ihipStream_tbEUlT_E0_NS1_11comp_targetILNS1_3genE5ELNS1_11target_archE942ELNS1_3gpuE9ELNS1_3repE0EEENS1_30default_config_static_selectorELNS0_4arch9wavefront6targetE0EEEvSM_
                                        ; -- End function
	.section	.AMDGPU.csdata,"",@progbits
; Kernel info:
; codeLenInByte = 0
; NumSgprs: 0
; NumVgprs: 0
; ScratchSize: 0
; MemoryBound: 0
; FloatMode: 240
; IeeeMode: 1
; LDSByteSize: 0 bytes/workgroup (compile time only)
; SGPRBlocks: 0
; VGPRBlocks: 0
; NumSGPRsForWavesPerEU: 1
; NumVGPRsForWavesPerEU: 1
; Occupancy: 16
; WaveLimiterHint : 0
; COMPUTE_PGM_RSRC2:SCRATCH_EN: 0
; COMPUTE_PGM_RSRC2:USER_SGPR: 15
; COMPUTE_PGM_RSRC2:TRAP_HANDLER: 0
; COMPUTE_PGM_RSRC2:TGID_X_EN: 1
; COMPUTE_PGM_RSRC2:TGID_Y_EN: 0
; COMPUTE_PGM_RSRC2:TGID_Z_EN: 0
; COMPUTE_PGM_RSRC2:TIDIG_COMP_CNT: 0
	.section	.text._ZN7rocprim17ROCPRIM_400000_NS6detail17trampoline_kernelINS0_14default_configENS1_22reduce_config_selectorIbEEZNS1_11reduce_implILb1ES3_N6hipcub16HIPCUB_304000_NS22TransformInputIteratorIb7NonZeroIsEPslEEPllNS8_6detail34convert_binary_result_type_wrapperINS8_3SumESD_lEEEE10hipError_tPvRmT1_T2_T3_mT4_P12ihipStream_tbEUlT_E0_NS1_11comp_targetILNS1_3genE4ELNS1_11target_archE910ELNS1_3gpuE8ELNS1_3repE0EEENS1_30default_config_static_selectorELNS0_4arch9wavefront6targetE0EEEvSM_,"axG",@progbits,_ZN7rocprim17ROCPRIM_400000_NS6detail17trampoline_kernelINS0_14default_configENS1_22reduce_config_selectorIbEEZNS1_11reduce_implILb1ES3_N6hipcub16HIPCUB_304000_NS22TransformInputIteratorIb7NonZeroIsEPslEEPllNS8_6detail34convert_binary_result_type_wrapperINS8_3SumESD_lEEEE10hipError_tPvRmT1_T2_T3_mT4_P12ihipStream_tbEUlT_E0_NS1_11comp_targetILNS1_3genE4ELNS1_11target_archE910ELNS1_3gpuE8ELNS1_3repE0EEENS1_30default_config_static_selectorELNS0_4arch9wavefront6targetE0EEEvSM_,comdat
	.protected	_ZN7rocprim17ROCPRIM_400000_NS6detail17trampoline_kernelINS0_14default_configENS1_22reduce_config_selectorIbEEZNS1_11reduce_implILb1ES3_N6hipcub16HIPCUB_304000_NS22TransformInputIteratorIb7NonZeroIsEPslEEPllNS8_6detail34convert_binary_result_type_wrapperINS8_3SumESD_lEEEE10hipError_tPvRmT1_T2_T3_mT4_P12ihipStream_tbEUlT_E0_NS1_11comp_targetILNS1_3genE4ELNS1_11target_archE910ELNS1_3gpuE8ELNS1_3repE0EEENS1_30default_config_static_selectorELNS0_4arch9wavefront6targetE0EEEvSM_ ; -- Begin function _ZN7rocprim17ROCPRIM_400000_NS6detail17trampoline_kernelINS0_14default_configENS1_22reduce_config_selectorIbEEZNS1_11reduce_implILb1ES3_N6hipcub16HIPCUB_304000_NS22TransformInputIteratorIb7NonZeroIsEPslEEPllNS8_6detail34convert_binary_result_type_wrapperINS8_3SumESD_lEEEE10hipError_tPvRmT1_T2_T3_mT4_P12ihipStream_tbEUlT_E0_NS1_11comp_targetILNS1_3genE4ELNS1_11target_archE910ELNS1_3gpuE8ELNS1_3repE0EEENS1_30default_config_static_selectorELNS0_4arch9wavefront6targetE0EEEvSM_
	.globl	_ZN7rocprim17ROCPRIM_400000_NS6detail17trampoline_kernelINS0_14default_configENS1_22reduce_config_selectorIbEEZNS1_11reduce_implILb1ES3_N6hipcub16HIPCUB_304000_NS22TransformInputIteratorIb7NonZeroIsEPslEEPllNS8_6detail34convert_binary_result_type_wrapperINS8_3SumESD_lEEEE10hipError_tPvRmT1_T2_T3_mT4_P12ihipStream_tbEUlT_E0_NS1_11comp_targetILNS1_3genE4ELNS1_11target_archE910ELNS1_3gpuE8ELNS1_3repE0EEENS1_30default_config_static_selectorELNS0_4arch9wavefront6targetE0EEEvSM_
	.p2align	8
	.type	_ZN7rocprim17ROCPRIM_400000_NS6detail17trampoline_kernelINS0_14default_configENS1_22reduce_config_selectorIbEEZNS1_11reduce_implILb1ES3_N6hipcub16HIPCUB_304000_NS22TransformInputIteratorIb7NonZeroIsEPslEEPllNS8_6detail34convert_binary_result_type_wrapperINS8_3SumESD_lEEEE10hipError_tPvRmT1_T2_T3_mT4_P12ihipStream_tbEUlT_E0_NS1_11comp_targetILNS1_3genE4ELNS1_11target_archE910ELNS1_3gpuE8ELNS1_3repE0EEENS1_30default_config_static_selectorELNS0_4arch9wavefront6targetE0EEEvSM_,@function
_ZN7rocprim17ROCPRIM_400000_NS6detail17trampoline_kernelINS0_14default_configENS1_22reduce_config_selectorIbEEZNS1_11reduce_implILb1ES3_N6hipcub16HIPCUB_304000_NS22TransformInputIteratorIb7NonZeroIsEPslEEPllNS8_6detail34convert_binary_result_type_wrapperINS8_3SumESD_lEEEE10hipError_tPvRmT1_T2_T3_mT4_P12ihipStream_tbEUlT_E0_NS1_11comp_targetILNS1_3genE4ELNS1_11target_archE910ELNS1_3gpuE8ELNS1_3repE0EEENS1_30default_config_static_selectorELNS0_4arch9wavefront6targetE0EEEvSM_: ; @_ZN7rocprim17ROCPRIM_400000_NS6detail17trampoline_kernelINS0_14default_configENS1_22reduce_config_selectorIbEEZNS1_11reduce_implILb1ES3_N6hipcub16HIPCUB_304000_NS22TransformInputIteratorIb7NonZeroIsEPslEEPllNS8_6detail34convert_binary_result_type_wrapperINS8_3SumESD_lEEEE10hipError_tPvRmT1_T2_T3_mT4_P12ihipStream_tbEUlT_E0_NS1_11comp_targetILNS1_3genE4ELNS1_11target_archE910ELNS1_3gpuE8ELNS1_3repE0EEENS1_30default_config_static_selectorELNS0_4arch9wavefront6targetE0EEEvSM_
; %bb.0:
	.section	.rodata,"a",@progbits
	.p2align	6, 0x0
	.amdhsa_kernel _ZN7rocprim17ROCPRIM_400000_NS6detail17trampoline_kernelINS0_14default_configENS1_22reduce_config_selectorIbEEZNS1_11reduce_implILb1ES3_N6hipcub16HIPCUB_304000_NS22TransformInputIteratorIb7NonZeroIsEPslEEPllNS8_6detail34convert_binary_result_type_wrapperINS8_3SumESD_lEEEE10hipError_tPvRmT1_T2_T3_mT4_P12ihipStream_tbEUlT_E0_NS1_11comp_targetILNS1_3genE4ELNS1_11target_archE910ELNS1_3gpuE8ELNS1_3repE0EEENS1_30default_config_static_selectorELNS0_4arch9wavefront6targetE0EEEvSM_
		.amdhsa_group_segment_fixed_size 0
		.amdhsa_private_segment_fixed_size 0
		.amdhsa_kernarg_size 72
		.amdhsa_user_sgpr_count 15
		.amdhsa_user_sgpr_dispatch_ptr 0
		.amdhsa_user_sgpr_queue_ptr 0
		.amdhsa_user_sgpr_kernarg_segment_ptr 1
		.amdhsa_user_sgpr_dispatch_id 0
		.amdhsa_user_sgpr_private_segment_size 0
		.amdhsa_wavefront_size32 1
		.amdhsa_uses_dynamic_stack 0
		.amdhsa_enable_private_segment 0
		.amdhsa_system_sgpr_workgroup_id_x 1
		.amdhsa_system_sgpr_workgroup_id_y 0
		.amdhsa_system_sgpr_workgroup_id_z 0
		.amdhsa_system_sgpr_workgroup_info 0
		.amdhsa_system_vgpr_workitem_id 0
		.amdhsa_next_free_vgpr 1
		.amdhsa_next_free_sgpr 1
		.amdhsa_reserve_vcc 0
		.amdhsa_float_round_mode_32 0
		.amdhsa_float_round_mode_16_64 0
		.amdhsa_float_denorm_mode_32 3
		.amdhsa_float_denorm_mode_16_64 3
		.amdhsa_dx10_clamp 1
		.amdhsa_ieee_mode 1
		.amdhsa_fp16_overflow 0
		.amdhsa_workgroup_processor_mode 1
		.amdhsa_memory_ordered 1
		.amdhsa_forward_progress 0
		.amdhsa_shared_vgpr_count 0
		.amdhsa_exception_fp_ieee_invalid_op 0
		.amdhsa_exception_fp_denorm_src 0
		.amdhsa_exception_fp_ieee_div_zero 0
		.amdhsa_exception_fp_ieee_overflow 0
		.amdhsa_exception_fp_ieee_underflow 0
		.amdhsa_exception_fp_ieee_inexact 0
		.amdhsa_exception_int_div_zero 0
	.end_amdhsa_kernel
	.section	.text._ZN7rocprim17ROCPRIM_400000_NS6detail17trampoline_kernelINS0_14default_configENS1_22reduce_config_selectorIbEEZNS1_11reduce_implILb1ES3_N6hipcub16HIPCUB_304000_NS22TransformInputIteratorIb7NonZeroIsEPslEEPllNS8_6detail34convert_binary_result_type_wrapperINS8_3SumESD_lEEEE10hipError_tPvRmT1_T2_T3_mT4_P12ihipStream_tbEUlT_E0_NS1_11comp_targetILNS1_3genE4ELNS1_11target_archE910ELNS1_3gpuE8ELNS1_3repE0EEENS1_30default_config_static_selectorELNS0_4arch9wavefront6targetE0EEEvSM_,"axG",@progbits,_ZN7rocprim17ROCPRIM_400000_NS6detail17trampoline_kernelINS0_14default_configENS1_22reduce_config_selectorIbEEZNS1_11reduce_implILb1ES3_N6hipcub16HIPCUB_304000_NS22TransformInputIteratorIb7NonZeroIsEPslEEPllNS8_6detail34convert_binary_result_type_wrapperINS8_3SumESD_lEEEE10hipError_tPvRmT1_T2_T3_mT4_P12ihipStream_tbEUlT_E0_NS1_11comp_targetILNS1_3genE4ELNS1_11target_archE910ELNS1_3gpuE8ELNS1_3repE0EEENS1_30default_config_static_selectorELNS0_4arch9wavefront6targetE0EEEvSM_,comdat
.Lfunc_end101:
	.size	_ZN7rocprim17ROCPRIM_400000_NS6detail17trampoline_kernelINS0_14default_configENS1_22reduce_config_selectorIbEEZNS1_11reduce_implILb1ES3_N6hipcub16HIPCUB_304000_NS22TransformInputIteratorIb7NonZeroIsEPslEEPllNS8_6detail34convert_binary_result_type_wrapperINS8_3SumESD_lEEEE10hipError_tPvRmT1_T2_T3_mT4_P12ihipStream_tbEUlT_E0_NS1_11comp_targetILNS1_3genE4ELNS1_11target_archE910ELNS1_3gpuE8ELNS1_3repE0EEENS1_30default_config_static_selectorELNS0_4arch9wavefront6targetE0EEEvSM_, .Lfunc_end101-_ZN7rocprim17ROCPRIM_400000_NS6detail17trampoline_kernelINS0_14default_configENS1_22reduce_config_selectorIbEEZNS1_11reduce_implILb1ES3_N6hipcub16HIPCUB_304000_NS22TransformInputIteratorIb7NonZeroIsEPslEEPllNS8_6detail34convert_binary_result_type_wrapperINS8_3SumESD_lEEEE10hipError_tPvRmT1_T2_T3_mT4_P12ihipStream_tbEUlT_E0_NS1_11comp_targetILNS1_3genE4ELNS1_11target_archE910ELNS1_3gpuE8ELNS1_3repE0EEENS1_30default_config_static_selectorELNS0_4arch9wavefront6targetE0EEEvSM_
                                        ; -- End function
	.section	.AMDGPU.csdata,"",@progbits
; Kernel info:
; codeLenInByte = 0
; NumSgprs: 0
; NumVgprs: 0
; ScratchSize: 0
; MemoryBound: 0
; FloatMode: 240
; IeeeMode: 1
; LDSByteSize: 0 bytes/workgroup (compile time only)
; SGPRBlocks: 0
; VGPRBlocks: 0
; NumSGPRsForWavesPerEU: 1
; NumVGPRsForWavesPerEU: 1
; Occupancy: 16
; WaveLimiterHint : 0
; COMPUTE_PGM_RSRC2:SCRATCH_EN: 0
; COMPUTE_PGM_RSRC2:USER_SGPR: 15
; COMPUTE_PGM_RSRC2:TRAP_HANDLER: 0
; COMPUTE_PGM_RSRC2:TGID_X_EN: 1
; COMPUTE_PGM_RSRC2:TGID_Y_EN: 0
; COMPUTE_PGM_RSRC2:TGID_Z_EN: 0
; COMPUTE_PGM_RSRC2:TIDIG_COMP_CNT: 0
	.section	.text._ZN7rocprim17ROCPRIM_400000_NS6detail17trampoline_kernelINS0_14default_configENS1_22reduce_config_selectorIbEEZNS1_11reduce_implILb1ES3_N6hipcub16HIPCUB_304000_NS22TransformInputIteratorIb7NonZeroIsEPslEEPllNS8_6detail34convert_binary_result_type_wrapperINS8_3SumESD_lEEEE10hipError_tPvRmT1_T2_T3_mT4_P12ihipStream_tbEUlT_E0_NS1_11comp_targetILNS1_3genE3ELNS1_11target_archE908ELNS1_3gpuE7ELNS1_3repE0EEENS1_30default_config_static_selectorELNS0_4arch9wavefront6targetE0EEEvSM_,"axG",@progbits,_ZN7rocprim17ROCPRIM_400000_NS6detail17trampoline_kernelINS0_14default_configENS1_22reduce_config_selectorIbEEZNS1_11reduce_implILb1ES3_N6hipcub16HIPCUB_304000_NS22TransformInputIteratorIb7NonZeroIsEPslEEPllNS8_6detail34convert_binary_result_type_wrapperINS8_3SumESD_lEEEE10hipError_tPvRmT1_T2_T3_mT4_P12ihipStream_tbEUlT_E0_NS1_11comp_targetILNS1_3genE3ELNS1_11target_archE908ELNS1_3gpuE7ELNS1_3repE0EEENS1_30default_config_static_selectorELNS0_4arch9wavefront6targetE0EEEvSM_,comdat
	.protected	_ZN7rocprim17ROCPRIM_400000_NS6detail17trampoline_kernelINS0_14default_configENS1_22reduce_config_selectorIbEEZNS1_11reduce_implILb1ES3_N6hipcub16HIPCUB_304000_NS22TransformInputIteratorIb7NonZeroIsEPslEEPllNS8_6detail34convert_binary_result_type_wrapperINS8_3SumESD_lEEEE10hipError_tPvRmT1_T2_T3_mT4_P12ihipStream_tbEUlT_E0_NS1_11comp_targetILNS1_3genE3ELNS1_11target_archE908ELNS1_3gpuE7ELNS1_3repE0EEENS1_30default_config_static_selectorELNS0_4arch9wavefront6targetE0EEEvSM_ ; -- Begin function _ZN7rocprim17ROCPRIM_400000_NS6detail17trampoline_kernelINS0_14default_configENS1_22reduce_config_selectorIbEEZNS1_11reduce_implILb1ES3_N6hipcub16HIPCUB_304000_NS22TransformInputIteratorIb7NonZeroIsEPslEEPllNS8_6detail34convert_binary_result_type_wrapperINS8_3SumESD_lEEEE10hipError_tPvRmT1_T2_T3_mT4_P12ihipStream_tbEUlT_E0_NS1_11comp_targetILNS1_3genE3ELNS1_11target_archE908ELNS1_3gpuE7ELNS1_3repE0EEENS1_30default_config_static_selectorELNS0_4arch9wavefront6targetE0EEEvSM_
	.globl	_ZN7rocprim17ROCPRIM_400000_NS6detail17trampoline_kernelINS0_14default_configENS1_22reduce_config_selectorIbEEZNS1_11reduce_implILb1ES3_N6hipcub16HIPCUB_304000_NS22TransformInputIteratorIb7NonZeroIsEPslEEPllNS8_6detail34convert_binary_result_type_wrapperINS8_3SumESD_lEEEE10hipError_tPvRmT1_T2_T3_mT4_P12ihipStream_tbEUlT_E0_NS1_11comp_targetILNS1_3genE3ELNS1_11target_archE908ELNS1_3gpuE7ELNS1_3repE0EEENS1_30default_config_static_selectorELNS0_4arch9wavefront6targetE0EEEvSM_
	.p2align	8
	.type	_ZN7rocprim17ROCPRIM_400000_NS6detail17trampoline_kernelINS0_14default_configENS1_22reduce_config_selectorIbEEZNS1_11reduce_implILb1ES3_N6hipcub16HIPCUB_304000_NS22TransformInputIteratorIb7NonZeroIsEPslEEPllNS8_6detail34convert_binary_result_type_wrapperINS8_3SumESD_lEEEE10hipError_tPvRmT1_T2_T3_mT4_P12ihipStream_tbEUlT_E0_NS1_11comp_targetILNS1_3genE3ELNS1_11target_archE908ELNS1_3gpuE7ELNS1_3repE0EEENS1_30default_config_static_selectorELNS0_4arch9wavefront6targetE0EEEvSM_,@function
_ZN7rocprim17ROCPRIM_400000_NS6detail17trampoline_kernelINS0_14default_configENS1_22reduce_config_selectorIbEEZNS1_11reduce_implILb1ES3_N6hipcub16HIPCUB_304000_NS22TransformInputIteratorIb7NonZeroIsEPslEEPllNS8_6detail34convert_binary_result_type_wrapperINS8_3SumESD_lEEEE10hipError_tPvRmT1_T2_T3_mT4_P12ihipStream_tbEUlT_E0_NS1_11comp_targetILNS1_3genE3ELNS1_11target_archE908ELNS1_3gpuE7ELNS1_3repE0EEENS1_30default_config_static_selectorELNS0_4arch9wavefront6targetE0EEEvSM_: ; @_ZN7rocprim17ROCPRIM_400000_NS6detail17trampoline_kernelINS0_14default_configENS1_22reduce_config_selectorIbEEZNS1_11reduce_implILb1ES3_N6hipcub16HIPCUB_304000_NS22TransformInputIteratorIb7NonZeroIsEPslEEPllNS8_6detail34convert_binary_result_type_wrapperINS8_3SumESD_lEEEE10hipError_tPvRmT1_T2_T3_mT4_P12ihipStream_tbEUlT_E0_NS1_11comp_targetILNS1_3genE3ELNS1_11target_archE908ELNS1_3gpuE7ELNS1_3repE0EEENS1_30default_config_static_selectorELNS0_4arch9wavefront6targetE0EEEvSM_
; %bb.0:
	.section	.rodata,"a",@progbits
	.p2align	6, 0x0
	.amdhsa_kernel _ZN7rocprim17ROCPRIM_400000_NS6detail17trampoline_kernelINS0_14default_configENS1_22reduce_config_selectorIbEEZNS1_11reduce_implILb1ES3_N6hipcub16HIPCUB_304000_NS22TransformInputIteratorIb7NonZeroIsEPslEEPllNS8_6detail34convert_binary_result_type_wrapperINS8_3SumESD_lEEEE10hipError_tPvRmT1_T2_T3_mT4_P12ihipStream_tbEUlT_E0_NS1_11comp_targetILNS1_3genE3ELNS1_11target_archE908ELNS1_3gpuE7ELNS1_3repE0EEENS1_30default_config_static_selectorELNS0_4arch9wavefront6targetE0EEEvSM_
		.amdhsa_group_segment_fixed_size 0
		.amdhsa_private_segment_fixed_size 0
		.amdhsa_kernarg_size 72
		.amdhsa_user_sgpr_count 15
		.amdhsa_user_sgpr_dispatch_ptr 0
		.amdhsa_user_sgpr_queue_ptr 0
		.amdhsa_user_sgpr_kernarg_segment_ptr 1
		.amdhsa_user_sgpr_dispatch_id 0
		.amdhsa_user_sgpr_private_segment_size 0
		.amdhsa_wavefront_size32 1
		.amdhsa_uses_dynamic_stack 0
		.amdhsa_enable_private_segment 0
		.amdhsa_system_sgpr_workgroup_id_x 1
		.amdhsa_system_sgpr_workgroup_id_y 0
		.amdhsa_system_sgpr_workgroup_id_z 0
		.amdhsa_system_sgpr_workgroup_info 0
		.amdhsa_system_vgpr_workitem_id 0
		.amdhsa_next_free_vgpr 1
		.amdhsa_next_free_sgpr 1
		.amdhsa_reserve_vcc 0
		.amdhsa_float_round_mode_32 0
		.amdhsa_float_round_mode_16_64 0
		.amdhsa_float_denorm_mode_32 3
		.amdhsa_float_denorm_mode_16_64 3
		.amdhsa_dx10_clamp 1
		.amdhsa_ieee_mode 1
		.amdhsa_fp16_overflow 0
		.amdhsa_workgroup_processor_mode 1
		.amdhsa_memory_ordered 1
		.amdhsa_forward_progress 0
		.amdhsa_shared_vgpr_count 0
		.amdhsa_exception_fp_ieee_invalid_op 0
		.amdhsa_exception_fp_denorm_src 0
		.amdhsa_exception_fp_ieee_div_zero 0
		.amdhsa_exception_fp_ieee_overflow 0
		.amdhsa_exception_fp_ieee_underflow 0
		.amdhsa_exception_fp_ieee_inexact 0
		.amdhsa_exception_int_div_zero 0
	.end_amdhsa_kernel
	.section	.text._ZN7rocprim17ROCPRIM_400000_NS6detail17trampoline_kernelINS0_14default_configENS1_22reduce_config_selectorIbEEZNS1_11reduce_implILb1ES3_N6hipcub16HIPCUB_304000_NS22TransformInputIteratorIb7NonZeroIsEPslEEPllNS8_6detail34convert_binary_result_type_wrapperINS8_3SumESD_lEEEE10hipError_tPvRmT1_T2_T3_mT4_P12ihipStream_tbEUlT_E0_NS1_11comp_targetILNS1_3genE3ELNS1_11target_archE908ELNS1_3gpuE7ELNS1_3repE0EEENS1_30default_config_static_selectorELNS0_4arch9wavefront6targetE0EEEvSM_,"axG",@progbits,_ZN7rocprim17ROCPRIM_400000_NS6detail17trampoline_kernelINS0_14default_configENS1_22reduce_config_selectorIbEEZNS1_11reduce_implILb1ES3_N6hipcub16HIPCUB_304000_NS22TransformInputIteratorIb7NonZeroIsEPslEEPllNS8_6detail34convert_binary_result_type_wrapperINS8_3SumESD_lEEEE10hipError_tPvRmT1_T2_T3_mT4_P12ihipStream_tbEUlT_E0_NS1_11comp_targetILNS1_3genE3ELNS1_11target_archE908ELNS1_3gpuE7ELNS1_3repE0EEENS1_30default_config_static_selectorELNS0_4arch9wavefront6targetE0EEEvSM_,comdat
.Lfunc_end102:
	.size	_ZN7rocprim17ROCPRIM_400000_NS6detail17trampoline_kernelINS0_14default_configENS1_22reduce_config_selectorIbEEZNS1_11reduce_implILb1ES3_N6hipcub16HIPCUB_304000_NS22TransformInputIteratorIb7NonZeroIsEPslEEPllNS8_6detail34convert_binary_result_type_wrapperINS8_3SumESD_lEEEE10hipError_tPvRmT1_T2_T3_mT4_P12ihipStream_tbEUlT_E0_NS1_11comp_targetILNS1_3genE3ELNS1_11target_archE908ELNS1_3gpuE7ELNS1_3repE0EEENS1_30default_config_static_selectorELNS0_4arch9wavefront6targetE0EEEvSM_, .Lfunc_end102-_ZN7rocprim17ROCPRIM_400000_NS6detail17trampoline_kernelINS0_14default_configENS1_22reduce_config_selectorIbEEZNS1_11reduce_implILb1ES3_N6hipcub16HIPCUB_304000_NS22TransformInputIteratorIb7NonZeroIsEPslEEPllNS8_6detail34convert_binary_result_type_wrapperINS8_3SumESD_lEEEE10hipError_tPvRmT1_T2_T3_mT4_P12ihipStream_tbEUlT_E0_NS1_11comp_targetILNS1_3genE3ELNS1_11target_archE908ELNS1_3gpuE7ELNS1_3repE0EEENS1_30default_config_static_selectorELNS0_4arch9wavefront6targetE0EEEvSM_
                                        ; -- End function
	.section	.AMDGPU.csdata,"",@progbits
; Kernel info:
; codeLenInByte = 0
; NumSgprs: 0
; NumVgprs: 0
; ScratchSize: 0
; MemoryBound: 0
; FloatMode: 240
; IeeeMode: 1
; LDSByteSize: 0 bytes/workgroup (compile time only)
; SGPRBlocks: 0
; VGPRBlocks: 0
; NumSGPRsForWavesPerEU: 1
; NumVGPRsForWavesPerEU: 1
; Occupancy: 16
; WaveLimiterHint : 0
; COMPUTE_PGM_RSRC2:SCRATCH_EN: 0
; COMPUTE_PGM_RSRC2:USER_SGPR: 15
; COMPUTE_PGM_RSRC2:TRAP_HANDLER: 0
; COMPUTE_PGM_RSRC2:TGID_X_EN: 1
; COMPUTE_PGM_RSRC2:TGID_Y_EN: 0
; COMPUTE_PGM_RSRC2:TGID_Z_EN: 0
; COMPUTE_PGM_RSRC2:TIDIG_COMP_CNT: 0
	.section	.text._ZN7rocprim17ROCPRIM_400000_NS6detail17trampoline_kernelINS0_14default_configENS1_22reduce_config_selectorIbEEZNS1_11reduce_implILb1ES3_N6hipcub16HIPCUB_304000_NS22TransformInputIteratorIb7NonZeroIsEPslEEPllNS8_6detail34convert_binary_result_type_wrapperINS8_3SumESD_lEEEE10hipError_tPvRmT1_T2_T3_mT4_P12ihipStream_tbEUlT_E0_NS1_11comp_targetILNS1_3genE2ELNS1_11target_archE906ELNS1_3gpuE6ELNS1_3repE0EEENS1_30default_config_static_selectorELNS0_4arch9wavefront6targetE0EEEvSM_,"axG",@progbits,_ZN7rocprim17ROCPRIM_400000_NS6detail17trampoline_kernelINS0_14default_configENS1_22reduce_config_selectorIbEEZNS1_11reduce_implILb1ES3_N6hipcub16HIPCUB_304000_NS22TransformInputIteratorIb7NonZeroIsEPslEEPllNS8_6detail34convert_binary_result_type_wrapperINS8_3SumESD_lEEEE10hipError_tPvRmT1_T2_T3_mT4_P12ihipStream_tbEUlT_E0_NS1_11comp_targetILNS1_3genE2ELNS1_11target_archE906ELNS1_3gpuE6ELNS1_3repE0EEENS1_30default_config_static_selectorELNS0_4arch9wavefront6targetE0EEEvSM_,comdat
	.protected	_ZN7rocprim17ROCPRIM_400000_NS6detail17trampoline_kernelINS0_14default_configENS1_22reduce_config_selectorIbEEZNS1_11reduce_implILb1ES3_N6hipcub16HIPCUB_304000_NS22TransformInputIteratorIb7NonZeroIsEPslEEPllNS8_6detail34convert_binary_result_type_wrapperINS8_3SumESD_lEEEE10hipError_tPvRmT1_T2_T3_mT4_P12ihipStream_tbEUlT_E0_NS1_11comp_targetILNS1_3genE2ELNS1_11target_archE906ELNS1_3gpuE6ELNS1_3repE0EEENS1_30default_config_static_selectorELNS0_4arch9wavefront6targetE0EEEvSM_ ; -- Begin function _ZN7rocprim17ROCPRIM_400000_NS6detail17trampoline_kernelINS0_14default_configENS1_22reduce_config_selectorIbEEZNS1_11reduce_implILb1ES3_N6hipcub16HIPCUB_304000_NS22TransformInputIteratorIb7NonZeroIsEPslEEPllNS8_6detail34convert_binary_result_type_wrapperINS8_3SumESD_lEEEE10hipError_tPvRmT1_T2_T3_mT4_P12ihipStream_tbEUlT_E0_NS1_11comp_targetILNS1_3genE2ELNS1_11target_archE906ELNS1_3gpuE6ELNS1_3repE0EEENS1_30default_config_static_selectorELNS0_4arch9wavefront6targetE0EEEvSM_
	.globl	_ZN7rocprim17ROCPRIM_400000_NS6detail17trampoline_kernelINS0_14default_configENS1_22reduce_config_selectorIbEEZNS1_11reduce_implILb1ES3_N6hipcub16HIPCUB_304000_NS22TransformInputIteratorIb7NonZeroIsEPslEEPllNS8_6detail34convert_binary_result_type_wrapperINS8_3SumESD_lEEEE10hipError_tPvRmT1_T2_T3_mT4_P12ihipStream_tbEUlT_E0_NS1_11comp_targetILNS1_3genE2ELNS1_11target_archE906ELNS1_3gpuE6ELNS1_3repE0EEENS1_30default_config_static_selectorELNS0_4arch9wavefront6targetE0EEEvSM_
	.p2align	8
	.type	_ZN7rocprim17ROCPRIM_400000_NS6detail17trampoline_kernelINS0_14default_configENS1_22reduce_config_selectorIbEEZNS1_11reduce_implILb1ES3_N6hipcub16HIPCUB_304000_NS22TransformInputIteratorIb7NonZeroIsEPslEEPllNS8_6detail34convert_binary_result_type_wrapperINS8_3SumESD_lEEEE10hipError_tPvRmT1_T2_T3_mT4_P12ihipStream_tbEUlT_E0_NS1_11comp_targetILNS1_3genE2ELNS1_11target_archE906ELNS1_3gpuE6ELNS1_3repE0EEENS1_30default_config_static_selectorELNS0_4arch9wavefront6targetE0EEEvSM_,@function
_ZN7rocprim17ROCPRIM_400000_NS6detail17trampoline_kernelINS0_14default_configENS1_22reduce_config_selectorIbEEZNS1_11reduce_implILb1ES3_N6hipcub16HIPCUB_304000_NS22TransformInputIteratorIb7NonZeroIsEPslEEPllNS8_6detail34convert_binary_result_type_wrapperINS8_3SumESD_lEEEE10hipError_tPvRmT1_T2_T3_mT4_P12ihipStream_tbEUlT_E0_NS1_11comp_targetILNS1_3genE2ELNS1_11target_archE906ELNS1_3gpuE6ELNS1_3repE0EEENS1_30default_config_static_selectorELNS0_4arch9wavefront6targetE0EEEvSM_: ; @_ZN7rocprim17ROCPRIM_400000_NS6detail17trampoline_kernelINS0_14default_configENS1_22reduce_config_selectorIbEEZNS1_11reduce_implILb1ES3_N6hipcub16HIPCUB_304000_NS22TransformInputIteratorIb7NonZeroIsEPslEEPllNS8_6detail34convert_binary_result_type_wrapperINS8_3SumESD_lEEEE10hipError_tPvRmT1_T2_T3_mT4_P12ihipStream_tbEUlT_E0_NS1_11comp_targetILNS1_3genE2ELNS1_11target_archE906ELNS1_3gpuE6ELNS1_3repE0EEENS1_30default_config_static_selectorELNS0_4arch9wavefront6targetE0EEEvSM_
; %bb.0:
	.section	.rodata,"a",@progbits
	.p2align	6, 0x0
	.amdhsa_kernel _ZN7rocprim17ROCPRIM_400000_NS6detail17trampoline_kernelINS0_14default_configENS1_22reduce_config_selectorIbEEZNS1_11reduce_implILb1ES3_N6hipcub16HIPCUB_304000_NS22TransformInputIteratorIb7NonZeroIsEPslEEPllNS8_6detail34convert_binary_result_type_wrapperINS8_3SumESD_lEEEE10hipError_tPvRmT1_T2_T3_mT4_P12ihipStream_tbEUlT_E0_NS1_11comp_targetILNS1_3genE2ELNS1_11target_archE906ELNS1_3gpuE6ELNS1_3repE0EEENS1_30default_config_static_selectorELNS0_4arch9wavefront6targetE0EEEvSM_
		.amdhsa_group_segment_fixed_size 0
		.amdhsa_private_segment_fixed_size 0
		.amdhsa_kernarg_size 72
		.amdhsa_user_sgpr_count 15
		.amdhsa_user_sgpr_dispatch_ptr 0
		.amdhsa_user_sgpr_queue_ptr 0
		.amdhsa_user_sgpr_kernarg_segment_ptr 1
		.amdhsa_user_sgpr_dispatch_id 0
		.amdhsa_user_sgpr_private_segment_size 0
		.amdhsa_wavefront_size32 1
		.amdhsa_uses_dynamic_stack 0
		.amdhsa_enable_private_segment 0
		.amdhsa_system_sgpr_workgroup_id_x 1
		.amdhsa_system_sgpr_workgroup_id_y 0
		.amdhsa_system_sgpr_workgroup_id_z 0
		.amdhsa_system_sgpr_workgroup_info 0
		.amdhsa_system_vgpr_workitem_id 0
		.amdhsa_next_free_vgpr 1
		.amdhsa_next_free_sgpr 1
		.amdhsa_reserve_vcc 0
		.amdhsa_float_round_mode_32 0
		.amdhsa_float_round_mode_16_64 0
		.amdhsa_float_denorm_mode_32 3
		.amdhsa_float_denorm_mode_16_64 3
		.amdhsa_dx10_clamp 1
		.amdhsa_ieee_mode 1
		.amdhsa_fp16_overflow 0
		.amdhsa_workgroup_processor_mode 1
		.amdhsa_memory_ordered 1
		.amdhsa_forward_progress 0
		.amdhsa_shared_vgpr_count 0
		.amdhsa_exception_fp_ieee_invalid_op 0
		.amdhsa_exception_fp_denorm_src 0
		.amdhsa_exception_fp_ieee_div_zero 0
		.amdhsa_exception_fp_ieee_overflow 0
		.amdhsa_exception_fp_ieee_underflow 0
		.amdhsa_exception_fp_ieee_inexact 0
		.amdhsa_exception_int_div_zero 0
	.end_amdhsa_kernel
	.section	.text._ZN7rocprim17ROCPRIM_400000_NS6detail17trampoline_kernelINS0_14default_configENS1_22reduce_config_selectorIbEEZNS1_11reduce_implILb1ES3_N6hipcub16HIPCUB_304000_NS22TransformInputIteratorIb7NonZeroIsEPslEEPllNS8_6detail34convert_binary_result_type_wrapperINS8_3SumESD_lEEEE10hipError_tPvRmT1_T2_T3_mT4_P12ihipStream_tbEUlT_E0_NS1_11comp_targetILNS1_3genE2ELNS1_11target_archE906ELNS1_3gpuE6ELNS1_3repE0EEENS1_30default_config_static_selectorELNS0_4arch9wavefront6targetE0EEEvSM_,"axG",@progbits,_ZN7rocprim17ROCPRIM_400000_NS6detail17trampoline_kernelINS0_14default_configENS1_22reduce_config_selectorIbEEZNS1_11reduce_implILb1ES3_N6hipcub16HIPCUB_304000_NS22TransformInputIteratorIb7NonZeroIsEPslEEPllNS8_6detail34convert_binary_result_type_wrapperINS8_3SumESD_lEEEE10hipError_tPvRmT1_T2_T3_mT4_P12ihipStream_tbEUlT_E0_NS1_11comp_targetILNS1_3genE2ELNS1_11target_archE906ELNS1_3gpuE6ELNS1_3repE0EEENS1_30default_config_static_selectorELNS0_4arch9wavefront6targetE0EEEvSM_,comdat
.Lfunc_end103:
	.size	_ZN7rocprim17ROCPRIM_400000_NS6detail17trampoline_kernelINS0_14default_configENS1_22reduce_config_selectorIbEEZNS1_11reduce_implILb1ES3_N6hipcub16HIPCUB_304000_NS22TransformInputIteratorIb7NonZeroIsEPslEEPllNS8_6detail34convert_binary_result_type_wrapperINS8_3SumESD_lEEEE10hipError_tPvRmT1_T2_T3_mT4_P12ihipStream_tbEUlT_E0_NS1_11comp_targetILNS1_3genE2ELNS1_11target_archE906ELNS1_3gpuE6ELNS1_3repE0EEENS1_30default_config_static_selectorELNS0_4arch9wavefront6targetE0EEEvSM_, .Lfunc_end103-_ZN7rocprim17ROCPRIM_400000_NS6detail17trampoline_kernelINS0_14default_configENS1_22reduce_config_selectorIbEEZNS1_11reduce_implILb1ES3_N6hipcub16HIPCUB_304000_NS22TransformInputIteratorIb7NonZeroIsEPslEEPllNS8_6detail34convert_binary_result_type_wrapperINS8_3SumESD_lEEEE10hipError_tPvRmT1_T2_T3_mT4_P12ihipStream_tbEUlT_E0_NS1_11comp_targetILNS1_3genE2ELNS1_11target_archE906ELNS1_3gpuE6ELNS1_3repE0EEENS1_30default_config_static_selectorELNS0_4arch9wavefront6targetE0EEEvSM_
                                        ; -- End function
	.section	.AMDGPU.csdata,"",@progbits
; Kernel info:
; codeLenInByte = 0
; NumSgprs: 0
; NumVgprs: 0
; ScratchSize: 0
; MemoryBound: 0
; FloatMode: 240
; IeeeMode: 1
; LDSByteSize: 0 bytes/workgroup (compile time only)
; SGPRBlocks: 0
; VGPRBlocks: 0
; NumSGPRsForWavesPerEU: 1
; NumVGPRsForWavesPerEU: 1
; Occupancy: 16
; WaveLimiterHint : 0
; COMPUTE_PGM_RSRC2:SCRATCH_EN: 0
; COMPUTE_PGM_RSRC2:USER_SGPR: 15
; COMPUTE_PGM_RSRC2:TRAP_HANDLER: 0
; COMPUTE_PGM_RSRC2:TGID_X_EN: 1
; COMPUTE_PGM_RSRC2:TGID_Y_EN: 0
; COMPUTE_PGM_RSRC2:TGID_Z_EN: 0
; COMPUTE_PGM_RSRC2:TIDIG_COMP_CNT: 0
	.section	.text._ZN7rocprim17ROCPRIM_400000_NS6detail17trampoline_kernelINS0_14default_configENS1_22reduce_config_selectorIbEEZNS1_11reduce_implILb1ES3_N6hipcub16HIPCUB_304000_NS22TransformInputIteratorIb7NonZeroIsEPslEEPllNS8_6detail34convert_binary_result_type_wrapperINS8_3SumESD_lEEEE10hipError_tPvRmT1_T2_T3_mT4_P12ihipStream_tbEUlT_E0_NS1_11comp_targetILNS1_3genE10ELNS1_11target_archE1201ELNS1_3gpuE5ELNS1_3repE0EEENS1_30default_config_static_selectorELNS0_4arch9wavefront6targetE0EEEvSM_,"axG",@progbits,_ZN7rocprim17ROCPRIM_400000_NS6detail17trampoline_kernelINS0_14default_configENS1_22reduce_config_selectorIbEEZNS1_11reduce_implILb1ES3_N6hipcub16HIPCUB_304000_NS22TransformInputIteratorIb7NonZeroIsEPslEEPllNS8_6detail34convert_binary_result_type_wrapperINS8_3SumESD_lEEEE10hipError_tPvRmT1_T2_T3_mT4_P12ihipStream_tbEUlT_E0_NS1_11comp_targetILNS1_3genE10ELNS1_11target_archE1201ELNS1_3gpuE5ELNS1_3repE0EEENS1_30default_config_static_selectorELNS0_4arch9wavefront6targetE0EEEvSM_,comdat
	.protected	_ZN7rocprim17ROCPRIM_400000_NS6detail17trampoline_kernelINS0_14default_configENS1_22reduce_config_selectorIbEEZNS1_11reduce_implILb1ES3_N6hipcub16HIPCUB_304000_NS22TransformInputIteratorIb7NonZeroIsEPslEEPllNS8_6detail34convert_binary_result_type_wrapperINS8_3SumESD_lEEEE10hipError_tPvRmT1_T2_T3_mT4_P12ihipStream_tbEUlT_E0_NS1_11comp_targetILNS1_3genE10ELNS1_11target_archE1201ELNS1_3gpuE5ELNS1_3repE0EEENS1_30default_config_static_selectorELNS0_4arch9wavefront6targetE0EEEvSM_ ; -- Begin function _ZN7rocprim17ROCPRIM_400000_NS6detail17trampoline_kernelINS0_14default_configENS1_22reduce_config_selectorIbEEZNS1_11reduce_implILb1ES3_N6hipcub16HIPCUB_304000_NS22TransformInputIteratorIb7NonZeroIsEPslEEPllNS8_6detail34convert_binary_result_type_wrapperINS8_3SumESD_lEEEE10hipError_tPvRmT1_T2_T3_mT4_P12ihipStream_tbEUlT_E0_NS1_11comp_targetILNS1_3genE10ELNS1_11target_archE1201ELNS1_3gpuE5ELNS1_3repE0EEENS1_30default_config_static_selectorELNS0_4arch9wavefront6targetE0EEEvSM_
	.globl	_ZN7rocprim17ROCPRIM_400000_NS6detail17trampoline_kernelINS0_14default_configENS1_22reduce_config_selectorIbEEZNS1_11reduce_implILb1ES3_N6hipcub16HIPCUB_304000_NS22TransformInputIteratorIb7NonZeroIsEPslEEPllNS8_6detail34convert_binary_result_type_wrapperINS8_3SumESD_lEEEE10hipError_tPvRmT1_T2_T3_mT4_P12ihipStream_tbEUlT_E0_NS1_11comp_targetILNS1_3genE10ELNS1_11target_archE1201ELNS1_3gpuE5ELNS1_3repE0EEENS1_30default_config_static_selectorELNS0_4arch9wavefront6targetE0EEEvSM_
	.p2align	8
	.type	_ZN7rocprim17ROCPRIM_400000_NS6detail17trampoline_kernelINS0_14default_configENS1_22reduce_config_selectorIbEEZNS1_11reduce_implILb1ES3_N6hipcub16HIPCUB_304000_NS22TransformInputIteratorIb7NonZeroIsEPslEEPllNS8_6detail34convert_binary_result_type_wrapperINS8_3SumESD_lEEEE10hipError_tPvRmT1_T2_T3_mT4_P12ihipStream_tbEUlT_E0_NS1_11comp_targetILNS1_3genE10ELNS1_11target_archE1201ELNS1_3gpuE5ELNS1_3repE0EEENS1_30default_config_static_selectorELNS0_4arch9wavefront6targetE0EEEvSM_,@function
_ZN7rocprim17ROCPRIM_400000_NS6detail17trampoline_kernelINS0_14default_configENS1_22reduce_config_selectorIbEEZNS1_11reduce_implILb1ES3_N6hipcub16HIPCUB_304000_NS22TransformInputIteratorIb7NonZeroIsEPslEEPllNS8_6detail34convert_binary_result_type_wrapperINS8_3SumESD_lEEEE10hipError_tPvRmT1_T2_T3_mT4_P12ihipStream_tbEUlT_E0_NS1_11comp_targetILNS1_3genE10ELNS1_11target_archE1201ELNS1_3gpuE5ELNS1_3repE0EEENS1_30default_config_static_selectorELNS0_4arch9wavefront6targetE0EEEvSM_: ; @_ZN7rocprim17ROCPRIM_400000_NS6detail17trampoline_kernelINS0_14default_configENS1_22reduce_config_selectorIbEEZNS1_11reduce_implILb1ES3_N6hipcub16HIPCUB_304000_NS22TransformInputIteratorIb7NonZeroIsEPslEEPllNS8_6detail34convert_binary_result_type_wrapperINS8_3SumESD_lEEEE10hipError_tPvRmT1_T2_T3_mT4_P12ihipStream_tbEUlT_E0_NS1_11comp_targetILNS1_3genE10ELNS1_11target_archE1201ELNS1_3gpuE5ELNS1_3repE0EEENS1_30default_config_static_selectorELNS0_4arch9wavefront6targetE0EEEvSM_
; %bb.0:
	.section	.rodata,"a",@progbits
	.p2align	6, 0x0
	.amdhsa_kernel _ZN7rocprim17ROCPRIM_400000_NS6detail17trampoline_kernelINS0_14default_configENS1_22reduce_config_selectorIbEEZNS1_11reduce_implILb1ES3_N6hipcub16HIPCUB_304000_NS22TransformInputIteratorIb7NonZeroIsEPslEEPllNS8_6detail34convert_binary_result_type_wrapperINS8_3SumESD_lEEEE10hipError_tPvRmT1_T2_T3_mT4_P12ihipStream_tbEUlT_E0_NS1_11comp_targetILNS1_3genE10ELNS1_11target_archE1201ELNS1_3gpuE5ELNS1_3repE0EEENS1_30default_config_static_selectorELNS0_4arch9wavefront6targetE0EEEvSM_
		.amdhsa_group_segment_fixed_size 0
		.amdhsa_private_segment_fixed_size 0
		.amdhsa_kernarg_size 72
		.amdhsa_user_sgpr_count 15
		.amdhsa_user_sgpr_dispatch_ptr 0
		.amdhsa_user_sgpr_queue_ptr 0
		.amdhsa_user_sgpr_kernarg_segment_ptr 1
		.amdhsa_user_sgpr_dispatch_id 0
		.amdhsa_user_sgpr_private_segment_size 0
		.amdhsa_wavefront_size32 1
		.amdhsa_uses_dynamic_stack 0
		.amdhsa_enable_private_segment 0
		.amdhsa_system_sgpr_workgroup_id_x 1
		.amdhsa_system_sgpr_workgroup_id_y 0
		.amdhsa_system_sgpr_workgroup_id_z 0
		.amdhsa_system_sgpr_workgroup_info 0
		.amdhsa_system_vgpr_workitem_id 0
		.amdhsa_next_free_vgpr 1
		.amdhsa_next_free_sgpr 1
		.amdhsa_reserve_vcc 0
		.amdhsa_float_round_mode_32 0
		.amdhsa_float_round_mode_16_64 0
		.amdhsa_float_denorm_mode_32 3
		.amdhsa_float_denorm_mode_16_64 3
		.amdhsa_dx10_clamp 1
		.amdhsa_ieee_mode 1
		.amdhsa_fp16_overflow 0
		.amdhsa_workgroup_processor_mode 1
		.amdhsa_memory_ordered 1
		.amdhsa_forward_progress 0
		.amdhsa_shared_vgpr_count 0
		.amdhsa_exception_fp_ieee_invalid_op 0
		.amdhsa_exception_fp_denorm_src 0
		.amdhsa_exception_fp_ieee_div_zero 0
		.amdhsa_exception_fp_ieee_overflow 0
		.amdhsa_exception_fp_ieee_underflow 0
		.amdhsa_exception_fp_ieee_inexact 0
		.amdhsa_exception_int_div_zero 0
	.end_amdhsa_kernel
	.section	.text._ZN7rocprim17ROCPRIM_400000_NS6detail17trampoline_kernelINS0_14default_configENS1_22reduce_config_selectorIbEEZNS1_11reduce_implILb1ES3_N6hipcub16HIPCUB_304000_NS22TransformInputIteratorIb7NonZeroIsEPslEEPllNS8_6detail34convert_binary_result_type_wrapperINS8_3SumESD_lEEEE10hipError_tPvRmT1_T2_T3_mT4_P12ihipStream_tbEUlT_E0_NS1_11comp_targetILNS1_3genE10ELNS1_11target_archE1201ELNS1_3gpuE5ELNS1_3repE0EEENS1_30default_config_static_selectorELNS0_4arch9wavefront6targetE0EEEvSM_,"axG",@progbits,_ZN7rocprim17ROCPRIM_400000_NS6detail17trampoline_kernelINS0_14default_configENS1_22reduce_config_selectorIbEEZNS1_11reduce_implILb1ES3_N6hipcub16HIPCUB_304000_NS22TransformInputIteratorIb7NonZeroIsEPslEEPllNS8_6detail34convert_binary_result_type_wrapperINS8_3SumESD_lEEEE10hipError_tPvRmT1_T2_T3_mT4_P12ihipStream_tbEUlT_E0_NS1_11comp_targetILNS1_3genE10ELNS1_11target_archE1201ELNS1_3gpuE5ELNS1_3repE0EEENS1_30default_config_static_selectorELNS0_4arch9wavefront6targetE0EEEvSM_,comdat
.Lfunc_end104:
	.size	_ZN7rocprim17ROCPRIM_400000_NS6detail17trampoline_kernelINS0_14default_configENS1_22reduce_config_selectorIbEEZNS1_11reduce_implILb1ES3_N6hipcub16HIPCUB_304000_NS22TransformInputIteratorIb7NonZeroIsEPslEEPllNS8_6detail34convert_binary_result_type_wrapperINS8_3SumESD_lEEEE10hipError_tPvRmT1_T2_T3_mT4_P12ihipStream_tbEUlT_E0_NS1_11comp_targetILNS1_3genE10ELNS1_11target_archE1201ELNS1_3gpuE5ELNS1_3repE0EEENS1_30default_config_static_selectorELNS0_4arch9wavefront6targetE0EEEvSM_, .Lfunc_end104-_ZN7rocprim17ROCPRIM_400000_NS6detail17trampoline_kernelINS0_14default_configENS1_22reduce_config_selectorIbEEZNS1_11reduce_implILb1ES3_N6hipcub16HIPCUB_304000_NS22TransformInputIteratorIb7NonZeroIsEPslEEPllNS8_6detail34convert_binary_result_type_wrapperINS8_3SumESD_lEEEE10hipError_tPvRmT1_T2_T3_mT4_P12ihipStream_tbEUlT_E0_NS1_11comp_targetILNS1_3genE10ELNS1_11target_archE1201ELNS1_3gpuE5ELNS1_3repE0EEENS1_30default_config_static_selectorELNS0_4arch9wavefront6targetE0EEEvSM_
                                        ; -- End function
	.section	.AMDGPU.csdata,"",@progbits
; Kernel info:
; codeLenInByte = 0
; NumSgprs: 0
; NumVgprs: 0
; ScratchSize: 0
; MemoryBound: 0
; FloatMode: 240
; IeeeMode: 1
; LDSByteSize: 0 bytes/workgroup (compile time only)
; SGPRBlocks: 0
; VGPRBlocks: 0
; NumSGPRsForWavesPerEU: 1
; NumVGPRsForWavesPerEU: 1
; Occupancy: 16
; WaveLimiterHint : 0
; COMPUTE_PGM_RSRC2:SCRATCH_EN: 0
; COMPUTE_PGM_RSRC2:USER_SGPR: 15
; COMPUTE_PGM_RSRC2:TRAP_HANDLER: 0
; COMPUTE_PGM_RSRC2:TGID_X_EN: 1
; COMPUTE_PGM_RSRC2:TGID_Y_EN: 0
; COMPUTE_PGM_RSRC2:TGID_Z_EN: 0
; COMPUTE_PGM_RSRC2:TIDIG_COMP_CNT: 0
	.section	.text._ZN7rocprim17ROCPRIM_400000_NS6detail17trampoline_kernelINS0_14default_configENS1_22reduce_config_selectorIbEEZNS1_11reduce_implILb1ES3_N6hipcub16HIPCUB_304000_NS22TransformInputIteratorIb7NonZeroIsEPslEEPllNS8_6detail34convert_binary_result_type_wrapperINS8_3SumESD_lEEEE10hipError_tPvRmT1_T2_T3_mT4_P12ihipStream_tbEUlT_E0_NS1_11comp_targetILNS1_3genE10ELNS1_11target_archE1200ELNS1_3gpuE4ELNS1_3repE0EEENS1_30default_config_static_selectorELNS0_4arch9wavefront6targetE0EEEvSM_,"axG",@progbits,_ZN7rocprim17ROCPRIM_400000_NS6detail17trampoline_kernelINS0_14default_configENS1_22reduce_config_selectorIbEEZNS1_11reduce_implILb1ES3_N6hipcub16HIPCUB_304000_NS22TransformInputIteratorIb7NonZeroIsEPslEEPllNS8_6detail34convert_binary_result_type_wrapperINS8_3SumESD_lEEEE10hipError_tPvRmT1_T2_T3_mT4_P12ihipStream_tbEUlT_E0_NS1_11comp_targetILNS1_3genE10ELNS1_11target_archE1200ELNS1_3gpuE4ELNS1_3repE0EEENS1_30default_config_static_selectorELNS0_4arch9wavefront6targetE0EEEvSM_,comdat
	.protected	_ZN7rocprim17ROCPRIM_400000_NS6detail17trampoline_kernelINS0_14default_configENS1_22reduce_config_selectorIbEEZNS1_11reduce_implILb1ES3_N6hipcub16HIPCUB_304000_NS22TransformInputIteratorIb7NonZeroIsEPslEEPllNS8_6detail34convert_binary_result_type_wrapperINS8_3SumESD_lEEEE10hipError_tPvRmT1_T2_T3_mT4_P12ihipStream_tbEUlT_E0_NS1_11comp_targetILNS1_3genE10ELNS1_11target_archE1200ELNS1_3gpuE4ELNS1_3repE0EEENS1_30default_config_static_selectorELNS0_4arch9wavefront6targetE0EEEvSM_ ; -- Begin function _ZN7rocprim17ROCPRIM_400000_NS6detail17trampoline_kernelINS0_14default_configENS1_22reduce_config_selectorIbEEZNS1_11reduce_implILb1ES3_N6hipcub16HIPCUB_304000_NS22TransformInputIteratorIb7NonZeroIsEPslEEPllNS8_6detail34convert_binary_result_type_wrapperINS8_3SumESD_lEEEE10hipError_tPvRmT1_T2_T3_mT4_P12ihipStream_tbEUlT_E0_NS1_11comp_targetILNS1_3genE10ELNS1_11target_archE1200ELNS1_3gpuE4ELNS1_3repE0EEENS1_30default_config_static_selectorELNS0_4arch9wavefront6targetE0EEEvSM_
	.globl	_ZN7rocprim17ROCPRIM_400000_NS6detail17trampoline_kernelINS0_14default_configENS1_22reduce_config_selectorIbEEZNS1_11reduce_implILb1ES3_N6hipcub16HIPCUB_304000_NS22TransformInputIteratorIb7NonZeroIsEPslEEPllNS8_6detail34convert_binary_result_type_wrapperINS8_3SumESD_lEEEE10hipError_tPvRmT1_T2_T3_mT4_P12ihipStream_tbEUlT_E0_NS1_11comp_targetILNS1_3genE10ELNS1_11target_archE1200ELNS1_3gpuE4ELNS1_3repE0EEENS1_30default_config_static_selectorELNS0_4arch9wavefront6targetE0EEEvSM_
	.p2align	8
	.type	_ZN7rocprim17ROCPRIM_400000_NS6detail17trampoline_kernelINS0_14default_configENS1_22reduce_config_selectorIbEEZNS1_11reduce_implILb1ES3_N6hipcub16HIPCUB_304000_NS22TransformInputIteratorIb7NonZeroIsEPslEEPllNS8_6detail34convert_binary_result_type_wrapperINS8_3SumESD_lEEEE10hipError_tPvRmT1_T2_T3_mT4_P12ihipStream_tbEUlT_E0_NS1_11comp_targetILNS1_3genE10ELNS1_11target_archE1200ELNS1_3gpuE4ELNS1_3repE0EEENS1_30default_config_static_selectorELNS0_4arch9wavefront6targetE0EEEvSM_,@function
_ZN7rocprim17ROCPRIM_400000_NS6detail17trampoline_kernelINS0_14default_configENS1_22reduce_config_selectorIbEEZNS1_11reduce_implILb1ES3_N6hipcub16HIPCUB_304000_NS22TransformInputIteratorIb7NonZeroIsEPslEEPllNS8_6detail34convert_binary_result_type_wrapperINS8_3SumESD_lEEEE10hipError_tPvRmT1_T2_T3_mT4_P12ihipStream_tbEUlT_E0_NS1_11comp_targetILNS1_3genE10ELNS1_11target_archE1200ELNS1_3gpuE4ELNS1_3repE0EEENS1_30default_config_static_selectorELNS0_4arch9wavefront6targetE0EEEvSM_: ; @_ZN7rocprim17ROCPRIM_400000_NS6detail17trampoline_kernelINS0_14default_configENS1_22reduce_config_selectorIbEEZNS1_11reduce_implILb1ES3_N6hipcub16HIPCUB_304000_NS22TransformInputIteratorIb7NonZeroIsEPslEEPllNS8_6detail34convert_binary_result_type_wrapperINS8_3SumESD_lEEEE10hipError_tPvRmT1_T2_T3_mT4_P12ihipStream_tbEUlT_E0_NS1_11comp_targetILNS1_3genE10ELNS1_11target_archE1200ELNS1_3gpuE4ELNS1_3repE0EEENS1_30default_config_static_selectorELNS0_4arch9wavefront6targetE0EEEvSM_
; %bb.0:
	.section	.rodata,"a",@progbits
	.p2align	6, 0x0
	.amdhsa_kernel _ZN7rocprim17ROCPRIM_400000_NS6detail17trampoline_kernelINS0_14default_configENS1_22reduce_config_selectorIbEEZNS1_11reduce_implILb1ES3_N6hipcub16HIPCUB_304000_NS22TransformInputIteratorIb7NonZeroIsEPslEEPllNS8_6detail34convert_binary_result_type_wrapperINS8_3SumESD_lEEEE10hipError_tPvRmT1_T2_T3_mT4_P12ihipStream_tbEUlT_E0_NS1_11comp_targetILNS1_3genE10ELNS1_11target_archE1200ELNS1_3gpuE4ELNS1_3repE0EEENS1_30default_config_static_selectorELNS0_4arch9wavefront6targetE0EEEvSM_
		.amdhsa_group_segment_fixed_size 0
		.amdhsa_private_segment_fixed_size 0
		.amdhsa_kernarg_size 72
		.amdhsa_user_sgpr_count 15
		.amdhsa_user_sgpr_dispatch_ptr 0
		.amdhsa_user_sgpr_queue_ptr 0
		.amdhsa_user_sgpr_kernarg_segment_ptr 1
		.amdhsa_user_sgpr_dispatch_id 0
		.amdhsa_user_sgpr_private_segment_size 0
		.amdhsa_wavefront_size32 1
		.amdhsa_uses_dynamic_stack 0
		.amdhsa_enable_private_segment 0
		.amdhsa_system_sgpr_workgroup_id_x 1
		.amdhsa_system_sgpr_workgroup_id_y 0
		.amdhsa_system_sgpr_workgroup_id_z 0
		.amdhsa_system_sgpr_workgroup_info 0
		.amdhsa_system_vgpr_workitem_id 0
		.amdhsa_next_free_vgpr 1
		.amdhsa_next_free_sgpr 1
		.amdhsa_reserve_vcc 0
		.amdhsa_float_round_mode_32 0
		.amdhsa_float_round_mode_16_64 0
		.amdhsa_float_denorm_mode_32 3
		.amdhsa_float_denorm_mode_16_64 3
		.amdhsa_dx10_clamp 1
		.amdhsa_ieee_mode 1
		.amdhsa_fp16_overflow 0
		.amdhsa_workgroup_processor_mode 1
		.amdhsa_memory_ordered 1
		.amdhsa_forward_progress 0
		.amdhsa_shared_vgpr_count 0
		.amdhsa_exception_fp_ieee_invalid_op 0
		.amdhsa_exception_fp_denorm_src 0
		.amdhsa_exception_fp_ieee_div_zero 0
		.amdhsa_exception_fp_ieee_overflow 0
		.amdhsa_exception_fp_ieee_underflow 0
		.amdhsa_exception_fp_ieee_inexact 0
		.amdhsa_exception_int_div_zero 0
	.end_amdhsa_kernel
	.section	.text._ZN7rocprim17ROCPRIM_400000_NS6detail17trampoline_kernelINS0_14default_configENS1_22reduce_config_selectorIbEEZNS1_11reduce_implILb1ES3_N6hipcub16HIPCUB_304000_NS22TransformInputIteratorIb7NonZeroIsEPslEEPllNS8_6detail34convert_binary_result_type_wrapperINS8_3SumESD_lEEEE10hipError_tPvRmT1_T2_T3_mT4_P12ihipStream_tbEUlT_E0_NS1_11comp_targetILNS1_3genE10ELNS1_11target_archE1200ELNS1_3gpuE4ELNS1_3repE0EEENS1_30default_config_static_selectorELNS0_4arch9wavefront6targetE0EEEvSM_,"axG",@progbits,_ZN7rocprim17ROCPRIM_400000_NS6detail17trampoline_kernelINS0_14default_configENS1_22reduce_config_selectorIbEEZNS1_11reduce_implILb1ES3_N6hipcub16HIPCUB_304000_NS22TransformInputIteratorIb7NonZeroIsEPslEEPllNS8_6detail34convert_binary_result_type_wrapperINS8_3SumESD_lEEEE10hipError_tPvRmT1_T2_T3_mT4_P12ihipStream_tbEUlT_E0_NS1_11comp_targetILNS1_3genE10ELNS1_11target_archE1200ELNS1_3gpuE4ELNS1_3repE0EEENS1_30default_config_static_selectorELNS0_4arch9wavefront6targetE0EEEvSM_,comdat
.Lfunc_end105:
	.size	_ZN7rocprim17ROCPRIM_400000_NS6detail17trampoline_kernelINS0_14default_configENS1_22reduce_config_selectorIbEEZNS1_11reduce_implILb1ES3_N6hipcub16HIPCUB_304000_NS22TransformInputIteratorIb7NonZeroIsEPslEEPllNS8_6detail34convert_binary_result_type_wrapperINS8_3SumESD_lEEEE10hipError_tPvRmT1_T2_T3_mT4_P12ihipStream_tbEUlT_E0_NS1_11comp_targetILNS1_3genE10ELNS1_11target_archE1200ELNS1_3gpuE4ELNS1_3repE0EEENS1_30default_config_static_selectorELNS0_4arch9wavefront6targetE0EEEvSM_, .Lfunc_end105-_ZN7rocprim17ROCPRIM_400000_NS6detail17trampoline_kernelINS0_14default_configENS1_22reduce_config_selectorIbEEZNS1_11reduce_implILb1ES3_N6hipcub16HIPCUB_304000_NS22TransformInputIteratorIb7NonZeroIsEPslEEPllNS8_6detail34convert_binary_result_type_wrapperINS8_3SumESD_lEEEE10hipError_tPvRmT1_T2_T3_mT4_P12ihipStream_tbEUlT_E0_NS1_11comp_targetILNS1_3genE10ELNS1_11target_archE1200ELNS1_3gpuE4ELNS1_3repE0EEENS1_30default_config_static_selectorELNS0_4arch9wavefront6targetE0EEEvSM_
                                        ; -- End function
	.section	.AMDGPU.csdata,"",@progbits
; Kernel info:
; codeLenInByte = 0
; NumSgprs: 0
; NumVgprs: 0
; ScratchSize: 0
; MemoryBound: 0
; FloatMode: 240
; IeeeMode: 1
; LDSByteSize: 0 bytes/workgroup (compile time only)
; SGPRBlocks: 0
; VGPRBlocks: 0
; NumSGPRsForWavesPerEU: 1
; NumVGPRsForWavesPerEU: 1
; Occupancy: 16
; WaveLimiterHint : 0
; COMPUTE_PGM_RSRC2:SCRATCH_EN: 0
; COMPUTE_PGM_RSRC2:USER_SGPR: 15
; COMPUTE_PGM_RSRC2:TRAP_HANDLER: 0
; COMPUTE_PGM_RSRC2:TGID_X_EN: 1
; COMPUTE_PGM_RSRC2:TGID_Y_EN: 0
; COMPUTE_PGM_RSRC2:TGID_Z_EN: 0
; COMPUTE_PGM_RSRC2:TIDIG_COMP_CNT: 0
	.section	.text._ZN7rocprim17ROCPRIM_400000_NS6detail17trampoline_kernelINS0_14default_configENS1_22reduce_config_selectorIbEEZNS1_11reduce_implILb1ES3_N6hipcub16HIPCUB_304000_NS22TransformInputIteratorIb7NonZeroIsEPslEEPllNS8_6detail34convert_binary_result_type_wrapperINS8_3SumESD_lEEEE10hipError_tPvRmT1_T2_T3_mT4_P12ihipStream_tbEUlT_E0_NS1_11comp_targetILNS1_3genE9ELNS1_11target_archE1100ELNS1_3gpuE3ELNS1_3repE0EEENS1_30default_config_static_selectorELNS0_4arch9wavefront6targetE0EEEvSM_,"axG",@progbits,_ZN7rocprim17ROCPRIM_400000_NS6detail17trampoline_kernelINS0_14default_configENS1_22reduce_config_selectorIbEEZNS1_11reduce_implILb1ES3_N6hipcub16HIPCUB_304000_NS22TransformInputIteratorIb7NonZeroIsEPslEEPllNS8_6detail34convert_binary_result_type_wrapperINS8_3SumESD_lEEEE10hipError_tPvRmT1_T2_T3_mT4_P12ihipStream_tbEUlT_E0_NS1_11comp_targetILNS1_3genE9ELNS1_11target_archE1100ELNS1_3gpuE3ELNS1_3repE0EEENS1_30default_config_static_selectorELNS0_4arch9wavefront6targetE0EEEvSM_,comdat
	.protected	_ZN7rocprim17ROCPRIM_400000_NS6detail17trampoline_kernelINS0_14default_configENS1_22reduce_config_selectorIbEEZNS1_11reduce_implILb1ES3_N6hipcub16HIPCUB_304000_NS22TransformInputIteratorIb7NonZeroIsEPslEEPllNS8_6detail34convert_binary_result_type_wrapperINS8_3SumESD_lEEEE10hipError_tPvRmT1_T2_T3_mT4_P12ihipStream_tbEUlT_E0_NS1_11comp_targetILNS1_3genE9ELNS1_11target_archE1100ELNS1_3gpuE3ELNS1_3repE0EEENS1_30default_config_static_selectorELNS0_4arch9wavefront6targetE0EEEvSM_ ; -- Begin function _ZN7rocprim17ROCPRIM_400000_NS6detail17trampoline_kernelINS0_14default_configENS1_22reduce_config_selectorIbEEZNS1_11reduce_implILb1ES3_N6hipcub16HIPCUB_304000_NS22TransformInputIteratorIb7NonZeroIsEPslEEPllNS8_6detail34convert_binary_result_type_wrapperINS8_3SumESD_lEEEE10hipError_tPvRmT1_T2_T3_mT4_P12ihipStream_tbEUlT_E0_NS1_11comp_targetILNS1_3genE9ELNS1_11target_archE1100ELNS1_3gpuE3ELNS1_3repE0EEENS1_30default_config_static_selectorELNS0_4arch9wavefront6targetE0EEEvSM_
	.globl	_ZN7rocprim17ROCPRIM_400000_NS6detail17trampoline_kernelINS0_14default_configENS1_22reduce_config_selectorIbEEZNS1_11reduce_implILb1ES3_N6hipcub16HIPCUB_304000_NS22TransformInputIteratorIb7NonZeroIsEPslEEPllNS8_6detail34convert_binary_result_type_wrapperINS8_3SumESD_lEEEE10hipError_tPvRmT1_T2_T3_mT4_P12ihipStream_tbEUlT_E0_NS1_11comp_targetILNS1_3genE9ELNS1_11target_archE1100ELNS1_3gpuE3ELNS1_3repE0EEENS1_30default_config_static_selectorELNS0_4arch9wavefront6targetE0EEEvSM_
	.p2align	8
	.type	_ZN7rocprim17ROCPRIM_400000_NS6detail17trampoline_kernelINS0_14default_configENS1_22reduce_config_selectorIbEEZNS1_11reduce_implILb1ES3_N6hipcub16HIPCUB_304000_NS22TransformInputIteratorIb7NonZeroIsEPslEEPllNS8_6detail34convert_binary_result_type_wrapperINS8_3SumESD_lEEEE10hipError_tPvRmT1_T2_T3_mT4_P12ihipStream_tbEUlT_E0_NS1_11comp_targetILNS1_3genE9ELNS1_11target_archE1100ELNS1_3gpuE3ELNS1_3repE0EEENS1_30default_config_static_selectorELNS0_4arch9wavefront6targetE0EEEvSM_,@function
_ZN7rocprim17ROCPRIM_400000_NS6detail17trampoline_kernelINS0_14default_configENS1_22reduce_config_selectorIbEEZNS1_11reduce_implILb1ES3_N6hipcub16HIPCUB_304000_NS22TransformInputIteratorIb7NonZeroIsEPslEEPllNS8_6detail34convert_binary_result_type_wrapperINS8_3SumESD_lEEEE10hipError_tPvRmT1_T2_T3_mT4_P12ihipStream_tbEUlT_E0_NS1_11comp_targetILNS1_3genE9ELNS1_11target_archE1100ELNS1_3gpuE3ELNS1_3repE0EEENS1_30default_config_static_selectorELNS0_4arch9wavefront6targetE0EEEvSM_: ; @_ZN7rocprim17ROCPRIM_400000_NS6detail17trampoline_kernelINS0_14default_configENS1_22reduce_config_selectorIbEEZNS1_11reduce_implILb1ES3_N6hipcub16HIPCUB_304000_NS22TransformInputIteratorIb7NonZeroIsEPslEEPllNS8_6detail34convert_binary_result_type_wrapperINS8_3SumESD_lEEEE10hipError_tPvRmT1_T2_T3_mT4_P12ihipStream_tbEUlT_E0_NS1_11comp_targetILNS1_3genE9ELNS1_11target_archE1100ELNS1_3gpuE3ELNS1_3repE0EEENS1_30default_config_static_selectorELNS0_4arch9wavefront6targetE0EEEvSM_
; %bb.0:
	s_clause 0x2
	s_load_b256 s[16:23], s[0:1], 0x10
	s_load_b64 s[4:5], s[0:1], 0x0
	s_load_b128 s[24:27], s[0:1], 0x30
	s_mov_b32 s3, 0
	v_lshlrev_b32_e32 v34, 1, v0
	v_mbcnt_lo_u32_b32 v33, -1, 0
	s_mov_b32 s28, s15
	s_mov_b32 s29, s3
	s_waitcnt lgkmcnt(0)
	s_lshl_b64 s[0:1], s[16:17], 1
	s_delay_alu instid0(SALU_CYCLE_1) | instskip(SKIP_4) | instid1(SALU_CYCLE_1)
	s_add_u32 s6, s4, s0
	s_addc_u32 s7, s5, s1
	s_lshl_b32 s2, s15, 11
	s_lshr_b64 s[4:5], s[18:19], 11
	s_lshl_b64 s[0:1], s[2:3], 1
	s_add_u32 s14, s6, s0
	s_addc_u32 s15, s7, s1
	s_cmp_lg_u64 s[4:5], s[28:29]
	s_cbranch_scc0 .LBB106_6
; %bb.1:
	s_clause 0xf
	global_load_u16 v1, v34, s[14:15]
	global_load_u16 v2, v34, s[14:15] offset:256
	global_load_u16 v3, v34, s[14:15] offset:512
	;; [unrolled: 1-line block ×15, first 2 shown]
	s_waitcnt vmcnt(15)
	v_cmp_ne_u16_e32 vcc_lo, 0, v1
	v_cndmask_b32_e64 v1, 0, 1, vcc_lo
	s_waitcnt vmcnt(14)
	v_cmp_ne_u16_e32 vcc_lo, 0, v2
	v_cndmask_b32_e64 v2, 0, 1, vcc_lo
	s_waitcnt vmcnt(13)
	v_cmp_ne_u16_e32 vcc_lo, 0, v3
	s_delay_alu instid0(VALU_DEP_2)
	v_add_co_u32 v1, s0, v2, v1
	v_cndmask_b32_e64 v3, 0, 1, vcc_lo
	s_waitcnt vmcnt(12)
	v_cmp_ne_u16_e32 vcc_lo, 0, v4
	v_add_co_ci_u32_e64 v4, null, 0, 0, s0
	s_waitcnt vmcnt(11)
	v_cmp_ne_u16_e64 s0, 0, v5
	v_cndmask_b32_e64 v2, 0, 1, vcc_lo
	v_add_co_u32 v1, vcc_lo, v1, v3
	v_add_co_ci_u32_e32 v4, vcc_lo, 0, v4, vcc_lo
	s_delay_alu instid0(VALU_DEP_4) | instskip(NEXT) | instid1(VALU_DEP_3)
	v_cndmask_b32_e64 v3, 0, 1, s0
	v_add_co_u32 v1, vcc_lo, v1, v2
	s_waitcnt vmcnt(10)
	v_cmp_ne_u16_e64 s0, 0, v6
	v_add_co_ci_u32_e32 v4, vcc_lo, 0, v4, vcc_lo
	s_delay_alu instid0(VALU_DEP_3) | instskip(NEXT) | instid1(VALU_DEP_3)
	v_add_co_u32 v1, vcc_lo, v1, v3
	v_cndmask_b32_e64 v2, 0, 1, s0
	s_waitcnt vmcnt(9)
	v_cmp_ne_u16_e64 s0, 0, v7
	v_add_co_ci_u32_e32 v4, vcc_lo, 0, v4, vcc_lo
	s_delay_alu instid0(VALU_DEP_3) | instskip(NEXT) | instid1(VALU_DEP_3)
	v_add_co_u32 v1, vcc_lo, v1, v2
	v_cndmask_b32_e64 v3, 0, 1, s0
	;; [unrolled: 6-line block ×11, first 2 shown]
	s_delay_alu instid0(VALU_DEP_3) | instskip(SKIP_2) | instid1(VALU_DEP_3)
	v_add_co_ci_u32_e32 v3, vcc_lo, 0, v4, vcc_lo
	v_mov_b32_e32 v4, 0
	s_mov_b32 s0, exec_lo
	v_add_co_u32 v1, vcc_lo, v1, v2
	s_delay_alu instid0(VALU_DEP_3) | instskip(NEXT) | instid1(VALU_DEP_2)
	v_add_co_ci_u32_e32 v2, vcc_lo, 0, v3, vcc_lo
	v_mov_b32_dpp v3, v1 quad_perm:[1,0,3,2] row_mask:0xf bank_mask:0xf
	s_delay_alu instid0(VALU_DEP_1) | instskip(SKIP_1) | instid1(VALU_DEP_4)
	v_add_co_u32 v1, vcc_lo, v1, v3
	v_mov_b32_dpp v3, v4 quad_perm:[1,0,3,2] row_mask:0xf bank_mask:0xf
	v_add_co_ci_u32_e32 v2, vcc_lo, 0, v2, vcc_lo
	s_delay_alu instid0(VALU_DEP_3) | instskip(SKIP_1) | instid1(VALU_DEP_3)
	v_mov_b32_dpp v5, v1 quad_perm:[2,3,0,1] row_mask:0xf bank_mask:0xf
	v_add_co_u32 v1, vcc_lo, 0, v1
	v_add_co_ci_u32_e32 v2, vcc_lo, v3, v2, vcc_lo
	s_delay_alu instid0(VALU_DEP_2) | instskip(NEXT) | instid1(VALU_DEP_2)
	v_add_co_u32 v1, vcc_lo, v1, v5
	v_mov_b32_dpp v3, v2 quad_perm:[2,3,0,1] row_mask:0xf bank_mask:0xf
	v_add_co_ci_u32_e32 v2, vcc_lo, 0, v2, vcc_lo
	s_delay_alu instid0(VALU_DEP_3) | instskip(SKIP_1) | instid1(VALU_DEP_3)
	v_mov_b32_dpp v5, v1 row_ror:4 row_mask:0xf bank_mask:0xf
	v_add_co_u32 v1, vcc_lo, v1, 0
	v_add_co_ci_u32_e32 v2, vcc_lo, v2, v3, vcc_lo
	s_delay_alu instid0(VALU_DEP_2) | instskip(NEXT) | instid1(VALU_DEP_2)
	v_add_co_u32 v1, vcc_lo, v1, v5
	v_mov_b32_dpp v3, v2 row_ror:4 row_mask:0xf bank_mask:0xf
	v_add_co_ci_u32_e32 v2, vcc_lo, 0, v2, vcc_lo
	s_delay_alu instid0(VALU_DEP_3) | instskip(SKIP_1) | instid1(VALU_DEP_3)
	v_mov_b32_dpp v5, v1 row_ror:8 row_mask:0xf bank_mask:0xf
	v_add_co_u32 v1, vcc_lo, v1, 0
	v_add_co_ci_u32_e32 v2, vcc_lo, v2, v3, vcc_lo
	s_delay_alu instid0(VALU_DEP_2) | instskip(NEXT) | instid1(VALU_DEP_2)
	v_add_co_u32 v1, vcc_lo, v1, v5
	v_mov_b32_dpp v3, v2 row_ror:8 row_mask:0xf bank_mask:0xf
	v_add_co_ci_u32_e32 v2, vcc_lo, 0, v2, vcc_lo
	ds_swizzle_b32 v5, v1 offset:swizzle(BROADCAST,32,15)
	v_add_co_u32 v1, vcc_lo, v1, 0
	v_add_co_ci_u32_e32 v2, vcc_lo, v2, v3, vcc_lo
	ds_swizzle_b32 v3, v2 offset:swizzle(BROADCAST,32,15)
	s_waitcnt lgkmcnt(1)
	v_add_co_u32 v1, vcc_lo, v1, v5
	v_add_co_ci_u32_e32 v2, vcc_lo, 0, v2, vcc_lo
	ds_bpermute_b32 v1, v4, v1 offset:124
	s_waitcnt lgkmcnt(1)
	v_add_nc_u32_e32 v2, v3, v2
	ds_bpermute_b32 v2, v4, v2 offset:124
	v_cmpx_eq_u32_e32 0, v33
	s_cbranch_execz .LBB106_3
; %bb.2:
	v_lshrrev_b32_e32 v3, 2, v0
	s_delay_alu instid0(VALU_DEP_1)
	v_and_b32_e32 v3, 24, v3
	s_waitcnt lgkmcnt(0)
	ds_store_b64 v3, v[1:2]
.LBB106_3:
	s_or_b32 exec_lo, exec_lo, s0
	s_delay_alu instid0(SALU_CYCLE_1)
	s_mov_b32 s0, exec_lo
	s_waitcnt lgkmcnt(0)
	s_barrier
	buffer_gl0_inv
	v_cmpx_gt_u32_e32 32, v0
	s_cbranch_execz .LBB106_5
; %bb.4:
	v_and_b32_e32 v3, 3, v33
	s_delay_alu instid0(VALU_DEP_1) | instskip(SKIP_4) | instid1(VALU_DEP_2)
	v_lshlrev_b32_e32 v1, 3, v3
	v_cmp_ne_u32_e32 vcc_lo, 3, v3
	ds_load_b64 v[1:2], v1
	v_add_co_ci_u32_e32 v4, vcc_lo, 0, v33, vcc_lo
	v_cmp_gt_u32_e32 vcc_lo, 2, v3
	v_lshlrev_b32_e32 v4, 2, v4
	v_cndmask_b32_e64 v3, 0, 1, vcc_lo
	s_delay_alu instid0(VALU_DEP_1) | instskip(NEXT) | instid1(VALU_DEP_1)
	v_lshlrev_b32_e32 v3, 1, v3
	v_add_lshl_u32 v3, v3, v33, 2
	s_waitcnt lgkmcnt(0)
	ds_bpermute_b32 v5, v4, v1
	ds_bpermute_b32 v4, v4, v2
	s_waitcnt lgkmcnt(1)
	v_add_co_u32 v1, vcc_lo, v1, v5
	v_add_co_ci_u32_e32 v2, vcc_lo, 0, v2, vcc_lo
	ds_bpermute_b32 v5, v3, v1
	v_add_co_u32 v1, vcc_lo, 0, v1
	s_waitcnt lgkmcnt(1)
	v_add_co_ci_u32_e32 v2, vcc_lo, v4, v2, vcc_lo
	ds_bpermute_b32 v3, v3, v2
	s_waitcnt lgkmcnt(1)
	v_add_co_u32 v1, vcc_lo, v1, v5
	v_add_co_ci_u32_e32 v2, vcc_lo, 0, v2, vcc_lo
	s_delay_alu instid0(VALU_DEP_2) | instskip(SKIP_1) | instid1(VALU_DEP_2)
	v_add_co_u32 v1, vcc_lo, v1, 0
	s_waitcnt lgkmcnt(0)
	v_add_co_ci_u32_e32 v2, vcc_lo, v2, v3, vcc_lo
.LBB106_5:
	s_or_b32 exec_lo, exec_lo, s0
	s_branch .LBB106_58
.LBB106_6:
                                        ; implicit-def: $vgpr1_vgpr2
	s_cbranch_execz .LBB106_58
; %bb.7:
	s_sub_i32 s16, s18, s2
	s_mov_b32 s0, exec_lo
                                        ; implicit-def: $vgpr1_vgpr2_vgpr3_vgpr4_vgpr5_vgpr6_vgpr7_vgpr8_vgpr9_vgpr10_vgpr11_vgpr12_vgpr13_vgpr14_vgpr15_vgpr16_vgpr17_vgpr18_vgpr19_vgpr20_vgpr21_vgpr22_vgpr23_vgpr24_vgpr25_vgpr26_vgpr27_vgpr28_vgpr29_vgpr30_vgpr31_vgpr32
	v_cmpx_gt_u32_e64 s16, v0
	s_cbranch_execz .LBB106_9
; %bb.8:
	global_load_u16 v1, v34, s[14:15]
	v_mov_b32_e32 v2, 0
	s_waitcnt vmcnt(0)
	v_cmp_ne_u16_e32 vcc_lo, 0, v1
	v_cndmask_b32_e64 v1, 0, 1, vcc_lo
.LBB106_9:
	s_or_b32 exec_lo, exec_lo, s0
	v_or_b32_e32 v35, 0x80, v0
	s_delay_alu instid0(VALU_DEP_1)
	v_cmp_gt_u32_e32 vcc_lo, s16, v35
	s_and_saveexec_b32 s1, vcc_lo
	s_cbranch_execz .LBB106_11
; %bb.10:
	global_load_u16 v3, v34, s[14:15] offset:256
	v_mov_b32_e32 v4, 0
	s_waitcnt vmcnt(0)
	v_cmp_ne_u16_e64 s0, 0, v3
	s_delay_alu instid0(VALU_DEP_1)
	v_cndmask_b32_e64 v3, 0, 1, s0
.LBB106_11:
	s_or_b32 exec_lo, exec_lo, s1
	v_or_b32_e32 v35, 0x100, v0
	s_delay_alu instid0(VALU_DEP_1) | instskip(NEXT) | instid1(VALU_DEP_1)
	v_cmp_gt_u32_e64 s0, s16, v35
	s_and_saveexec_b32 s2, s0
	s_cbranch_execz .LBB106_13
; %bb.12:
	global_load_u16 v5, v34, s[14:15] offset:512
	v_mov_b32_e32 v6, 0
	s_waitcnt vmcnt(0)
	v_cmp_ne_u16_e64 s1, 0, v5
	s_delay_alu instid0(VALU_DEP_1)
	v_cndmask_b32_e64 v5, 0, 1, s1
.LBB106_13:
	s_or_b32 exec_lo, exec_lo, s2
	v_or_b32_e32 v35, 0x180, v0
	s_delay_alu instid0(VALU_DEP_1) | instskip(NEXT) | instid1(VALU_DEP_1)
	v_cmp_gt_u32_e64 s1, s16, v35
	s_and_saveexec_b32 s3, s1
	;; [unrolled: 14-line block ×14, first 2 shown]
	s_cbranch_execz .LBB106_39
; %bb.38:
	global_load_u16 v31, v34, s[14:15] offset:3840
	v_mov_b32_e32 v32, 0
	s_waitcnt vmcnt(0)
	v_cmp_ne_u16_e64 s14, 0, v31
	s_delay_alu instid0(VALU_DEP_1)
	v_cndmask_b32_e64 v31, 0, 1, s14
.LBB106_39:
	s_or_b32 exec_lo, exec_lo, s17
	v_dual_cndmask_b32 v3, 0, v3 :: v_dual_cndmask_b32 v4, 0, v4
	v_cndmask_b32_e64 v5, 0, v5, s0
	v_cndmask_b32_e64 v6, 0, v6, s0
	s_min_u32 s0, s16, 0x80
	s_delay_alu instid0(VALU_DEP_3) | instskip(SKIP_2) | instid1(VALU_DEP_3)
	v_add_co_u32 v1, vcc_lo, v3, v1
	v_add_co_ci_u32_e32 v2, vcc_lo, v4, v2, vcc_lo
	v_cndmask_b32_e64 v3, 0, v7, s1
	v_add_co_u32 v1, vcc_lo, v1, v5
	s_delay_alu instid0(VALU_DEP_3) | instskip(SKIP_2) | instid1(VALU_DEP_4)
	v_add_co_ci_u32_e32 v2, vcc_lo, v2, v6, vcc_lo
	v_cndmask_b32_e64 v4, 0, v8, s1
	v_cndmask_b32_e64 v5, 0, v9, s2
	v_add_co_u32 v1, vcc_lo, v1, v3
	v_cndmask_b32_e64 v3, 0, v10, s2
	s_delay_alu instid0(VALU_DEP_4) | instskip(SKIP_1) | instid1(VALU_DEP_4)
	v_add_co_ci_u32_e32 v2, vcc_lo, v2, v4, vcc_lo
	v_cndmask_b32_e64 v4, 0, v11, s3
	v_add_co_u32 v1, vcc_lo, v1, v5
	s_delay_alu instid0(VALU_DEP_3) | instskip(SKIP_2) | instid1(VALU_DEP_4)
	v_add_co_ci_u32_e32 v2, vcc_lo, v2, v3, vcc_lo
	v_cndmask_b32_e64 v3, 0, v12, s3
	v_cndmask_b32_e64 v5, 0, v13, s4
	v_add_co_u32 v1, vcc_lo, v1, v4
	v_cndmask_b32_e64 v4, 0, v15, s5
	s_delay_alu instid0(VALU_DEP_4) | instskip(SKIP_1) | instid1(VALU_DEP_4)
	v_add_co_ci_u32_e32 v2, vcc_lo, v2, v3, vcc_lo
	v_cndmask_b32_e64 v3, 0, v14, s4
	v_add_co_u32 v1, vcc_lo, v1, v5
	v_cndmask_b32_e64 v5, 0, v17, s6
	s_delay_alu instid0(VALU_DEP_3) | instskip(SKIP_1) | instid1(VALU_DEP_4)
	v_add_co_ci_u32_e32 v2, vcc_lo, v2, v3, vcc_lo
	v_cndmask_b32_e64 v3, 0, v16, s5
	v_add_co_u32 v1, vcc_lo, v1, v4
	v_cndmask_b32_e64 v4, 0, v19, s7
	s_delay_alu instid0(VALU_DEP_3) | instskip(SKIP_1) | instid1(VALU_DEP_4)
	;; [unrolled: 5-line block ×7, first 2 shown]
	v_add_co_ci_u32_e32 v2, vcc_lo, v2, v3, vcc_lo
	v_cndmask_b32_e64 v3, 0, v28, s11
	v_add_co_u32 v1, vcc_lo, v1, v4
	v_cndmask_b32_e64 v4, 0, v29, s12
	s_delay_alu instid0(VALU_DEP_3) | instskip(SKIP_4) | instid1(VALU_DEP_3)
	v_add_co_ci_u32_e32 v2, vcc_lo, v2, v3, vcc_lo
	v_cmp_ne_u32_e32 vcc_lo, 31, v33
	v_cndmask_b32_e64 v3, 0, v30, s12
	v_add_co_ci_u32_e32 v6, vcc_lo, 0, v33, vcc_lo
	v_add_co_u32 v1, vcc_lo, v1, v4
	v_add_co_ci_u32_e32 v2, vcc_lo, v2, v3, vcc_lo
	v_cndmask_b32_e64 v3, 0, v32, s13
	s_delay_alu instid0(VALU_DEP_3) | instskip(SKIP_1) | instid1(VALU_DEP_3)
	v_add_co_u32 v1, vcc_lo, v1, v5
	v_lshlrev_b32_e32 v4, 2, v6
	v_add_co_ci_u32_e32 v2, vcc_lo, v2, v3, vcc_lo
	v_and_b32_e32 v3, 0x60, v0
	ds_bpermute_b32 v6, v4, v1
	ds_bpermute_b32 v5, v4, v2
	v_add_nc_u32_e32 v4, 1, v33
	v_sub_nc_u32_e64 v3, s0, v3 clamp
	s_delay_alu instid0(VALU_DEP_1)
	v_cmp_lt_u32_e32 vcc_lo, v4, v3
	v_mov_b32_e32 v4, v1
	s_and_saveexec_b32 s1, vcc_lo
	s_cbranch_execz .LBB106_41
; %bb.40:
	s_waitcnt lgkmcnt(1)
	v_add_co_u32 v4, vcc_lo, v1, v6
	v_add_co_ci_u32_e32 v2, vcc_lo, 0, v2, vcc_lo
	s_delay_alu instid0(VALU_DEP_2) | instskip(SKIP_1) | instid1(VALU_DEP_2)
	v_add_co_u32 v1, vcc_lo, v4, 0
	s_waitcnt lgkmcnt(0)
	v_add_co_ci_u32_e32 v2, vcc_lo, v2, v5, vcc_lo
.LBB106_41:
	s_or_b32 exec_lo, exec_lo, s1
	v_cmp_gt_u32_e32 vcc_lo, 30, v33
	v_add_nc_u32_e32 v7, 2, v33
	s_mov_b32 s1, exec_lo
	s_waitcnt lgkmcnt(0)
	v_cndmask_b32_e64 v5, 0, 1, vcc_lo
	s_delay_alu instid0(VALU_DEP_1) | instskip(NEXT) | instid1(VALU_DEP_1)
	v_lshlrev_b32_e32 v5, 1, v5
	v_add_lshl_u32 v5, v5, v33, 2
	ds_bpermute_b32 v6, v5, v4
	ds_bpermute_b32 v5, v5, v2
	v_cmpx_lt_u32_e64 v7, v3
	s_cbranch_execz .LBB106_43
; %bb.42:
	s_waitcnt lgkmcnt(1)
	v_add_co_u32 v4, vcc_lo, v1, v6
	v_add_co_ci_u32_e32 v2, vcc_lo, 0, v2, vcc_lo
	s_delay_alu instid0(VALU_DEP_2) | instskip(SKIP_1) | instid1(VALU_DEP_2)
	v_add_co_u32 v1, vcc_lo, 0, v4
	s_waitcnt lgkmcnt(0)
	v_add_co_ci_u32_e32 v2, vcc_lo, v5, v2, vcc_lo
.LBB106_43:
	s_or_b32 exec_lo, exec_lo, s1
	v_cmp_gt_u32_e32 vcc_lo, 28, v33
	v_add_nc_u32_e32 v7, 4, v33
	s_mov_b32 s1, exec_lo
	s_waitcnt lgkmcnt(0)
	v_cndmask_b32_e64 v5, 0, 1, vcc_lo
	s_delay_alu instid0(VALU_DEP_1) | instskip(NEXT) | instid1(VALU_DEP_1)
	v_lshlrev_b32_e32 v5, 2, v5
	v_add_lshl_u32 v5, v5, v33, 2
	ds_bpermute_b32 v6, v5, v4
	ds_bpermute_b32 v5, v5, v2
	v_cmpx_lt_u32_e64 v7, v3
	s_cbranch_execz .LBB106_45
; %bb.44:
	s_waitcnt lgkmcnt(1)
	v_add_co_u32 v4, vcc_lo, v1, v6
	v_add_co_ci_u32_e32 v2, vcc_lo, 0, v2, vcc_lo
	s_delay_alu instid0(VALU_DEP_2) | instskip(SKIP_1) | instid1(VALU_DEP_2)
	v_add_co_u32 v1, vcc_lo, 0, v4
	s_waitcnt lgkmcnt(0)
	v_add_co_ci_u32_e32 v2, vcc_lo, v5, v2, vcc_lo
.LBB106_45:
	s_or_b32 exec_lo, exec_lo, s1
	v_cmp_gt_u32_e32 vcc_lo, 24, v33
	v_add_nc_u32_e32 v7, 8, v33
	s_mov_b32 s1, exec_lo
	s_waitcnt lgkmcnt(0)
	v_cndmask_b32_e64 v5, 0, 1, vcc_lo
	s_delay_alu instid0(VALU_DEP_1) | instskip(NEXT) | instid1(VALU_DEP_1)
	v_lshlrev_b32_e32 v5, 3, v5
	v_add_lshl_u32 v5, v5, v33, 2
	ds_bpermute_b32 v6, v5, v4
	ds_bpermute_b32 v5, v5, v2
	v_cmpx_lt_u32_e64 v7, v3
	s_cbranch_execz .LBB106_47
; %bb.46:
	s_waitcnt lgkmcnt(1)
	v_add_co_u32 v4, vcc_lo, v1, v6
	v_add_co_ci_u32_e32 v2, vcc_lo, 0, v2, vcc_lo
	s_delay_alu instid0(VALU_DEP_2) | instskip(SKIP_1) | instid1(VALU_DEP_2)
	v_add_co_u32 v1, vcc_lo, 0, v4
	s_waitcnt lgkmcnt(0)
	v_add_co_ci_u32_e32 v2, vcc_lo, v5, v2, vcc_lo
.LBB106_47:
	s_or_b32 exec_lo, exec_lo, s1
	v_cmp_gt_u32_e32 vcc_lo, 16, v33
	s_mov_b32 s1, exec_lo
	s_waitcnt lgkmcnt(0)
	v_cndmask_b32_e64 v5, 0, 1, vcc_lo
	s_delay_alu instid0(VALU_DEP_1) | instskip(NEXT) | instid1(VALU_DEP_1)
	v_lshlrev_b32_e32 v5, 4, v5
	v_add_lshl_u32 v6, v5, v33, 2
	ds_bpermute_b32 v5, v6, v4
	ds_bpermute_b32 v4, v6, v2
	v_add_nc_u32_e32 v6, 16, v33
	s_delay_alu instid0(VALU_DEP_1)
	v_cmpx_lt_u32_e64 v6, v3
	s_cbranch_execz .LBB106_49
; %bb.48:
	s_waitcnt lgkmcnt(1)
	v_add_co_u32 v1, vcc_lo, v1, v5
	v_add_co_ci_u32_e32 v2, vcc_lo, 0, v2, vcc_lo
	s_delay_alu instid0(VALU_DEP_2) | instskip(SKIP_1) | instid1(VALU_DEP_2)
	v_add_co_u32 v1, vcc_lo, v1, 0
	s_waitcnt lgkmcnt(0)
	v_add_co_ci_u32_e32 v2, vcc_lo, v2, v4, vcc_lo
.LBB106_49:
	s_or_b32 exec_lo, exec_lo, s1
	s_delay_alu instid0(SALU_CYCLE_1)
	s_mov_b32 s1, exec_lo
	v_cmpx_eq_u32_e32 0, v33
	s_cbranch_execz .LBB106_51
; %bb.50:
	v_lshrrev_b32_e32 v3, 2, v0
	s_delay_alu instid0(VALU_DEP_1)
	v_and_b32_e32 v3, 24, v3
	ds_store_b64 v3, v[1:2] offset:32
.LBB106_51:
	s_or_b32 exec_lo, exec_lo, s1
	s_delay_alu instid0(SALU_CYCLE_1)
	s_mov_b32 s1, exec_lo
	s_waitcnt lgkmcnt(0)
	s_barrier
	buffer_gl0_inv
	v_cmpx_gt_u32_e32 4, v0
	s_cbranch_execz .LBB106_57
; %bb.52:
	v_lshlrev_b32_e32 v1, 3, v33
	s_add_i32 s0, s0, 31
	s_delay_alu instid0(SALU_CYCLE_1) | instskip(SKIP_2) | instid1(VALU_DEP_1)
	s_lshr_b32 s0, s0, 5
	ds_load_b64 v[1:2], v1 offset:32
	v_and_b32_e32 v3, 3, v33
	v_cmp_ne_u32_e32 vcc_lo, 3, v3
	v_add_co_ci_u32_e32 v4, vcc_lo, 0, v33, vcc_lo
	s_delay_alu instid0(VALU_DEP_1) | instskip(SKIP_4) | instid1(VALU_DEP_1)
	v_lshlrev_b32_e32 v4, 2, v4
	s_waitcnt lgkmcnt(0)
	ds_bpermute_b32 v6, v4, v1
	ds_bpermute_b32 v5, v4, v2
	v_add_nc_u32_e32 v4, 1, v3
	v_cmp_gt_u32_e32 vcc_lo, s0, v4
	v_mov_b32_e32 v4, v1
	s_and_saveexec_b32 s2, vcc_lo
	s_cbranch_execz .LBB106_54
; %bb.53:
	s_waitcnt lgkmcnt(1)
	v_add_co_u32 v4, vcc_lo, v1, v6
	v_add_co_ci_u32_e32 v2, vcc_lo, 0, v2, vcc_lo
	s_delay_alu instid0(VALU_DEP_2) | instskip(SKIP_1) | instid1(VALU_DEP_2)
	v_add_co_u32 v1, vcc_lo, 0, v4
	s_waitcnt lgkmcnt(0)
	v_add_co_ci_u32_e32 v2, vcc_lo, v5, v2, vcc_lo
.LBB106_54:
	s_or_b32 exec_lo, exec_lo, s2
	v_cmp_gt_u32_e32 vcc_lo, 2, v3
	v_add_nc_u32_e32 v3, 2, v3
	s_waitcnt lgkmcnt(0)
	v_cndmask_b32_e64 v5, 0, 1, vcc_lo
	s_delay_alu instid0(VALU_DEP_2) | instskip(NEXT) | instid1(VALU_DEP_2)
	v_cmp_gt_u32_e32 vcc_lo, s0, v3
	v_lshlrev_b32_e32 v5, 1, v5
	s_delay_alu instid0(VALU_DEP_1)
	v_add_lshl_u32 v6, v5, v33, 2
	ds_bpermute_b32 v5, v6, v4
	ds_bpermute_b32 v4, v6, v2
	s_and_saveexec_b32 s0, vcc_lo
	s_cbranch_execz .LBB106_56
; %bb.55:
	s_waitcnt lgkmcnt(1)
	v_add_co_u32 v1, vcc_lo, v1, v5
	v_add_co_ci_u32_e32 v2, vcc_lo, 0, v2, vcc_lo
	s_delay_alu instid0(VALU_DEP_2) | instskip(SKIP_1) | instid1(VALU_DEP_2)
	v_add_co_u32 v1, vcc_lo, v1, 0
	s_waitcnt lgkmcnt(0)
	v_add_co_ci_u32_e32 v2, vcc_lo, v2, v4, vcc_lo
.LBB106_56:
	s_or_b32 exec_lo, exec_lo, s0
.LBB106_57:
	s_delay_alu instid0(SALU_CYCLE_1)
	s_or_b32 exec_lo, exec_lo, s1
.LBB106_58:
	s_delay_alu instid0(SALU_CYCLE_1)
	s_mov_b32 s0, exec_lo
	v_cmpx_eq_u32_e32 0, v0
	s_cbranch_execz .LBB106_60
; %bb.59:
	s_mul_i32 s0, s24, s23
	s_mul_hi_u32 s1, s24, s22
	s_mul_i32 s2, s25, s22
	s_add_i32 s1, s1, s0
	s_mul_i32 s0, s24, s22
	s_add_i32 s1, s1, s2
	v_mov_b32_e32 v0, 0
	s_lshl_b64 s[0:1], s[0:1], 3
	s_delay_alu instid0(SALU_CYCLE_1)
	s_add_u32 s2, s20, s0
	s_addc_u32 s3, s21, s1
	s_cmp_eq_u64 s[18:19], 0
	s_cselect_b32 s4, -1, 0
	s_lshl_b64 s[0:1], s[28:29], 3
	v_cndmask_b32_e64 v2, v2, s27, s4
	v_cndmask_b32_e64 v1, v1, s26, s4
	s_add_u32 s0, s2, s0
	s_addc_u32 s1, s3, s1
	global_store_b64 v0, v[1:2], s[0:1]
.LBB106_60:
	s_nop 0
	s_sendmsg sendmsg(MSG_DEALLOC_VGPRS)
	s_endpgm
	.section	.rodata,"a",@progbits
	.p2align	6, 0x0
	.amdhsa_kernel _ZN7rocprim17ROCPRIM_400000_NS6detail17trampoline_kernelINS0_14default_configENS1_22reduce_config_selectorIbEEZNS1_11reduce_implILb1ES3_N6hipcub16HIPCUB_304000_NS22TransformInputIteratorIb7NonZeroIsEPslEEPllNS8_6detail34convert_binary_result_type_wrapperINS8_3SumESD_lEEEE10hipError_tPvRmT1_T2_T3_mT4_P12ihipStream_tbEUlT_E0_NS1_11comp_targetILNS1_3genE9ELNS1_11target_archE1100ELNS1_3gpuE3ELNS1_3repE0EEENS1_30default_config_static_selectorELNS0_4arch9wavefront6targetE0EEEvSM_
		.amdhsa_group_segment_fixed_size 64
		.amdhsa_private_segment_fixed_size 0
		.amdhsa_kernarg_size 72
		.amdhsa_user_sgpr_count 15
		.amdhsa_user_sgpr_dispatch_ptr 0
		.amdhsa_user_sgpr_queue_ptr 0
		.amdhsa_user_sgpr_kernarg_segment_ptr 1
		.amdhsa_user_sgpr_dispatch_id 0
		.amdhsa_user_sgpr_private_segment_size 0
		.amdhsa_wavefront_size32 1
		.amdhsa_uses_dynamic_stack 0
		.amdhsa_enable_private_segment 0
		.amdhsa_system_sgpr_workgroup_id_x 1
		.amdhsa_system_sgpr_workgroup_id_y 0
		.amdhsa_system_sgpr_workgroup_id_z 0
		.amdhsa_system_sgpr_workgroup_info 0
		.amdhsa_system_vgpr_workitem_id 0
		.amdhsa_next_free_vgpr 36
		.amdhsa_next_free_sgpr 30
		.amdhsa_reserve_vcc 1
		.amdhsa_float_round_mode_32 0
		.amdhsa_float_round_mode_16_64 0
		.amdhsa_float_denorm_mode_32 3
		.amdhsa_float_denorm_mode_16_64 3
		.amdhsa_dx10_clamp 1
		.amdhsa_ieee_mode 1
		.amdhsa_fp16_overflow 0
		.amdhsa_workgroup_processor_mode 1
		.amdhsa_memory_ordered 1
		.amdhsa_forward_progress 0
		.amdhsa_shared_vgpr_count 0
		.amdhsa_exception_fp_ieee_invalid_op 0
		.amdhsa_exception_fp_denorm_src 0
		.amdhsa_exception_fp_ieee_div_zero 0
		.amdhsa_exception_fp_ieee_overflow 0
		.amdhsa_exception_fp_ieee_underflow 0
		.amdhsa_exception_fp_ieee_inexact 0
		.amdhsa_exception_int_div_zero 0
	.end_amdhsa_kernel
	.section	.text._ZN7rocprim17ROCPRIM_400000_NS6detail17trampoline_kernelINS0_14default_configENS1_22reduce_config_selectorIbEEZNS1_11reduce_implILb1ES3_N6hipcub16HIPCUB_304000_NS22TransformInputIteratorIb7NonZeroIsEPslEEPllNS8_6detail34convert_binary_result_type_wrapperINS8_3SumESD_lEEEE10hipError_tPvRmT1_T2_T3_mT4_P12ihipStream_tbEUlT_E0_NS1_11comp_targetILNS1_3genE9ELNS1_11target_archE1100ELNS1_3gpuE3ELNS1_3repE0EEENS1_30default_config_static_selectorELNS0_4arch9wavefront6targetE0EEEvSM_,"axG",@progbits,_ZN7rocprim17ROCPRIM_400000_NS6detail17trampoline_kernelINS0_14default_configENS1_22reduce_config_selectorIbEEZNS1_11reduce_implILb1ES3_N6hipcub16HIPCUB_304000_NS22TransformInputIteratorIb7NonZeroIsEPslEEPllNS8_6detail34convert_binary_result_type_wrapperINS8_3SumESD_lEEEE10hipError_tPvRmT1_T2_T3_mT4_P12ihipStream_tbEUlT_E0_NS1_11comp_targetILNS1_3genE9ELNS1_11target_archE1100ELNS1_3gpuE3ELNS1_3repE0EEENS1_30default_config_static_selectorELNS0_4arch9wavefront6targetE0EEEvSM_,comdat
.Lfunc_end106:
	.size	_ZN7rocprim17ROCPRIM_400000_NS6detail17trampoline_kernelINS0_14default_configENS1_22reduce_config_selectorIbEEZNS1_11reduce_implILb1ES3_N6hipcub16HIPCUB_304000_NS22TransformInputIteratorIb7NonZeroIsEPslEEPllNS8_6detail34convert_binary_result_type_wrapperINS8_3SumESD_lEEEE10hipError_tPvRmT1_T2_T3_mT4_P12ihipStream_tbEUlT_E0_NS1_11comp_targetILNS1_3genE9ELNS1_11target_archE1100ELNS1_3gpuE3ELNS1_3repE0EEENS1_30default_config_static_selectorELNS0_4arch9wavefront6targetE0EEEvSM_, .Lfunc_end106-_ZN7rocprim17ROCPRIM_400000_NS6detail17trampoline_kernelINS0_14default_configENS1_22reduce_config_selectorIbEEZNS1_11reduce_implILb1ES3_N6hipcub16HIPCUB_304000_NS22TransformInputIteratorIb7NonZeroIsEPslEEPllNS8_6detail34convert_binary_result_type_wrapperINS8_3SumESD_lEEEE10hipError_tPvRmT1_T2_T3_mT4_P12ihipStream_tbEUlT_E0_NS1_11comp_targetILNS1_3genE9ELNS1_11target_archE1100ELNS1_3gpuE3ELNS1_3repE0EEENS1_30default_config_static_selectorELNS0_4arch9wavefront6targetE0EEEvSM_
                                        ; -- End function
	.section	.AMDGPU.csdata,"",@progbits
; Kernel info:
; codeLenInByte = 3792
; NumSgprs: 32
; NumVgprs: 36
; ScratchSize: 0
; MemoryBound: 0
; FloatMode: 240
; IeeeMode: 1
; LDSByteSize: 64 bytes/workgroup (compile time only)
; SGPRBlocks: 3
; VGPRBlocks: 4
; NumSGPRsForWavesPerEU: 32
; NumVGPRsForWavesPerEU: 36
; Occupancy: 16
; WaveLimiterHint : 1
; COMPUTE_PGM_RSRC2:SCRATCH_EN: 0
; COMPUTE_PGM_RSRC2:USER_SGPR: 15
; COMPUTE_PGM_RSRC2:TRAP_HANDLER: 0
; COMPUTE_PGM_RSRC2:TGID_X_EN: 1
; COMPUTE_PGM_RSRC2:TGID_Y_EN: 0
; COMPUTE_PGM_RSRC2:TGID_Z_EN: 0
; COMPUTE_PGM_RSRC2:TIDIG_COMP_CNT: 0
	.section	.text._ZN7rocprim17ROCPRIM_400000_NS6detail17trampoline_kernelINS0_14default_configENS1_22reduce_config_selectorIbEEZNS1_11reduce_implILb1ES3_N6hipcub16HIPCUB_304000_NS22TransformInputIteratorIb7NonZeroIsEPslEEPllNS8_6detail34convert_binary_result_type_wrapperINS8_3SumESD_lEEEE10hipError_tPvRmT1_T2_T3_mT4_P12ihipStream_tbEUlT_E0_NS1_11comp_targetILNS1_3genE8ELNS1_11target_archE1030ELNS1_3gpuE2ELNS1_3repE0EEENS1_30default_config_static_selectorELNS0_4arch9wavefront6targetE0EEEvSM_,"axG",@progbits,_ZN7rocprim17ROCPRIM_400000_NS6detail17trampoline_kernelINS0_14default_configENS1_22reduce_config_selectorIbEEZNS1_11reduce_implILb1ES3_N6hipcub16HIPCUB_304000_NS22TransformInputIteratorIb7NonZeroIsEPslEEPllNS8_6detail34convert_binary_result_type_wrapperINS8_3SumESD_lEEEE10hipError_tPvRmT1_T2_T3_mT4_P12ihipStream_tbEUlT_E0_NS1_11comp_targetILNS1_3genE8ELNS1_11target_archE1030ELNS1_3gpuE2ELNS1_3repE0EEENS1_30default_config_static_selectorELNS0_4arch9wavefront6targetE0EEEvSM_,comdat
	.protected	_ZN7rocprim17ROCPRIM_400000_NS6detail17trampoline_kernelINS0_14default_configENS1_22reduce_config_selectorIbEEZNS1_11reduce_implILb1ES3_N6hipcub16HIPCUB_304000_NS22TransformInputIteratorIb7NonZeroIsEPslEEPllNS8_6detail34convert_binary_result_type_wrapperINS8_3SumESD_lEEEE10hipError_tPvRmT1_T2_T3_mT4_P12ihipStream_tbEUlT_E0_NS1_11comp_targetILNS1_3genE8ELNS1_11target_archE1030ELNS1_3gpuE2ELNS1_3repE0EEENS1_30default_config_static_selectorELNS0_4arch9wavefront6targetE0EEEvSM_ ; -- Begin function _ZN7rocprim17ROCPRIM_400000_NS6detail17trampoline_kernelINS0_14default_configENS1_22reduce_config_selectorIbEEZNS1_11reduce_implILb1ES3_N6hipcub16HIPCUB_304000_NS22TransformInputIteratorIb7NonZeroIsEPslEEPllNS8_6detail34convert_binary_result_type_wrapperINS8_3SumESD_lEEEE10hipError_tPvRmT1_T2_T3_mT4_P12ihipStream_tbEUlT_E0_NS1_11comp_targetILNS1_3genE8ELNS1_11target_archE1030ELNS1_3gpuE2ELNS1_3repE0EEENS1_30default_config_static_selectorELNS0_4arch9wavefront6targetE0EEEvSM_
	.globl	_ZN7rocprim17ROCPRIM_400000_NS6detail17trampoline_kernelINS0_14default_configENS1_22reduce_config_selectorIbEEZNS1_11reduce_implILb1ES3_N6hipcub16HIPCUB_304000_NS22TransformInputIteratorIb7NonZeroIsEPslEEPllNS8_6detail34convert_binary_result_type_wrapperINS8_3SumESD_lEEEE10hipError_tPvRmT1_T2_T3_mT4_P12ihipStream_tbEUlT_E0_NS1_11comp_targetILNS1_3genE8ELNS1_11target_archE1030ELNS1_3gpuE2ELNS1_3repE0EEENS1_30default_config_static_selectorELNS0_4arch9wavefront6targetE0EEEvSM_
	.p2align	8
	.type	_ZN7rocprim17ROCPRIM_400000_NS6detail17trampoline_kernelINS0_14default_configENS1_22reduce_config_selectorIbEEZNS1_11reduce_implILb1ES3_N6hipcub16HIPCUB_304000_NS22TransformInputIteratorIb7NonZeroIsEPslEEPllNS8_6detail34convert_binary_result_type_wrapperINS8_3SumESD_lEEEE10hipError_tPvRmT1_T2_T3_mT4_P12ihipStream_tbEUlT_E0_NS1_11comp_targetILNS1_3genE8ELNS1_11target_archE1030ELNS1_3gpuE2ELNS1_3repE0EEENS1_30default_config_static_selectorELNS0_4arch9wavefront6targetE0EEEvSM_,@function
_ZN7rocprim17ROCPRIM_400000_NS6detail17trampoline_kernelINS0_14default_configENS1_22reduce_config_selectorIbEEZNS1_11reduce_implILb1ES3_N6hipcub16HIPCUB_304000_NS22TransformInputIteratorIb7NonZeroIsEPslEEPllNS8_6detail34convert_binary_result_type_wrapperINS8_3SumESD_lEEEE10hipError_tPvRmT1_T2_T3_mT4_P12ihipStream_tbEUlT_E0_NS1_11comp_targetILNS1_3genE8ELNS1_11target_archE1030ELNS1_3gpuE2ELNS1_3repE0EEENS1_30default_config_static_selectorELNS0_4arch9wavefront6targetE0EEEvSM_: ; @_ZN7rocprim17ROCPRIM_400000_NS6detail17trampoline_kernelINS0_14default_configENS1_22reduce_config_selectorIbEEZNS1_11reduce_implILb1ES3_N6hipcub16HIPCUB_304000_NS22TransformInputIteratorIb7NonZeroIsEPslEEPllNS8_6detail34convert_binary_result_type_wrapperINS8_3SumESD_lEEEE10hipError_tPvRmT1_T2_T3_mT4_P12ihipStream_tbEUlT_E0_NS1_11comp_targetILNS1_3genE8ELNS1_11target_archE1030ELNS1_3gpuE2ELNS1_3repE0EEENS1_30default_config_static_selectorELNS0_4arch9wavefront6targetE0EEEvSM_
; %bb.0:
	.section	.rodata,"a",@progbits
	.p2align	6, 0x0
	.amdhsa_kernel _ZN7rocprim17ROCPRIM_400000_NS6detail17trampoline_kernelINS0_14default_configENS1_22reduce_config_selectorIbEEZNS1_11reduce_implILb1ES3_N6hipcub16HIPCUB_304000_NS22TransformInputIteratorIb7NonZeroIsEPslEEPllNS8_6detail34convert_binary_result_type_wrapperINS8_3SumESD_lEEEE10hipError_tPvRmT1_T2_T3_mT4_P12ihipStream_tbEUlT_E0_NS1_11comp_targetILNS1_3genE8ELNS1_11target_archE1030ELNS1_3gpuE2ELNS1_3repE0EEENS1_30default_config_static_selectorELNS0_4arch9wavefront6targetE0EEEvSM_
		.amdhsa_group_segment_fixed_size 0
		.amdhsa_private_segment_fixed_size 0
		.amdhsa_kernarg_size 72
		.amdhsa_user_sgpr_count 15
		.amdhsa_user_sgpr_dispatch_ptr 0
		.amdhsa_user_sgpr_queue_ptr 0
		.amdhsa_user_sgpr_kernarg_segment_ptr 1
		.amdhsa_user_sgpr_dispatch_id 0
		.amdhsa_user_sgpr_private_segment_size 0
		.amdhsa_wavefront_size32 1
		.amdhsa_uses_dynamic_stack 0
		.amdhsa_enable_private_segment 0
		.amdhsa_system_sgpr_workgroup_id_x 1
		.amdhsa_system_sgpr_workgroup_id_y 0
		.amdhsa_system_sgpr_workgroup_id_z 0
		.amdhsa_system_sgpr_workgroup_info 0
		.amdhsa_system_vgpr_workitem_id 0
		.amdhsa_next_free_vgpr 1
		.amdhsa_next_free_sgpr 1
		.amdhsa_reserve_vcc 0
		.amdhsa_float_round_mode_32 0
		.amdhsa_float_round_mode_16_64 0
		.amdhsa_float_denorm_mode_32 3
		.amdhsa_float_denorm_mode_16_64 3
		.amdhsa_dx10_clamp 1
		.amdhsa_ieee_mode 1
		.amdhsa_fp16_overflow 0
		.amdhsa_workgroup_processor_mode 1
		.amdhsa_memory_ordered 1
		.amdhsa_forward_progress 0
		.amdhsa_shared_vgpr_count 0
		.amdhsa_exception_fp_ieee_invalid_op 0
		.amdhsa_exception_fp_denorm_src 0
		.amdhsa_exception_fp_ieee_div_zero 0
		.amdhsa_exception_fp_ieee_overflow 0
		.amdhsa_exception_fp_ieee_underflow 0
		.amdhsa_exception_fp_ieee_inexact 0
		.amdhsa_exception_int_div_zero 0
	.end_amdhsa_kernel
	.section	.text._ZN7rocprim17ROCPRIM_400000_NS6detail17trampoline_kernelINS0_14default_configENS1_22reduce_config_selectorIbEEZNS1_11reduce_implILb1ES3_N6hipcub16HIPCUB_304000_NS22TransformInputIteratorIb7NonZeroIsEPslEEPllNS8_6detail34convert_binary_result_type_wrapperINS8_3SumESD_lEEEE10hipError_tPvRmT1_T2_T3_mT4_P12ihipStream_tbEUlT_E0_NS1_11comp_targetILNS1_3genE8ELNS1_11target_archE1030ELNS1_3gpuE2ELNS1_3repE0EEENS1_30default_config_static_selectorELNS0_4arch9wavefront6targetE0EEEvSM_,"axG",@progbits,_ZN7rocprim17ROCPRIM_400000_NS6detail17trampoline_kernelINS0_14default_configENS1_22reduce_config_selectorIbEEZNS1_11reduce_implILb1ES3_N6hipcub16HIPCUB_304000_NS22TransformInputIteratorIb7NonZeroIsEPslEEPllNS8_6detail34convert_binary_result_type_wrapperINS8_3SumESD_lEEEE10hipError_tPvRmT1_T2_T3_mT4_P12ihipStream_tbEUlT_E0_NS1_11comp_targetILNS1_3genE8ELNS1_11target_archE1030ELNS1_3gpuE2ELNS1_3repE0EEENS1_30default_config_static_selectorELNS0_4arch9wavefront6targetE0EEEvSM_,comdat
.Lfunc_end107:
	.size	_ZN7rocprim17ROCPRIM_400000_NS6detail17trampoline_kernelINS0_14default_configENS1_22reduce_config_selectorIbEEZNS1_11reduce_implILb1ES3_N6hipcub16HIPCUB_304000_NS22TransformInputIteratorIb7NonZeroIsEPslEEPllNS8_6detail34convert_binary_result_type_wrapperINS8_3SumESD_lEEEE10hipError_tPvRmT1_T2_T3_mT4_P12ihipStream_tbEUlT_E0_NS1_11comp_targetILNS1_3genE8ELNS1_11target_archE1030ELNS1_3gpuE2ELNS1_3repE0EEENS1_30default_config_static_selectorELNS0_4arch9wavefront6targetE0EEEvSM_, .Lfunc_end107-_ZN7rocprim17ROCPRIM_400000_NS6detail17trampoline_kernelINS0_14default_configENS1_22reduce_config_selectorIbEEZNS1_11reduce_implILb1ES3_N6hipcub16HIPCUB_304000_NS22TransformInputIteratorIb7NonZeroIsEPslEEPllNS8_6detail34convert_binary_result_type_wrapperINS8_3SumESD_lEEEE10hipError_tPvRmT1_T2_T3_mT4_P12ihipStream_tbEUlT_E0_NS1_11comp_targetILNS1_3genE8ELNS1_11target_archE1030ELNS1_3gpuE2ELNS1_3repE0EEENS1_30default_config_static_selectorELNS0_4arch9wavefront6targetE0EEEvSM_
                                        ; -- End function
	.section	.AMDGPU.csdata,"",@progbits
; Kernel info:
; codeLenInByte = 0
; NumSgprs: 0
; NumVgprs: 0
; ScratchSize: 0
; MemoryBound: 0
; FloatMode: 240
; IeeeMode: 1
; LDSByteSize: 0 bytes/workgroup (compile time only)
; SGPRBlocks: 0
; VGPRBlocks: 0
; NumSGPRsForWavesPerEU: 1
; NumVGPRsForWavesPerEU: 1
; Occupancy: 16
; WaveLimiterHint : 0
; COMPUTE_PGM_RSRC2:SCRATCH_EN: 0
; COMPUTE_PGM_RSRC2:USER_SGPR: 15
; COMPUTE_PGM_RSRC2:TRAP_HANDLER: 0
; COMPUTE_PGM_RSRC2:TGID_X_EN: 1
; COMPUTE_PGM_RSRC2:TGID_Y_EN: 0
; COMPUTE_PGM_RSRC2:TGID_Z_EN: 0
; COMPUTE_PGM_RSRC2:TIDIG_COMP_CNT: 0
	.section	.text._ZN7rocprim17ROCPRIM_400000_NS6detail17trampoline_kernelINS0_14default_configENS1_22reduce_config_selectorIbEEZNS1_11reduce_implILb1ES3_N6hipcub16HIPCUB_304000_NS22TransformInputIteratorIb7NonZeroIsEPslEEPllNS8_6detail34convert_binary_result_type_wrapperINS8_3SumESD_lEEEE10hipError_tPvRmT1_T2_T3_mT4_P12ihipStream_tbEUlT_E1_NS1_11comp_targetILNS1_3genE0ELNS1_11target_archE4294967295ELNS1_3gpuE0ELNS1_3repE0EEENS1_30default_config_static_selectorELNS0_4arch9wavefront6targetE0EEEvSM_,"axG",@progbits,_ZN7rocprim17ROCPRIM_400000_NS6detail17trampoline_kernelINS0_14default_configENS1_22reduce_config_selectorIbEEZNS1_11reduce_implILb1ES3_N6hipcub16HIPCUB_304000_NS22TransformInputIteratorIb7NonZeroIsEPslEEPllNS8_6detail34convert_binary_result_type_wrapperINS8_3SumESD_lEEEE10hipError_tPvRmT1_T2_T3_mT4_P12ihipStream_tbEUlT_E1_NS1_11comp_targetILNS1_3genE0ELNS1_11target_archE4294967295ELNS1_3gpuE0ELNS1_3repE0EEENS1_30default_config_static_selectorELNS0_4arch9wavefront6targetE0EEEvSM_,comdat
	.protected	_ZN7rocprim17ROCPRIM_400000_NS6detail17trampoline_kernelINS0_14default_configENS1_22reduce_config_selectorIbEEZNS1_11reduce_implILb1ES3_N6hipcub16HIPCUB_304000_NS22TransformInputIteratorIb7NonZeroIsEPslEEPllNS8_6detail34convert_binary_result_type_wrapperINS8_3SumESD_lEEEE10hipError_tPvRmT1_T2_T3_mT4_P12ihipStream_tbEUlT_E1_NS1_11comp_targetILNS1_3genE0ELNS1_11target_archE4294967295ELNS1_3gpuE0ELNS1_3repE0EEENS1_30default_config_static_selectorELNS0_4arch9wavefront6targetE0EEEvSM_ ; -- Begin function _ZN7rocprim17ROCPRIM_400000_NS6detail17trampoline_kernelINS0_14default_configENS1_22reduce_config_selectorIbEEZNS1_11reduce_implILb1ES3_N6hipcub16HIPCUB_304000_NS22TransformInputIteratorIb7NonZeroIsEPslEEPllNS8_6detail34convert_binary_result_type_wrapperINS8_3SumESD_lEEEE10hipError_tPvRmT1_T2_T3_mT4_P12ihipStream_tbEUlT_E1_NS1_11comp_targetILNS1_3genE0ELNS1_11target_archE4294967295ELNS1_3gpuE0ELNS1_3repE0EEENS1_30default_config_static_selectorELNS0_4arch9wavefront6targetE0EEEvSM_
	.globl	_ZN7rocprim17ROCPRIM_400000_NS6detail17trampoline_kernelINS0_14default_configENS1_22reduce_config_selectorIbEEZNS1_11reduce_implILb1ES3_N6hipcub16HIPCUB_304000_NS22TransformInputIteratorIb7NonZeroIsEPslEEPllNS8_6detail34convert_binary_result_type_wrapperINS8_3SumESD_lEEEE10hipError_tPvRmT1_T2_T3_mT4_P12ihipStream_tbEUlT_E1_NS1_11comp_targetILNS1_3genE0ELNS1_11target_archE4294967295ELNS1_3gpuE0ELNS1_3repE0EEENS1_30default_config_static_selectorELNS0_4arch9wavefront6targetE0EEEvSM_
	.p2align	8
	.type	_ZN7rocprim17ROCPRIM_400000_NS6detail17trampoline_kernelINS0_14default_configENS1_22reduce_config_selectorIbEEZNS1_11reduce_implILb1ES3_N6hipcub16HIPCUB_304000_NS22TransformInputIteratorIb7NonZeroIsEPslEEPllNS8_6detail34convert_binary_result_type_wrapperINS8_3SumESD_lEEEE10hipError_tPvRmT1_T2_T3_mT4_P12ihipStream_tbEUlT_E1_NS1_11comp_targetILNS1_3genE0ELNS1_11target_archE4294967295ELNS1_3gpuE0ELNS1_3repE0EEENS1_30default_config_static_selectorELNS0_4arch9wavefront6targetE0EEEvSM_,@function
_ZN7rocprim17ROCPRIM_400000_NS6detail17trampoline_kernelINS0_14default_configENS1_22reduce_config_selectorIbEEZNS1_11reduce_implILb1ES3_N6hipcub16HIPCUB_304000_NS22TransformInputIteratorIb7NonZeroIsEPslEEPllNS8_6detail34convert_binary_result_type_wrapperINS8_3SumESD_lEEEE10hipError_tPvRmT1_T2_T3_mT4_P12ihipStream_tbEUlT_E1_NS1_11comp_targetILNS1_3genE0ELNS1_11target_archE4294967295ELNS1_3gpuE0ELNS1_3repE0EEENS1_30default_config_static_selectorELNS0_4arch9wavefront6targetE0EEEvSM_: ; @_ZN7rocprim17ROCPRIM_400000_NS6detail17trampoline_kernelINS0_14default_configENS1_22reduce_config_selectorIbEEZNS1_11reduce_implILb1ES3_N6hipcub16HIPCUB_304000_NS22TransformInputIteratorIb7NonZeroIsEPslEEPllNS8_6detail34convert_binary_result_type_wrapperINS8_3SumESD_lEEEE10hipError_tPvRmT1_T2_T3_mT4_P12ihipStream_tbEUlT_E1_NS1_11comp_targetILNS1_3genE0ELNS1_11target_archE4294967295ELNS1_3gpuE0ELNS1_3repE0EEENS1_30default_config_static_selectorELNS0_4arch9wavefront6targetE0EEEvSM_
; %bb.0:
	.section	.rodata,"a",@progbits
	.p2align	6, 0x0
	.amdhsa_kernel _ZN7rocprim17ROCPRIM_400000_NS6detail17trampoline_kernelINS0_14default_configENS1_22reduce_config_selectorIbEEZNS1_11reduce_implILb1ES3_N6hipcub16HIPCUB_304000_NS22TransformInputIteratorIb7NonZeroIsEPslEEPllNS8_6detail34convert_binary_result_type_wrapperINS8_3SumESD_lEEEE10hipError_tPvRmT1_T2_T3_mT4_P12ihipStream_tbEUlT_E1_NS1_11comp_targetILNS1_3genE0ELNS1_11target_archE4294967295ELNS1_3gpuE0ELNS1_3repE0EEENS1_30default_config_static_selectorELNS0_4arch9wavefront6targetE0EEEvSM_
		.amdhsa_group_segment_fixed_size 0
		.amdhsa_private_segment_fixed_size 0
		.amdhsa_kernarg_size 56
		.amdhsa_user_sgpr_count 15
		.amdhsa_user_sgpr_dispatch_ptr 0
		.amdhsa_user_sgpr_queue_ptr 0
		.amdhsa_user_sgpr_kernarg_segment_ptr 1
		.amdhsa_user_sgpr_dispatch_id 0
		.amdhsa_user_sgpr_private_segment_size 0
		.amdhsa_wavefront_size32 1
		.amdhsa_uses_dynamic_stack 0
		.amdhsa_enable_private_segment 0
		.amdhsa_system_sgpr_workgroup_id_x 1
		.amdhsa_system_sgpr_workgroup_id_y 0
		.amdhsa_system_sgpr_workgroup_id_z 0
		.amdhsa_system_sgpr_workgroup_info 0
		.amdhsa_system_vgpr_workitem_id 0
		.amdhsa_next_free_vgpr 1
		.amdhsa_next_free_sgpr 1
		.amdhsa_reserve_vcc 0
		.amdhsa_float_round_mode_32 0
		.amdhsa_float_round_mode_16_64 0
		.amdhsa_float_denorm_mode_32 3
		.amdhsa_float_denorm_mode_16_64 3
		.amdhsa_dx10_clamp 1
		.amdhsa_ieee_mode 1
		.amdhsa_fp16_overflow 0
		.amdhsa_workgroup_processor_mode 1
		.amdhsa_memory_ordered 1
		.amdhsa_forward_progress 0
		.amdhsa_shared_vgpr_count 0
		.amdhsa_exception_fp_ieee_invalid_op 0
		.amdhsa_exception_fp_denorm_src 0
		.amdhsa_exception_fp_ieee_div_zero 0
		.amdhsa_exception_fp_ieee_overflow 0
		.amdhsa_exception_fp_ieee_underflow 0
		.amdhsa_exception_fp_ieee_inexact 0
		.amdhsa_exception_int_div_zero 0
	.end_amdhsa_kernel
	.section	.text._ZN7rocprim17ROCPRIM_400000_NS6detail17trampoline_kernelINS0_14default_configENS1_22reduce_config_selectorIbEEZNS1_11reduce_implILb1ES3_N6hipcub16HIPCUB_304000_NS22TransformInputIteratorIb7NonZeroIsEPslEEPllNS8_6detail34convert_binary_result_type_wrapperINS8_3SumESD_lEEEE10hipError_tPvRmT1_T2_T3_mT4_P12ihipStream_tbEUlT_E1_NS1_11comp_targetILNS1_3genE0ELNS1_11target_archE4294967295ELNS1_3gpuE0ELNS1_3repE0EEENS1_30default_config_static_selectorELNS0_4arch9wavefront6targetE0EEEvSM_,"axG",@progbits,_ZN7rocprim17ROCPRIM_400000_NS6detail17trampoline_kernelINS0_14default_configENS1_22reduce_config_selectorIbEEZNS1_11reduce_implILb1ES3_N6hipcub16HIPCUB_304000_NS22TransformInputIteratorIb7NonZeroIsEPslEEPllNS8_6detail34convert_binary_result_type_wrapperINS8_3SumESD_lEEEE10hipError_tPvRmT1_T2_T3_mT4_P12ihipStream_tbEUlT_E1_NS1_11comp_targetILNS1_3genE0ELNS1_11target_archE4294967295ELNS1_3gpuE0ELNS1_3repE0EEENS1_30default_config_static_selectorELNS0_4arch9wavefront6targetE0EEEvSM_,comdat
.Lfunc_end108:
	.size	_ZN7rocprim17ROCPRIM_400000_NS6detail17trampoline_kernelINS0_14default_configENS1_22reduce_config_selectorIbEEZNS1_11reduce_implILb1ES3_N6hipcub16HIPCUB_304000_NS22TransformInputIteratorIb7NonZeroIsEPslEEPllNS8_6detail34convert_binary_result_type_wrapperINS8_3SumESD_lEEEE10hipError_tPvRmT1_T2_T3_mT4_P12ihipStream_tbEUlT_E1_NS1_11comp_targetILNS1_3genE0ELNS1_11target_archE4294967295ELNS1_3gpuE0ELNS1_3repE0EEENS1_30default_config_static_selectorELNS0_4arch9wavefront6targetE0EEEvSM_, .Lfunc_end108-_ZN7rocprim17ROCPRIM_400000_NS6detail17trampoline_kernelINS0_14default_configENS1_22reduce_config_selectorIbEEZNS1_11reduce_implILb1ES3_N6hipcub16HIPCUB_304000_NS22TransformInputIteratorIb7NonZeroIsEPslEEPllNS8_6detail34convert_binary_result_type_wrapperINS8_3SumESD_lEEEE10hipError_tPvRmT1_T2_T3_mT4_P12ihipStream_tbEUlT_E1_NS1_11comp_targetILNS1_3genE0ELNS1_11target_archE4294967295ELNS1_3gpuE0ELNS1_3repE0EEENS1_30default_config_static_selectorELNS0_4arch9wavefront6targetE0EEEvSM_
                                        ; -- End function
	.section	.AMDGPU.csdata,"",@progbits
; Kernel info:
; codeLenInByte = 0
; NumSgprs: 0
; NumVgprs: 0
; ScratchSize: 0
; MemoryBound: 0
; FloatMode: 240
; IeeeMode: 1
; LDSByteSize: 0 bytes/workgroup (compile time only)
; SGPRBlocks: 0
; VGPRBlocks: 0
; NumSGPRsForWavesPerEU: 1
; NumVGPRsForWavesPerEU: 1
; Occupancy: 16
; WaveLimiterHint : 0
; COMPUTE_PGM_RSRC2:SCRATCH_EN: 0
; COMPUTE_PGM_RSRC2:USER_SGPR: 15
; COMPUTE_PGM_RSRC2:TRAP_HANDLER: 0
; COMPUTE_PGM_RSRC2:TGID_X_EN: 1
; COMPUTE_PGM_RSRC2:TGID_Y_EN: 0
; COMPUTE_PGM_RSRC2:TGID_Z_EN: 0
; COMPUTE_PGM_RSRC2:TIDIG_COMP_CNT: 0
	.section	.text._ZN7rocprim17ROCPRIM_400000_NS6detail17trampoline_kernelINS0_14default_configENS1_22reduce_config_selectorIbEEZNS1_11reduce_implILb1ES3_N6hipcub16HIPCUB_304000_NS22TransformInputIteratorIb7NonZeroIsEPslEEPllNS8_6detail34convert_binary_result_type_wrapperINS8_3SumESD_lEEEE10hipError_tPvRmT1_T2_T3_mT4_P12ihipStream_tbEUlT_E1_NS1_11comp_targetILNS1_3genE5ELNS1_11target_archE942ELNS1_3gpuE9ELNS1_3repE0EEENS1_30default_config_static_selectorELNS0_4arch9wavefront6targetE0EEEvSM_,"axG",@progbits,_ZN7rocprim17ROCPRIM_400000_NS6detail17trampoline_kernelINS0_14default_configENS1_22reduce_config_selectorIbEEZNS1_11reduce_implILb1ES3_N6hipcub16HIPCUB_304000_NS22TransformInputIteratorIb7NonZeroIsEPslEEPllNS8_6detail34convert_binary_result_type_wrapperINS8_3SumESD_lEEEE10hipError_tPvRmT1_T2_T3_mT4_P12ihipStream_tbEUlT_E1_NS1_11comp_targetILNS1_3genE5ELNS1_11target_archE942ELNS1_3gpuE9ELNS1_3repE0EEENS1_30default_config_static_selectorELNS0_4arch9wavefront6targetE0EEEvSM_,comdat
	.protected	_ZN7rocprim17ROCPRIM_400000_NS6detail17trampoline_kernelINS0_14default_configENS1_22reduce_config_selectorIbEEZNS1_11reduce_implILb1ES3_N6hipcub16HIPCUB_304000_NS22TransformInputIteratorIb7NonZeroIsEPslEEPllNS8_6detail34convert_binary_result_type_wrapperINS8_3SumESD_lEEEE10hipError_tPvRmT1_T2_T3_mT4_P12ihipStream_tbEUlT_E1_NS1_11comp_targetILNS1_3genE5ELNS1_11target_archE942ELNS1_3gpuE9ELNS1_3repE0EEENS1_30default_config_static_selectorELNS0_4arch9wavefront6targetE0EEEvSM_ ; -- Begin function _ZN7rocprim17ROCPRIM_400000_NS6detail17trampoline_kernelINS0_14default_configENS1_22reduce_config_selectorIbEEZNS1_11reduce_implILb1ES3_N6hipcub16HIPCUB_304000_NS22TransformInputIteratorIb7NonZeroIsEPslEEPllNS8_6detail34convert_binary_result_type_wrapperINS8_3SumESD_lEEEE10hipError_tPvRmT1_T2_T3_mT4_P12ihipStream_tbEUlT_E1_NS1_11comp_targetILNS1_3genE5ELNS1_11target_archE942ELNS1_3gpuE9ELNS1_3repE0EEENS1_30default_config_static_selectorELNS0_4arch9wavefront6targetE0EEEvSM_
	.globl	_ZN7rocprim17ROCPRIM_400000_NS6detail17trampoline_kernelINS0_14default_configENS1_22reduce_config_selectorIbEEZNS1_11reduce_implILb1ES3_N6hipcub16HIPCUB_304000_NS22TransformInputIteratorIb7NonZeroIsEPslEEPllNS8_6detail34convert_binary_result_type_wrapperINS8_3SumESD_lEEEE10hipError_tPvRmT1_T2_T3_mT4_P12ihipStream_tbEUlT_E1_NS1_11comp_targetILNS1_3genE5ELNS1_11target_archE942ELNS1_3gpuE9ELNS1_3repE0EEENS1_30default_config_static_selectorELNS0_4arch9wavefront6targetE0EEEvSM_
	.p2align	8
	.type	_ZN7rocprim17ROCPRIM_400000_NS6detail17trampoline_kernelINS0_14default_configENS1_22reduce_config_selectorIbEEZNS1_11reduce_implILb1ES3_N6hipcub16HIPCUB_304000_NS22TransformInputIteratorIb7NonZeroIsEPslEEPllNS8_6detail34convert_binary_result_type_wrapperINS8_3SumESD_lEEEE10hipError_tPvRmT1_T2_T3_mT4_P12ihipStream_tbEUlT_E1_NS1_11comp_targetILNS1_3genE5ELNS1_11target_archE942ELNS1_3gpuE9ELNS1_3repE0EEENS1_30default_config_static_selectorELNS0_4arch9wavefront6targetE0EEEvSM_,@function
_ZN7rocprim17ROCPRIM_400000_NS6detail17trampoline_kernelINS0_14default_configENS1_22reduce_config_selectorIbEEZNS1_11reduce_implILb1ES3_N6hipcub16HIPCUB_304000_NS22TransformInputIteratorIb7NonZeroIsEPslEEPllNS8_6detail34convert_binary_result_type_wrapperINS8_3SumESD_lEEEE10hipError_tPvRmT1_T2_T3_mT4_P12ihipStream_tbEUlT_E1_NS1_11comp_targetILNS1_3genE5ELNS1_11target_archE942ELNS1_3gpuE9ELNS1_3repE0EEENS1_30default_config_static_selectorELNS0_4arch9wavefront6targetE0EEEvSM_: ; @_ZN7rocprim17ROCPRIM_400000_NS6detail17trampoline_kernelINS0_14default_configENS1_22reduce_config_selectorIbEEZNS1_11reduce_implILb1ES3_N6hipcub16HIPCUB_304000_NS22TransformInputIteratorIb7NonZeroIsEPslEEPllNS8_6detail34convert_binary_result_type_wrapperINS8_3SumESD_lEEEE10hipError_tPvRmT1_T2_T3_mT4_P12ihipStream_tbEUlT_E1_NS1_11comp_targetILNS1_3genE5ELNS1_11target_archE942ELNS1_3gpuE9ELNS1_3repE0EEENS1_30default_config_static_selectorELNS0_4arch9wavefront6targetE0EEEvSM_
; %bb.0:
	.section	.rodata,"a",@progbits
	.p2align	6, 0x0
	.amdhsa_kernel _ZN7rocprim17ROCPRIM_400000_NS6detail17trampoline_kernelINS0_14default_configENS1_22reduce_config_selectorIbEEZNS1_11reduce_implILb1ES3_N6hipcub16HIPCUB_304000_NS22TransformInputIteratorIb7NonZeroIsEPslEEPllNS8_6detail34convert_binary_result_type_wrapperINS8_3SumESD_lEEEE10hipError_tPvRmT1_T2_T3_mT4_P12ihipStream_tbEUlT_E1_NS1_11comp_targetILNS1_3genE5ELNS1_11target_archE942ELNS1_3gpuE9ELNS1_3repE0EEENS1_30default_config_static_selectorELNS0_4arch9wavefront6targetE0EEEvSM_
		.amdhsa_group_segment_fixed_size 0
		.amdhsa_private_segment_fixed_size 0
		.amdhsa_kernarg_size 56
		.amdhsa_user_sgpr_count 15
		.amdhsa_user_sgpr_dispatch_ptr 0
		.amdhsa_user_sgpr_queue_ptr 0
		.amdhsa_user_sgpr_kernarg_segment_ptr 1
		.amdhsa_user_sgpr_dispatch_id 0
		.amdhsa_user_sgpr_private_segment_size 0
		.amdhsa_wavefront_size32 1
		.amdhsa_uses_dynamic_stack 0
		.amdhsa_enable_private_segment 0
		.amdhsa_system_sgpr_workgroup_id_x 1
		.amdhsa_system_sgpr_workgroup_id_y 0
		.amdhsa_system_sgpr_workgroup_id_z 0
		.amdhsa_system_sgpr_workgroup_info 0
		.amdhsa_system_vgpr_workitem_id 0
		.amdhsa_next_free_vgpr 1
		.amdhsa_next_free_sgpr 1
		.amdhsa_reserve_vcc 0
		.amdhsa_float_round_mode_32 0
		.amdhsa_float_round_mode_16_64 0
		.amdhsa_float_denorm_mode_32 3
		.amdhsa_float_denorm_mode_16_64 3
		.amdhsa_dx10_clamp 1
		.amdhsa_ieee_mode 1
		.amdhsa_fp16_overflow 0
		.amdhsa_workgroup_processor_mode 1
		.amdhsa_memory_ordered 1
		.amdhsa_forward_progress 0
		.amdhsa_shared_vgpr_count 0
		.amdhsa_exception_fp_ieee_invalid_op 0
		.amdhsa_exception_fp_denorm_src 0
		.amdhsa_exception_fp_ieee_div_zero 0
		.amdhsa_exception_fp_ieee_overflow 0
		.amdhsa_exception_fp_ieee_underflow 0
		.amdhsa_exception_fp_ieee_inexact 0
		.amdhsa_exception_int_div_zero 0
	.end_amdhsa_kernel
	.section	.text._ZN7rocprim17ROCPRIM_400000_NS6detail17trampoline_kernelINS0_14default_configENS1_22reduce_config_selectorIbEEZNS1_11reduce_implILb1ES3_N6hipcub16HIPCUB_304000_NS22TransformInputIteratorIb7NonZeroIsEPslEEPllNS8_6detail34convert_binary_result_type_wrapperINS8_3SumESD_lEEEE10hipError_tPvRmT1_T2_T3_mT4_P12ihipStream_tbEUlT_E1_NS1_11comp_targetILNS1_3genE5ELNS1_11target_archE942ELNS1_3gpuE9ELNS1_3repE0EEENS1_30default_config_static_selectorELNS0_4arch9wavefront6targetE0EEEvSM_,"axG",@progbits,_ZN7rocprim17ROCPRIM_400000_NS6detail17trampoline_kernelINS0_14default_configENS1_22reduce_config_selectorIbEEZNS1_11reduce_implILb1ES3_N6hipcub16HIPCUB_304000_NS22TransformInputIteratorIb7NonZeroIsEPslEEPllNS8_6detail34convert_binary_result_type_wrapperINS8_3SumESD_lEEEE10hipError_tPvRmT1_T2_T3_mT4_P12ihipStream_tbEUlT_E1_NS1_11comp_targetILNS1_3genE5ELNS1_11target_archE942ELNS1_3gpuE9ELNS1_3repE0EEENS1_30default_config_static_selectorELNS0_4arch9wavefront6targetE0EEEvSM_,comdat
.Lfunc_end109:
	.size	_ZN7rocprim17ROCPRIM_400000_NS6detail17trampoline_kernelINS0_14default_configENS1_22reduce_config_selectorIbEEZNS1_11reduce_implILb1ES3_N6hipcub16HIPCUB_304000_NS22TransformInputIteratorIb7NonZeroIsEPslEEPllNS8_6detail34convert_binary_result_type_wrapperINS8_3SumESD_lEEEE10hipError_tPvRmT1_T2_T3_mT4_P12ihipStream_tbEUlT_E1_NS1_11comp_targetILNS1_3genE5ELNS1_11target_archE942ELNS1_3gpuE9ELNS1_3repE0EEENS1_30default_config_static_selectorELNS0_4arch9wavefront6targetE0EEEvSM_, .Lfunc_end109-_ZN7rocprim17ROCPRIM_400000_NS6detail17trampoline_kernelINS0_14default_configENS1_22reduce_config_selectorIbEEZNS1_11reduce_implILb1ES3_N6hipcub16HIPCUB_304000_NS22TransformInputIteratorIb7NonZeroIsEPslEEPllNS8_6detail34convert_binary_result_type_wrapperINS8_3SumESD_lEEEE10hipError_tPvRmT1_T2_T3_mT4_P12ihipStream_tbEUlT_E1_NS1_11comp_targetILNS1_3genE5ELNS1_11target_archE942ELNS1_3gpuE9ELNS1_3repE0EEENS1_30default_config_static_selectorELNS0_4arch9wavefront6targetE0EEEvSM_
                                        ; -- End function
	.section	.AMDGPU.csdata,"",@progbits
; Kernel info:
; codeLenInByte = 0
; NumSgprs: 0
; NumVgprs: 0
; ScratchSize: 0
; MemoryBound: 0
; FloatMode: 240
; IeeeMode: 1
; LDSByteSize: 0 bytes/workgroup (compile time only)
; SGPRBlocks: 0
; VGPRBlocks: 0
; NumSGPRsForWavesPerEU: 1
; NumVGPRsForWavesPerEU: 1
; Occupancy: 16
; WaveLimiterHint : 0
; COMPUTE_PGM_RSRC2:SCRATCH_EN: 0
; COMPUTE_PGM_RSRC2:USER_SGPR: 15
; COMPUTE_PGM_RSRC2:TRAP_HANDLER: 0
; COMPUTE_PGM_RSRC2:TGID_X_EN: 1
; COMPUTE_PGM_RSRC2:TGID_Y_EN: 0
; COMPUTE_PGM_RSRC2:TGID_Z_EN: 0
; COMPUTE_PGM_RSRC2:TIDIG_COMP_CNT: 0
	.section	.text._ZN7rocprim17ROCPRIM_400000_NS6detail17trampoline_kernelINS0_14default_configENS1_22reduce_config_selectorIbEEZNS1_11reduce_implILb1ES3_N6hipcub16HIPCUB_304000_NS22TransformInputIteratorIb7NonZeroIsEPslEEPllNS8_6detail34convert_binary_result_type_wrapperINS8_3SumESD_lEEEE10hipError_tPvRmT1_T2_T3_mT4_P12ihipStream_tbEUlT_E1_NS1_11comp_targetILNS1_3genE4ELNS1_11target_archE910ELNS1_3gpuE8ELNS1_3repE0EEENS1_30default_config_static_selectorELNS0_4arch9wavefront6targetE0EEEvSM_,"axG",@progbits,_ZN7rocprim17ROCPRIM_400000_NS6detail17trampoline_kernelINS0_14default_configENS1_22reduce_config_selectorIbEEZNS1_11reduce_implILb1ES3_N6hipcub16HIPCUB_304000_NS22TransformInputIteratorIb7NonZeroIsEPslEEPllNS8_6detail34convert_binary_result_type_wrapperINS8_3SumESD_lEEEE10hipError_tPvRmT1_T2_T3_mT4_P12ihipStream_tbEUlT_E1_NS1_11comp_targetILNS1_3genE4ELNS1_11target_archE910ELNS1_3gpuE8ELNS1_3repE0EEENS1_30default_config_static_selectorELNS0_4arch9wavefront6targetE0EEEvSM_,comdat
	.protected	_ZN7rocprim17ROCPRIM_400000_NS6detail17trampoline_kernelINS0_14default_configENS1_22reduce_config_selectorIbEEZNS1_11reduce_implILb1ES3_N6hipcub16HIPCUB_304000_NS22TransformInputIteratorIb7NonZeroIsEPslEEPllNS8_6detail34convert_binary_result_type_wrapperINS8_3SumESD_lEEEE10hipError_tPvRmT1_T2_T3_mT4_P12ihipStream_tbEUlT_E1_NS1_11comp_targetILNS1_3genE4ELNS1_11target_archE910ELNS1_3gpuE8ELNS1_3repE0EEENS1_30default_config_static_selectorELNS0_4arch9wavefront6targetE0EEEvSM_ ; -- Begin function _ZN7rocprim17ROCPRIM_400000_NS6detail17trampoline_kernelINS0_14default_configENS1_22reduce_config_selectorIbEEZNS1_11reduce_implILb1ES3_N6hipcub16HIPCUB_304000_NS22TransformInputIteratorIb7NonZeroIsEPslEEPllNS8_6detail34convert_binary_result_type_wrapperINS8_3SumESD_lEEEE10hipError_tPvRmT1_T2_T3_mT4_P12ihipStream_tbEUlT_E1_NS1_11comp_targetILNS1_3genE4ELNS1_11target_archE910ELNS1_3gpuE8ELNS1_3repE0EEENS1_30default_config_static_selectorELNS0_4arch9wavefront6targetE0EEEvSM_
	.globl	_ZN7rocprim17ROCPRIM_400000_NS6detail17trampoline_kernelINS0_14default_configENS1_22reduce_config_selectorIbEEZNS1_11reduce_implILb1ES3_N6hipcub16HIPCUB_304000_NS22TransformInputIteratorIb7NonZeroIsEPslEEPllNS8_6detail34convert_binary_result_type_wrapperINS8_3SumESD_lEEEE10hipError_tPvRmT1_T2_T3_mT4_P12ihipStream_tbEUlT_E1_NS1_11comp_targetILNS1_3genE4ELNS1_11target_archE910ELNS1_3gpuE8ELNS1_3repE0EEENS1_30default_config_static_selectorELNS0_4arch9wavefront6targetE0EEEvSM_
	.p2align	8
	.type	_ZN7rocprim17ROCPRIM_400000_NS6detail17trampoline_kernelINS0_14default_configENS1_22reduce_config_selectorIbEEZNS1_11reduce_implILb1ES3_N6hipcub16HIPCUB_304000_NS22TransformInputIteratorIb7NonZeroIsEPslEEPllNS8_6detail34convert_binary_result_type_wrapperINS8_3SumESD_lEEEE10hipError_tPvRmT1_T2_T3_mT4_P12ihipStream_tbEUlT_E1_NS1_11comp_targetILNS1_3genE4ELNS1_11target_archE910ELNS1_3gpuE8ELNS1_3repE0EEENS1_30default_config_static_selectorELNS0_4arch9wavefront6targetE0EEEvSM_,@function
_ZN7rocprim17ROCPRIM_400000_NS6detail17trampoline_kernelINS0_14default_configENS1_22reduce_config_selectorIbEEZNS1_11reduce_implILb1ES3_N6hipcub16HIPCUB_304000_NS22TransformInputIteratorIb7NonZeroIsEPslEEPllNS8_6detail34convert_binary_result_type_wrapperINS8_3SumESD_lEEEE10hipError_tPvRmT1_T2_T3_mT4_P12ihipStream_tbEUlT_E1_NS1_11comp_targetILNS1_3genE4ELNS1_11target_archE910ELNS1_3gpuE8ELNS1_3repE0EEENS1_30default_config_static_selectorELNS0_4arch9wavefront6targetE0EEEvSM_: ; @_ZN7rocprim17ROCPRIM_400000_NS6detail17trampoline_kernelINS0_14default_configENS1_22reduce_config_selectorIbEEZNS1_11reduce_implILb1ES3_N6hipcub16HIPCUB_304000_NS22TransformInputIteratorIb7NonZeroIsEPslEEPllNS8_6detail34convert_binary_result_type_wrapperINS8_3SumESD_lEEEE10hipError_tPvRmT1_T2_T3_mT4_P12ihipStream_tbEUlT_E1_NS1_11comp_targetILNS1_3genE4ELNS1_11target_archE910ELNS1_3gpuE8ELNS1_3repE0EEENS1_30default_config_static_selectorELNS0_4arch9wavefront6targetE0EEEvSM_
; %bb.0:
	.section	.rodata,"a",@progbits
	.p2align	6, 0x0
	.amdhsa_kernel _ZN7rocprim17ROCPRIM_400000_NS6detail17trampoline_kernelINS0_14default_configENS1_22reduce_config_selectorIbEEZNS1_11reduce_implILb1ES3_N6hipcub16HIPCUB_304000_NS22TransformInputIteratorIb7NonZeroIsEPslEEPllNS8_6detail34convert_binary_result_type_wrapperINS8_3SumESD_lEEEE10hipError_tPvRmT1_T2_T3_mT4_P12ihipStream_tbEUlT_E1_NS1_11comp_targetILNS1_3genE4ELNS1_11target_archE910ELNS1_3gpuE8ELNS1_3repE0EEENS1_30default_config_static_selectorELNS0_4arch9wavefront6targetE0EEEvSM_
		.amdhsa_group_segment_fixed_size 0
		.amdhsa_private_segment_fixed_size 0
		.amdhsa_kernarg_size 56
		.amdhsa_user_sgpr_count 15
		.amdhsa_user_sgpr_dispatch_ptr 0
		.amdhsa_user_sgpr_queue_ptr 0
		.amdhsa_user_sgpr_kernarg_segment_ptr 1
		.amdhsa_user_sgpr_dispatch_id 0
		.amdhsa_user_sgpr_private_segment_size 0
		.amdhsa_wavefront_size32 1
		.amdhsa_uses_dynamic_stack 0
		.amdhsa_enable_private_segment 0
		.amdhsa_system_sgpr_workgroup_id_x 1
		.amdhsa_system_sgpr_workgroup_id_y 0
		.amdhsa_system_sgpr_workgroup_id_z 0
		.amdhsa_system_sgpr_workgroup_info 0
		.amdhsa_system_vgpr_workitem_id 0
		.amdhsa_next_free_vgpr 1
		.amdhsa_next_free_sgpr 1
		.amdhsa_reserve_vcc 0
		.amdhsa_float_round_mode_32 0
		.amdhsa_float_round_mode_16_64 0
		.amdhsa_float_denorm_mode_32 3
		.amdhsa_float_denorm_mode_16_64 3
		.amdhsa_dx10_clamp 1
		.amdhsa_ieee_mode 1
		.amdhsa_fp16_overflow 0
		.amdhsa_workgroup_processor_mode 1
		.amdhsa_memory_ordered 1
		.amdhsa_forward_progress 0
		.amdhsa_shared_vgpr_count 0
		.amdhsa_exception_fp_ieee_invalid_op 0
		.amdhsa_exception_fp_denorm_src 0
		.amdhsa_exception_fp_ieee_div_zero 0
		.amdhsa_exception_fp_ieee_overflow 0
		.amdhsa_exception_fp_ieee_underflow 0
		.amdhsa_exception_fp_ieee_inexact 0
		.amdhsa_exception_int_div_zero 0
	.end_amdhsa_kernel
	.section	.text._ZN7rocprim17ROCPRIM_400000_NS6detail17trampoline_kernelINS0_14default_configENS1_22reduce_config_selectorIbEEZNS1_11reduce_implILb1ES3_N6hipcub16HIPCUB_304000_NS22TransformInputIteratorIb7NonZeroIsEPslEEPllNS8_6detail34convert_binary_result_type_wrapperINS8_3SumESD_lEEEE10hipError_tPvRmT1_T2_T3_mT4_P12ihipStream_tbEUlT_E1_NS1_11comp_targetILNS1_3genE4ELNS1_11target_archE910ELNS1_3gpuE8ELNS1_3repE0EEENS1_30default_config_static_selectorELNS0_4arch9wavefront6targetE0EEEvSM_,"axG",@progbits,_ZN7rocprim17ROCPRIM_400000_NS6detail17trampoline_kernelINS0_14default_configENS1_22reduce_config_selectorIbEEZNS1_11reduce_implILb1ES3_N6hipcub16HIPCUB_304000_NS22TransformInputIteratorIb7NonZeroIsEPslEEPllNS8_6detail34convert_binary_result_type_wrapperINS8_3SumESD_lEEEE10hipError_tPvRmT1_T2_T3_mT4_P12ihipStream_tbEUlT_E1_NS1_11comp_targetILNS1_3genE4ELNS1_11target_archE910ELNS1_3gpuE8ELNS1_3repE0EEENS1_30default_config_static_selectorELNS0_4arch9wavefront6targetE0EEEvSM_,comdat
.Lfunc_end110:
	.size	_ZN7rocprim17ROCPRIM_400000_NS6detail17trampoline_kernelINS0_14default_configENS1_22reduce_config_selectorIbEEZNS1_11reduce_implILb1ES3_N6hipcub16HIPCUB_304000_NS22TransformInputIteratorIb7NonZeroIsEPslEEPllNS8_6detail34convert_binary_result_type_wrapperINS8_3SumESD_lEEEE10hipError_tPvRmT1_T2_T3_mT4_P12ihipStream_tbEUlT_E1_NS1_11comp_targetILNS1_3genE4ELNS1_11target_archE910ELNS1_3gpuE8ELNS1_3repE0EEENS1_30default_config_static_selectorELNS0_4arch9wavefront6targetE0EEEvSM_, .Lfunc_end110-_ZN7rocprim17ROCPRIM_400000_NS6detail17trampoline_kernelINS0_14default_configENS1_22reduce_config_selectorIbEEZNS1_11reduce_implILb1ES3_N6hipcub16HIPCUB_304000_NS22TransformInputIteratorIb7NonZeroIsEPslEEPllNS8_6detail34convert_binary_result_type_wrapperINS8_3SumESD_lEEEE10hipError_tPvRmT1_T2_T3_mT4_P12ihipStream_tbEUlT_E1_NS1_11comp_targetILNS1_3genE4ELNS1_11target_archE910ELNS1_3gpuE8ELNS1_3repE0EEENS1_30default_config_static_selectorELNS0_4arch9wavefront6targetE0EEEvSM_
                                        ; -- End function
	.section	.AMDGPU.csdata,"",@progbits
; Kernel info:
; codeLenInByte = 0
; NumSgprs: 0
; NumVgprs: 0
; ScratchSize: 0
; MemoryBound: 0
; FloatMode: 240
; IeeeMode: 1
; LDSByteSize: 0 bytes/workgroup (compile time only)
; SGPRBlocks: 0
; VGPRBlocks: 0
; NumSGPRsForWavesPerEU: 1
; NumVGPRsForWavesPerEU: 1
; Occupancy: 16
; WaveLimiterHint : 0
; COMPUTE_PGM_RSRC2:SCRATCH_EN: 0
; COMPUTE_PGM_RSRC2:USER_SGPR: 15
; COMPUTE_PGM_RSRC2:TRAP_HANDLER: 0
; COMPUTE_PGM_RSRC2:TGID_X_EN: 1
; COMPUTE_PGM_RSRC2:TGID_Y_EN: 0
; COMPUTE_PGM_RSRC2:TGID_Z_EN: 0
; COMPUTE_PGM_RSRC2:TIDIG_COMP_CNT: 0
	.section	.text._ZN7rocprim17ROCPRIM_400000_NS6detail17trampoline_kernelINS0_14default_configENS1_22reduce_config_selectorIbEEZNS1_11reduce_implILb1ES3_N6hipcub16HIPCUB_304000_NS22TransformInputIteratorIb7NonZeroIsEPslEEPllNS8_6detail34convert_binary_result_type_wrapperINS8_3SumESD_lEEEE10hipError_tPvRmT1_T2_T3_mT4_P12ihipStream_tbEUlT_E1_NS1_11comp_targetILNS1_3genE3ELNS1_11target_archE908ELNS1_3gpuE7ELNS1_3repE0EEENS1_30default_config_static_selectorELNS0_4arch9wavefront6targetE0EEEvSM_,"axG",@progbits,_ZN7rocprim17ROCPRIM_400000_NS6detail17trampoline_kernelINS0_14default_configENS1_22reduce_config_selectorIbEEZNS1_11reduce_implILb1ES3_N6hipcub16HIPCUB_304000_NS22TransformInputIteratorIb7NonZeroIsEPslEEPllNS8_6detail34convert_binary_result_type_wrapperINS8_3SumESD_lEEEE10hipError_tPvRmT1_T2_T3_mT4_P12ihipStream_tbEUlT_E1_NS1_11comp_targetILNS1_3genE3ELNS1_11target_archE908ELNS1_3gpuE7ELNS1_3repE0EEENS1_30default_config_static_selectorELNS0_4arch9wavefront6targetE0EEEvSM_,comdat
	.protected	_ZN7rocprim17ROCPRIM_400000_NS6detail17trampoline_kernelINS0_14default_configENS1_22reduce_config_selectorIbEEZNS1_11reduce_implILb1ES3_N6hipcub16HIPCUB_304000_NS22TransformInputIteratorIb7NonZeroIsEPslEEPllNS8_6detail34convert_binary_result_type_wrapperINS8_3SumESD_lEEEE10hipError_tPvRmT1_T2_T3_mT4_P12ihipStream_tbEUlT_E1_NS1_11comp_targetILNS1_3genE3ELNS1_11target_archE908ELNS1_3gpuE7ELNS1_3repE0EEENS1_30default_config_static_selectorELNS0_4arch9wavefront6targetE0EEEvSM_ ; -- Begin function _ZN7rocprim17ROCPRIM_400000_NS6detail17trampoline_kernelINS0_14default_configENS1_22reduce_config_selectorIbEEZNS1_11reduce_implILb1ES3_N6hipcub16HIPCUB_304000_NS22TransformInputIteratorIb7NonZeroIsEPslEEPllNS8_6detail34convert_binary_result_type_wrapperINS8_3SumESD_lEEEE10hipError_tPvRmT1_T2_T3_mT4_P12ihipStream_tbEUlT_E1_NS1_11comp_targetILNS1_3genE3ELNS1_11target_archE908ELNS1_3gpuE7ELNS1_3repE0EEENS1_30default_config_static_selectorELNS0_4arch9wavefront6targetE0EEEvSM_
	.globl	_ZN7rocprim17ROCPRIM_400000_NS6detail17trampoline_kernelINS0_14default_configENS1_22reduce_config_selectorIbEEZNS1_11reduce_implILb1ES3_N6hipcub16HIPCUB_304000_NS22TransformInputIteratorIb7NonZeroIsEPslEEPllNS8_6detail34convert_binary_result_type_wrapperINS8_3SumESD_lEEEE10hipError_tPvRmT1_T2_T3_mT4_P12ihipStream_tbEUlT_E1_NS1_11comp_targetILNS1_3genE3ELNS1_11target_archE908ELNS1_3gpuE7ELNS1_3repE0EEENS1_30default_config_static_selectorELNS0_4arch9wavefront6targetE0EEEvSM_
	.p2align	8
	.type	_ZN7rocprim17ROCPRIM_400000_NS6detail17trampoline_kernelINS0_14default_configENS1_22reduce_config_selectorIbEEZNS1_11reduce_implILb1ES3_N6hipcub16HIPCUB_304000_NS22TransformInputIteratorIb7NonZeroIsEPslEEPllNS8_6detail34convert_binary_result_type_wrapperINS8_3SumESD_lEEEE10hipError_tPvRmT1_T2_T3_mT4_P12ihipStream_tbEUlT_E1_NS1_11comp_targetILNS1_3genE3ELNS1_11target_archE908ELNS1_3gpuE7ELNS1_3repE0EEENS1_30default_config_static_selectorELNS0_4arch9wavefront6targetE0EEEvSM_,@function
_ZN7rocprim17ROCPRIM_400000_NS6detail17trampoline_kernelINS0_14default_configENS1_22reduce_config_selectorIbEEZNS1_11reduce_implILb1ES3_N6hipcub16HIPCUB_304000_NS22TransformInputIteratorIb7NonZeroIsEPslEEPllNS8_6detail34convert_binary_result_type_wrapperINS8_3SumESD_lEEEE10hipError_tPvRmT1_T2_T3_mT4_P12ihipStream_tbEUlT_E1_NS1_11comp_targetILNS1_3genE3ELNS1_11target_archE908ELNS1_3gpuE7ELNS1_3repE0EEENS1_30default_config_static_selectorELNS0_4arch9wavefront6targetE0EEEvSM_: ; @_ZN7rocprim17ROCPRIM_400000_NS6detail17trampoline_kernelINS0_14default_configENS1_22reduce_config_selectorIbEEZNS1_11reduce_implILb1ES3_N6hipcub16HIPCUB_304000_NS22TransformInputIteratorIb7NonZeroIsEPslEEPllNS8_6detail34convert_binary_result_type_wrapperINS8_3SumESD_lEEEE10hipError_tPvRmT1_T2_T3_mT4_P12ihipStream_tbEUlT_E1_NS1_11comp_targetILNS1_3genE3ELNS1_11target_archE908ELNS1_3gpuE7ELNS1_3repE0EEENS1_30default_config_static_selectorELNS0_4arch9wavefront6targetE0EEEvSM_
; %bb.0:
	.section	.rodata,"a",@progbits
	.p2align	6, 0x0
	.amdhsa_kernel _ZN7rocprim17ROCPRIM_400000_NS6detail17trampoline_kernelINS0_14default_configENS1_22reduce_config_selectorIbEEZNS1_11reduce_implILb1ES3_N6hipcub16HIPCUB_304000_NS22TransformInputIteratorIb7NonZeroIsEPslEEPllNS8_6detail34convert_binary_result_type_wrapperINS8_3SumESD_lEEEE10hipError_tPvRmT1_T2_T3_mT4_P12ihipStream_tbEUlT_E1_NS1_11comp_targetILNS1_3genE3ELNS1_11target_archE908ELNS1_3gpuE7ELNS1_3repE0EEENS1_30default_config_static_selectorELNS0_4arch9wavefront6targetE0EEEvSM_
		.amdhsa_group_segment_fixed_size 0
		.amdhsa_private_segment_fixed_size 0
		.amdhsa_kernarg_size 56
		.amdhsa_user_sgpr_count 15
		.amdhsa_user_sgpr_dispatch_ptr 0
		.amdhsa_user_sgpr_queue_ptr 0
		.amdhsa_user_sgpr_kernarg_segment_ptr 1
		.amdhsa_user_sgpr_dispatch_id 0
		.amdhsa_user_sgpr_private_segment_size 0
		.amdhsa_wavefront_size32 1
		.amdhsa_uses_dynamic_stack 0
		.amdhsa_enable_private_segment 0
		.amdhsa_system_sgpr_workgroup_id_x 1
		.amdhsa_system_sgpr_workgroup_id_y 0
		.amdhsa_system_sgpr_workgroup_id_z 0
		.amdhsa_system_sgpr_workgroup_info 0
		.amdhsa_system_vgpr_workitem_id 0
		.amdhsa_next_free_vgpr 1
		.amdhsa_next_free_sgpr 1
		.amdhsa_reserve_vcc 0
		.amdhsa_float_round_mode_32 0
		.amdhsa_float_round_mode_16_64 0
		.amdhsa_float_denorm_mode_32 3
		.amdhsa_float_denorm_mode_16_64 3
		.amdhsa_dx10_clamp 1
		.amdhsa_ieee_mode 1
		.amdhsa_fp16_overflow 0
		.amdhsa_workgroup_processor_mode 1
		.amdhsa_memory_ordered 1
		.amdhsa_forward_progress 0
		.amdhsa_shared_vgpr_count 0
		.amdhsa_exception_fp_ieee_invalid_op 0
		.amdhsa_exception_fp_denorm_src 0
		.amdhsa_exception_fp_ieee_div_zero 0
		.amdhsa_exception_fp_ieee_overflow 0
		.amdhsa_exception_fp_ieee_underflow 0
		.amdhsa_exception_fp_ieee_inexact 0
		.amdhsa_exception_int_div_zero 0
	.end_amdhsa_kernel
	.section	.text._ZN7rocprim17ROCPRIM_400000_NS6detail17trampoline_kernelINS0_14default_configENS1_22reduce_config_selectorIbEEZNS1_11reduce_implILb1ES3_N6hipcub16HIPCUB_304000_NS22TransformInputIteratorIb7NonZeroIsEPslEEPllNS8_6detail34convert_binary_result_type_wrapperINS8_3SumESD_lEEEE10hipError_tPvRmT1_T2_T3_mT4_P12ihipStream_tbEUlT_E1_NS1_11comp_targetILNS1_3genE3ELNS1_11target_archE908ELNS1_3gpuE7ELNS1_3repE0EEENS1_30default_config_static_selectorELNS0_4arch9wavefront6targetE0EEEvSM_,"axG",@progbits,_ZN7rocprim17ROCPRIM_400000_NS6detail17trampoline_kernelINS0_14default_configENS1_22reduce_config_selectorIbEEZNS1_11reduce_implILb1ES3_N6hipcub16HIPCUB_304000_NS22TransformInputIteratorIb7NonZeroIsEPslEEPllNS8_6detail34convert_binary_result_type_wrapperINS8_3SumESD_lEEEE10hipError_tPvRmT1_T2_T3_mT4_P12ihipStream_tbEUlT_E1_NS1_11comp_targetILNS1_3genE3ELNS1_11target_archE908ELNS1_3gpuE7ELNS1_3repE0EEENS1_30default_config_static_selectorELNS0_4arch9wavefront6targetE0EEEvSM_,comdat
.Lfunc_end111:
	.size	_ZN7rocprim17ROCPRIM_400000_NS6detail17trampoline_kernelINS0_14default_configENS1_22reduce_config_selectorIbEEZNS1_11reduce_implILb1ES3_N6hipcub16HIPCUB_304000_NS22TransformInputIteratorIb7NonZeroIsEPslEEPllNS8_6detail34convert_binary_result_type_wrapperINS8_3SumESD_lEEEE10hipError_tPvRmT1_T2_T3_mT4_P12ihipStream_tbEUlT_E1_NS1_11comp_targetILNS1_3genE3ELNS1_11target_archE908ELNS1_3gpuE7ELNS1_3repE0EEENS1_30default_config_static_selectorELNS0_4arch9wavefront6targetE0EEEvSM_, .Lfunc_end111-_ZN7rocprim17ROCPRIM_400000_NS6detail17trampoline_kernelINS0_14default_configENS1_22reduce_config_selectorIbEEZNS1_11reduce_implILb1ES3_N6hipcub16HIPCUB_304000_NS22TransformInputIteratorIb7NonZeroIsEPslEEPllNS8_6detail34convert_binary_result_type_wrapperINS8_3SumESD_lEEEE10hipError_tPvRmT1_T2_T3_mT4_P12ihipStream_tbEUlT_E1_NS1_11comp_targetILNS1_3genE3ELNS1_11target_archE908ELNS1_3gpuE7ELNS1_3repE0EEENS1_30default_config_static_selectorELNS0_4arch9wavefront6targetE0EEEvSM_
                                        ; -- End function
	.section	.AMDGPU.csdata,"",@progbits
; Kernel info:
; codeLenInByte = 0
; NumSgprs: 0
; NumVgprs: 0
; ScratchSize: 0
; MemoryBound: 0
; FloatMode: 240
; IeeeMode: 1
; LDSByteSize: 0 bytes/workgroup (compile time only)
; SGPRBlocks: 0
; VGPRBlocks: 0
; NumSGPRsForWavesPerEU: 1
; NumVGPRsForWavesPerEU: 1
; Occupancy: 16
; WaveLimiterHint : 0
; COMPUTE_PGM_RSRC2:SCRATCH_EN: 0
; COMPUTE_PGM_RSRC2:USER_SGPR: 15
; COMPUTE_PGM_RSRC2:TRAP_HANDLER: 0
; COMPUTE_PGM_RSRC2:TGID_X_EN: 1
; COMPUTE_PGM_RSRC2:TGID_Y_EN: 0
; COMPUTE_PGM_RSRC2:TGID_Z_EN: 0
; COMPUTE_PGM_RSRC2:TIDIG_COMP_CNT: 0
	.section	.text._ZN7rocprim17ROCPRIM_400000_NS6detail17trampoline_kernelINS0_14default_configENS1_22reduce_config_selectorIbEEZNS1_11reduce_implILb1ES3_N6hipcub16HIPCUB_304000_NS22TransformInputIteratorIb7NonZeroIsEPslEEPllNS8_6detail34convert_binary_result_type_wrapperINS8_3SumESD_lEEEE10hipError_tPvRmT1_T2_T3_mT4_P12ihipStream_tbEUlT_E1_NS1_11comp_targetILNS1_3genE2ELNS1_11target_archE906ELNS1_3gpuE6ELNS1_3repE0EEENS1_30default_config_static_selectorELNS0_4arch9wavefront6targetE0EEEvSM_,"axG",@progbits,_ZN7rocprim17ROCPRIM_400000_NS6detail17trampoline_kernelINS0_14default_configENS1_22reduce_config_selectorIbEEZNS1_11reduce_implILb1ES3_N6hipcub16HIPCUB_304000_NS22TransformInputIteratorIb7NonZeroIsEPslEEPllNS8_6detail34convert_binary_result_type_wrapperINS8_3SumESD_lEEEE10hipError_tPvRmT1_T2_T3_mT4_P12ihipStream_tbEUlT_E1_NS1_11comp_targetILNS1_3genE2ELNS1_11target_archE906ELNS1_3gpuE6ELNS1_3repE0EEENS1_30default_config_static_selectorELNS0_4arch9wavefront6targetE0EEEvSM_,comdat
	.protected	_ZN7rocprim17ROCPRIM_400000_NS6detail17trampoline_kernelINS0_14default_configENS1_22reduce_config_selectorIbEEZNS1_11reduce_implILb1ES3_N6hipcub16HIPCUB_304000_NS22TransformInputIteratorIb7NonZeroIsEPslEEPllNS8_6detail34convert_binary_result_type_wrapperINS8_3SumESD_lEEEE10hipError_tPvRmT1_T2_T3_mT4_P12ihipStream_tbEUlT_E1_NS1_11comp_targetILNS1_3genE2ELNS1_11target_archE906ELNS1_3gpuE6ELNS1_3repE0EEENS1_30default_config_static_selectorELNS0_4arch9wavefront6targetE0EEEvSM_ ; -- Begin function _ZN7rocprim17ROCPRIM_400000_NS6detail17trampoline_kernelINS0_14default_configENS1_22reduce_config_selectorIbEEZNS1_11reduce_implILb1ES3_N6hipcub16HIPCUB_304000_NS22TransformInputIteratorIb7NonZeroIsEPslEEPllNS8_6detail34convert_binary_result_type_wrapperINS8_3SumESD_lEEEE10hipError_tPvRmT1_T2_T3_mT4_P12ihipStream_tbEUlT_E1_NS1_11comp_targetILNS1_3genE2ELNS1_11target_archE906ELNS1_3gpuE6ELNS1_3repE0EEENS1_30default_config_static_selectorELNS0_4arch9wavefront6targetE0EEEvSM_
	.globl	_ZN7rocprim17ROCPRIM_400000_NS6detail17trampoline_kernelINS0_14default_configENS1_22reduce_config_selectorIbEEZNS1_11reduce_implILb1ES3_N6hipcub16HIPCUB_304000_NS22TransformInputIteratorIb7NonZeroIsEPslEEPllNS8_6detail34convert_binary_result_type_wrapperINS8_3SumESD_lEEEE10hipError_tPvRmT1_T2_T3_mT4_P12ihipStream_tbEUlT_E1_NS1_11comp_targetILNS1_3genE2ELNS1_11target_archE906ELNS1_3gpuE6ELNS1_3repE0EEENS1_30default_config_static_selectorELNS0_4arch9wavefront6targetE0EEEvSM_
	.p2align	8
	.type	_ZN7rocprim17ROCPRIM_400000_NS6detail17trampoline_kernelINS0_14default_configENS1_22reduce_config_selectorIbEEZNS1_11reduce_implILb1ES3_N6hipcub16HIPCUB_304000_NS22TransformInputIteratorIb7NonZeroIsEPslEEPllNS8_6detail34convert_binary_result_type_wrapperINS8_3SumESD_lEEEE10hipError_tPvRmT1_T2_T3_mT4_P12ihipStream_tbEUlT_E1_NS1_11comp_targetILNS1_3genE2ELNS1_11target_archE906ELNS1_3gpuE6ELNS1_3repE0EEENS1_30default_config_static_selectorELNS0_4arch9wavefront6targetE0EEEvSM_,@function
_ZN7rocprim17ROCPRIM_400000_NS6detail17trampoline_kernelINS0_14default_configENS1_22reduce_config_selectorIbEEZNS1_11reduce_implILb1ES3_N6hipcub16HIPCUB_304000_NS22TransformInputIteratorIb7NonZeroIsEPslEEPllNS8_6detail34convert_binary_result_type_wrapperINS8_3SumESD_lEEEE10hipError_tPvRmT1_T2_T3_mT4_P12ihipStream_tbEUlT_E1_NS1_11comp_targetILNS1_3genE2ELNS1_11target_archE906ELNS1_3gpuE6ELNS1_3repE0EEENS1_30default_config_static_selectorELNS0_4arch9wavefront6targetE0EEEvSM_: ; @_ZN7rocprim17ROCPRIM_400000_NS6detail17trampoline_kernelINS0_14default_configENS1_22reduce_config_selectorIbEEZNS1_11reduce_implILb1ES3_N6hipcub16HIPCUB_304000_NS22TransformInputIteratorIb7NonZeroIsEPslEEPllNS8_6detail34convert_binary_result_type_wrapperINS8_3SumESD_lEEEE10hipError_tPvRmT1_T2_T3_mT4_P12ihipStream_tbEUlT_E1_NS1_11comp_targetILNS1_3genE2ELNS1_11target_archE906ELNS1_3gpuE6ELNS1_3repE0EEENS1_30default_config_static_selectorELNS0_4arch9wavefront6targetE0EEEvSM_
; %bb.0:
	.section	.rodata,"a",@progbits
	.p2align	6, 0x0
	.amdhsa_kernel _ZN7rocprim17ROCPRIM_400000_NS6detail17trampoline_kernelINS0_14default_configENS1_22reduce_config_selectorIbEEZNS1_11reduce_implILb1ES3_N6hipcub16HIPCUB_304000_NS22TransformInputIteratorIb7NonZeroIsEPslEEPllNS8_6detail34convert_binary_result_type_wrapperINS8_3SumESD_lEEEE10hipError_tPvRmT1_T2_T3_mT4_P12ihipStream_tbEUlT_E1_NS1_11comp_targetILNS1_3genE2ELNS1_11target_archE906ELNS1_3gpuE6ELNS1_3repE0EEENS1_30default_config_static_selectorELNS0_4arch9wavefront6targetE0EEEvSM_
		.amdhsa_group_segment_fixed_size 0
		.amdhsa_private_segment_fixed_size 0
		.amdhsa_kernarg_size 56
		.amdhsa_user_sgpr_count 15
		.amdhsa_user_sgpr_dispatch_ptr 0
		.amdhsa_user_sgpr_queue_ptr 0
		.amdhsa_user_sgpr_kernarg_segment_ptr 1
		.amdhsa_user_sgpr_dispatch_id 0
		.amdhsa_user_sgpr_private_segment_size 0
		.amdhsa_wavefront_size32 1
		.amdhsa_uses_dynamic_stack 0
		.amdhsa_enable_private_segment 0
		.amdhsa_system_sgpr_workgroup_id_x 1
		.amdhsa_system_sgpr_workgroup_id_y 0
		.amdhsa_system_sgpr_workgroup_id_z 0
		.amdhsa_system_sgpr_workgroup_info 0
		.amdhsa_system_vgpr_workitem_id 0
		.amdhsa_next_free_vgpr 1
		.amdhsa_next_free_sgpr 1
		.amdhsa_reserve_vcc 0
		.amdhsa_float_round_mode_32 0
		.amdhsa_float_round_mode_16_64 0
		.amdhsa_float_denorm_mode_32 3
		.amdhsa_float_denorm_mode_16_64 3
		.amdhsa_dx10_clamp 1
		.amdhsa_ieee_mode 1
		.amdhsa_fp16_overflow 0
		.amdhsa_workgroup_processor_mode 1
		.amdhsa_memory_ordered 1
		.amdhsa_forward_progress 0
		.amdhsa_shared_vgpr_count 0
		.amdhsa_exception_fp_ieee_invalid_op 0
		.amdhsa_exception_fp_denorm_src 0
		.amdhsa_exception_fp_ieee_div_zero 0
		.amdhsa_exception_fp_ieee_overflow 0
		.amdhsa_exception_fp_ieee_underflow 0
		.amdhsa_exception_fp_ieee_inexact 0
		.amdhsa_exception_int_div_zero 0
	.end_amdhsa_kernel
	.section	.text._ZN7rocprim17ROCPRIM_400000_NS6detail17trampoline_kernelINS0_14default_configENS1_22reduce_config_selectorIbEEZNS1_11reduce_implILb1ES3_N6hipcub16HIPCUB_304000_NS22TransformInputIteratorIb7NonZeroIsEPslEEPllNS8_6detail34convert_binary_result_type_wrapperINS8_3SumESD_lEEEE10hipError_tPvRmT1_T2_T3_mT4_P12ihipStream_tbEUlT_E1_NS1_11comp_targetILNS1_3genE2ELNS1_11target_archE906ELNS1_3gpuE6ELNS1_3repE0EEENS1_30default_config_static_selectorELNS0_4arch9wavefront6targetE0EEEvSM_,"axG",@progbits,_ZN7rocprim17ROCPRIM_400000_NS6detail17trampoline_kernelINS0_14default_configENS1_22reduce_config_selectorIbEEZNS1_11reduce_implILb1ES3_N6hipcub16HIPCUB_304000_NS22TransformInputIteratorIb7NonZeroIsEPslEEPllNS8_6detail34convert_binary_result_type_wrapperINS8_3SumESD_lEEEE10hipError_tPvRmT1_T2_T3_mT4_P12ihipStream_tbEUlT_E1_NS1_11comp_targetILNS1_3genE2ELNS1_11target_archE906ELNS1_3gpuE6ELNS1_3repE0EEENS1_30default_config_static_selectorELNS0_4arch9wavefront6targetE0EEEvSM_,comdat
.Lfunc_end112:
	.size	_ZN7rocprim17ROCPRIM_400000_NS6detail17trampoline_kernelINS0_14default_configENS1_22reduce_config_selectorIbEEZNS1_11reduce_implILb1ES3_N6hipcub16HIPCUB_304000_NS22TransformInputIteratorIb7NonZeroIsEPslEEPllNS8_6detail34convert_binary_result_type_wrapperINS8_3SumESD_lEEEE10hipError_tPvRmT1_T2_T3_mT4_P12ihipStream_tbEUlT_E1_NS1_11comp_targetILNS1_3genE2ELNS1_11target_archE906ELNS1_3gpuE6ELNS1_3repE0EEENS1_30default_config_static_selectorELNS0_4arch9wavefront6targetE0EEEvSM_, .Lfunc_end112-_ZN7rocprim17ROCPRIM_400000_NS6detail17trampoline_kernelINS0_14default_configENS1_22reduce_config_selectorIbEEZNS1_11reduce_implILb1ES3_N6hipcub16HIPCUB_304000_NS22TransformInputIteratorIb7NonZeroIsEPslEEPllNS8_6detail34convert_binary_result_type_wrapperINS8_3SumESD_lEEEE10hipError_tPvRmT1_T2_T3_mT4_P12ihipStream_tbEUlT_E1_NS1_11comp_targetILNS1_3genE2ELNS1_11target_archE906ELNS1_3gpuE6ELNS1_3repE0EEENS1_30default_config_static_selectorELNS0_4arch9wavefront6targetE0EEEvSM_
                                        ; -- End function
	.section	.AMDGPU.csdata,"",@progbits
; Kernel info:
; codeLenInByte = 0
; NumSgprs: 0
; NumVgprs: 0
; ScratchSize: 0
; MemoryBound: 0
; FloatMode: 240
; IeeeMode: 1
; LDSByteSize: 0 bytes/workgroup (compile time only)
; SGPRBlocks: 0
; VGPRBlocks: 0
; NumSGPRsForWavesPerEU: 1
; NumVGPRsForWavesPerEU: 1
; Occupancy: 16
; WaveLimiterHint : 0
; COMPUTE_PGM_RSRC2:SCRATCH_EN: 0
; COMPUTE_PGM_RSRC2:USER_SGPR: 15
; COMPUTE_PGM_RSRC2:TRAP_HANDLER: 0
; COMPUTE_PGM_RSRC2:TGID_X_EN: 1
; COMPUTE_PGM_RSRC2:TGID_Y_EN: 0
; COMPUTE_PGM_RSRC2:TGID_Z_EN: 0
; COMPUTE_PGM_RSRC2:TIDIG_COMP_CNT: 0
	.section	.text._ZN7rocprim17ROCPRIM_400000_NS6detail17trampoline_kernelINS0_14default_configENS1_22reduce_config_selectorIbEEZNS1_11reduce_implILb1ES3_N6hipcub16HIPCUB_304000_NS22TransformInputIteratorIb7NonZeroIsEPslEEPllNS8_6detail34convert_binary_result_type_wrapperINS8_3SumESD_lEEEE10hipError_tPvRmT1_T2_T3_mT4_P12ihipStream_tbEUlT_E1_NS1_11comp_targetILNS1_3genE10ELNS1_11target_archE1201ELNS1_3gpuE5ELNS1_3repE0EEENS1_30default_config_static_selectorELNS0_4arch9wavefront6targetE0EEEvSM_,"axG",@progbits,_ZN7rocprim17ROCPRIM_400000_NS6detail17trampoline_kernelINS0_14default_configENS1_22reduce_config_selectorIbEEZNS1_11reduce_implILb1ES3_N6hipcub16HIPCUB_304000_NS22TransformInputIteratorIb7NonZeroIsEPslEEPllNS8_6detail34convert_binary_result_type_wrapperINS8_3SumESD_lEEEE10hipError_tPvRmT1_T2_T3_mT4_P12ihipStream_tbEUlT_E1_NS1_11comp_targetILNS1_3genE10ELNS1_11target_archE1201ELNS1_3gpuE5ELNS1_3repE0EEENS1_30default_config_static_selectorELNS0_4arch9wavefront6targetE0EEEvSM_,comdat
	.protected	_ZN7rocprim17ROCPRIM_400000_NS6detail17trampoline_kernelINS0_14default_configENS1_22reduce_config_selectorIbEEZNS1_11reduce_implILb1ES3_N6hipcub16HIPCUB_304000_NS22TransformInputIteratorIb7NonZeroIsEPslEEPllNS8_6detail34convert_binary_result_type_wrapperINS8_3SumESD_lEEEE10hipError_tPvRmT1_T2_T3_mT4_P12ihipStream_tbEUlT_E1_NS1_11comp_targetILNS1_3genE10ELNS1_11target_archE1201ELNS1_3gpuE5ELNS1_3repE0EEENS1_30default_config_static_selectorELNS0_4arch9wavefront6targetE0EEEvSM_ ; -- Begin function _ZN7rocprim17ROCPRIM_400000_NS6detail17trampoline_kernelINS0_14default_configENS1_22reduce_config_selectorIbEEZNS1_11reduce_implILb1ES3_N6hipcub16HIPCUB_304000_NS22TransformInputIteratorIb7NonZeroIsEPslEEPllNS8_6detail34convert_binary_result_type_wrapperINS8_3SumESD_lEEEE10hipError_tPvRmT1_T2_T3_mT4_P12ihipStream_tbEUlT_E1_NS1_11comp_targetILNS1_3genE10ELNS1_11target_archE1201ELNS1_3gpuE5ELNS1_3repE0EEENS1_30default_config_static_selectorELNS0_4arch9wavefront6targetE0EEEvSM_
	.globl	_ZN7rocprim17ROCPRIM_400000_NS6detail17trampoline_kernelINS0_14default_configENS1_22reduce_config_selectorIbEEZNS1_11reduce_implILb1ES3_N6hipcub16HIPCUB_304000_NS22TransformInputIteratorIb7NonZeroIsEPslEEPllNS8_6detail34convert_binary_result_type_wrapperINS8_3SumESD_lEEEE10hipError_tPvRmT1_T2_T3_mT4_P12ihipStream_tbEUlT_E1_NS1_11comp_targetILNS1_3genE10ELNS1_11target_archE1201ELNS1_3gpuE5ELNS1_3repE0EEENS1_30default_config_static_selectorELNS0_4arch9wavefront6targetE0EEEvSM_
	.p2align	8
	.type	_ZN7rocprim17ROCPRIM_400000_NS6detail17trampoline_kernelINS0_14default_configENS1_22reduce_config_selectorIbEEZNS1_11reduce_implILb1ES3_N6hipcub16HIPCUB_304000_NS22TransformInputIteratorIb7NonZeroIsEPslEEPllNS8_6detail34convert_binary_result_type_wrapperINS8_3SumESD_lEEEE10hipError_tPvRmT1_T2_T3_mT4_P12ihipStream_tbEUlT_E1_NS1_11comp_targetILNS1_3genE10ELNS1_11target_archE1201ELNS1_3gpuE5ELNS1_3repE0EEENS1_30default_config_static_selectorELNS0_4arch9wavefront6targetE0EEEvSM_,@function
_ZN7rocprim17ROCPRIM_400000_NS6detail17trampoline_kernelINS0_14default_configENS1_22reduce_config_selectorIbEEZNS1_11reduce_implILb1ES3_N6hipcub16HIPCUB_304000_NS22TransformInputIteratorIb7NonZeroIsEPslEEPllNS8_6detail34convert_binary_result_type_wrapperINS8_3SumESD_lEEEE10hipError_tPvRmT1_T2_T3_mT4_P12ihipStream_tbEUlT_E1_NS1_11comp_targetILNS1_3genE10ELNS1_11target_archE1201ELNS1_3gpuE5ELNS1_3repE0EEENS1_30default_config_static_selectorELNS0_4arch9wavefront6targetE0EEEvSM_: ; @_ZN7rocprim17ROCPRIM_400000_NS6detail17trampoline_kernelINS0_14default_configENS1_22reduce_config_selectorIbEEZNS1_11reduce_implILb1ES3_N6hipcub16HIPCUB_304000_NS22TransformInputIteratorIb7NonZeroIsEPslEEPllNS8_6detail34convert_binary_result_type_wrapperINS8_3SumESD_lEEEE10hipError_tPvRmT1_T2_T3_mT4_P12ihipStream_tbEUlT_E1_NS1_11comp_targetILNS1_3genE10ELNS1_11target_archE1201ELNS1_3gpuE5ELNS1_3repE0EEENS1_30default_config_static_selectorELNS0_4arch9wavefront6targetE0EEEvSM_
; %bb.0:
	.section	.rodata,"a",@progbits
	.p2align	6, 0x0
	.amdhsa_kernel _ZN7rocprim17ROCPRIM_400000_NS6detail17trampoline_kernelINS0_14default_configENS1_22reduce_config_selectorIbEEZNS1_11reduce_implILb1ES3_N6hipcub16HIPCUB_304000_NS22TransformInputIteratorIb7NonZeroIsEPslEEPllNS8_6detail34convert_binary_result_type_wrapperINS8_3SumESD_lEEEE10hipError_tPvRmT1_T2_T3_mT4_P12ihipStream_tbEUlT_E1_NS1_11comp_targetILNS1_3genE10ELNS1_11target_archE1201ELNS1_3gpuE5ELNS1_3repE0EEENS1_30default_config_static_selectorELNS0_4arch9wavefront6targetE0EEEvSM_
		.amdhsa_group_segment_fixed_size 0
		.amdhsa_private_segment_fixed_size 0
		.amdhsa_kernarg_size 56
		.amdhsa_user_sgpr_count 15
		.amdhsa_user_sgpr_dispatch_ptr 0
		.amdhsa_user_sgpr_queue_ptr 0
		.amdhsa_user_sgpr_kernarg_segment_ptr 1
		.amdhsa_user_sgpr_dispatch_id 0
		.amdhsa_user_sgpr_private_segment_size 0
		.amdhsa_wavefront_size32 1
		.amdhsa_uses_dynamic_stack 0
		.amdhsa_enable_private_segment 0
		.amdhsa_system_sgpr_workgroup_id_x 1
		.amdhsa_system_sgpr_workgroup_id_y 0
		.amdhsa_system_sgpr_workgroup_id_z 0
		.amdhsa_system_sgpr_workgroup_info 0
		.amdhsa_system_vgpr_workitem_id 0
		.amdhsa_next_free_vgpr 1
		.amdhsa_next_free_sgpr 1
		.amdhsa_reserve_vcc 0
		.amdhsa_float_round_mode_32 0
		.amdhsa_float_round_mode_16_64 0
		.amdhsa_float_denorm_mode_32 3
		.amdhsa_float_denorm_mode_16_64 3
		.amdhsa_dx10_clamp 1
		.amdhsa_ieee_mode 1
		.amdhsa_fp16_overflow 0
		.amdhsa_workgroup_processor_mode 1
		.amdhsa_memory_ordered 1
		.amdhsa_forward_progress 0
		.amdhsa_shared_vgpr_count 0
		.amdhsa_exception_fp_ieee_invalid_op 0
		.amdhsa_exception_fp_denorm_src 0
		.amdhsa_exception_fp_ieee_div_zero 0
		.amdhsa_exception_fp_ieee_overflow 0
		.amdhsa_exception_fp_ieee_underflow 0
		.amdhsa_exception_fp_ieee_inexact 0
		.amdhsa_exception_int_div_zero 0
	.end_amdhsa_kernel
	.section	.text._ZN7rocprim17ROCPRIM_400000_NS6detail17trampoline_kernelINS0_14default_configENS1_22reduce_config_selectorIbEEZNS1_11reduce_implILb1ES3_N6hipcub16HIPCUB_304000_NS22TransformInputIteratorIb7NonZeroIsEPslEEPllNS8_6detail34convert_binary_result_type_wrapperINS8_3SumESD_lEEEE10hipError_tPvRmT1_T2_T3_mT4_P12ihipStream_tbEUlT_E1_NS1_11comp_targetILNS1_3genE10ELNS1_11target_archE1201ELNS1_3gpuE5ELNS1_3repE0EEENS1_30default_config_static_selectorELNS0_4arch9wavefront6targetE0EEEvSM_,"axG",@progbits,_ZN7rocprim17ROCPRIM_400000_NS6detail17trampoline_kernelINS0_14default_configENS1_22reduce_config_selectorIbEEZNS1_11reduce_implILb1ES3_N6hipcub16HIPCUB_304000_NS22TransformInputIteratorIb7NonZeroIsEPslEEPllNS8_6detail34convert_binary_result_type_wrapperINS8_3SumESD_lEEEE10hipError_tPvRmT1_T2_T3_mT4_P12ihipStream_tbEUlT_E1_NS1_11comp_targetILNS1_3genE10ELNS1_11target_archE1201ELNS1_3gpuE5ELNS1_3repE0EEENS1_30default_config_static_selectorELNS0_4arch9wavefront6targetE0EEEvSM_,comdat
.Lfunc_end113:
	.size	_ZN7rocprim17ROCPRIM_400000_NS6detail17trampoline_kernelINS0_14default_configENS1_22reduce_config_selectorIbEEZNS1_11reduce_implILb1ES3_N6hipcub16HIPCUB_304000_NS22TransformInputIteratorIb7NonZeroIsEPslEEPllNS8_6detail34convert_binary_result_type_wrapperINS8_3SumESD_lEEEE10hipError_tPvRmT1_T2_T3_mT4_P12ihipStream_tbEUlT_E1_NS1_11comp_targetILNS1_3genE10ELNS1_11target_archE1201ELNS1_3gpuE5ELNS1_3repE0EEENS1_30default_config_static_selectorELNS0_4arch9wavefront6targetE0EEEvSM_, .Lfunc_end113-_ZN7rocprim17ROCPRIM_400000_NS6detail17trampoline_kernelINS0_14default_configENS1_22reduce_config_selectorIbEEZNS1_11reduce_implILb1ES3_N6hipcub16HIPCUB_304000_NS22TransformInputIteratorIb7NonZeroIsEPslEEPllNS8_6detail34convert_binary_result_type_wrapperINS8_3SumESD_lEEEE10hipError_tPvRmT1_T2_T3_mT4_P12ihipStream_tbEUlT_E1_NS1_11comp_targetILNS1_3genE10ELNS1_11target_archE1201ELNS1_3gpuE5ELNS1_3repE0EEENS1_30default_config_static_selectorELNS0_4arch9wavefront6targetE0EEEvSM_
                                        ; -- End function
	.section	.AMDGPU.csdata,"",@progbits
; Kernel info:
; codeLenInByte = 0
; NumSgprs: 0
; NumVgprs: 0
; ScratchSize: 0
; MemoryBound: 0
; FloatMode: 240
; IeeeMode: 1
; LDSByteSize: 0 bytes/workgroup (compile time only)
; SGPRBlocks: 0
; VGPRBlocks: 0
; NumSGPRsForWavesPerEU: 1
; NumVGPRsForWavesPerEU: 1
; Occupancy: 16
; WaveLimiterHint : 0
; COMPUTE_PGM_RSRC2:SCRATCH_EN: 0
; COMPUTE_PGM_RSRC2:USER_SGPR: 15
; COMPUTE_PGM_RSRC2:TRAP_HANDLER: 0
; COMPUTE_PGM_RSRC2:TGID_X_EN: 1
; COMPUTE_PGM_RSRC2:TGID_Y_EN: 0
; COMPUTE_PGM_RSRC2:TGID_Z_EN: 0
; COMPUTE_PGM_RSRC2:TIDIG_COMP_CNT: 0
	.section	.text._ZN7rocprim17ROCPRIM_400000_NS6detail17trampoline_kernelINS0_14default_configENS1_22reduce_config_selectorIbEEZNS1_11reduce_implILb1ES3_N6hipcub16HIPCUB_304000_NS22TransformInputIteratorIb7NonZeroIsEPslEEPllNS8_6detail34convert_binary_result_type_wrapperINS8_3SumESD_lEEEE10hipError_tPvRmT1_T2_T3_mT4_P12ihipStream_tbEUlT_E1_NS1_11comp_targetILNS1_3genE10ELNS1_11target_archE1200ELNS1_3gpuE4ELNS1_3repE0EEENS1_30default_config_static_selectorELNS0_4arch9wavefront6targetE0EEEvSM_,"axG",@progbits,_ZN7rocprim17ROCPRIM_400000_NS6detail17trampoline_kernelINS0_14default_configENS1_22reduce_config_selectorIbEEZNS1_11reduce_implILb1ES3_N6hipcub16HIPCUB_304000_NS22TransformInputIteratorIb7NonZeroIsEPslEEPllNS8_6detail34convert_binary_result_type_wrapperINS8_3SumESD_lEEEE10hipError_tPvRmT1_T2_T3_mT4_P12ihipStream_tbEUlT_E1_NS1_11comp_targetILNS1_3genE10ELNS1_11target_archE1200ELNS1_3gpuE4ELNS1_3repE0EEENS1_30default_config_static_selectorELNS0_4arch9wavefront6targetE0EEEvSM_,comdat
	.protected	_ZN7rocprim17ROCPRIM_400000_NS6detail17trampoline_kernelINS0_14default_configENS1_22reduce_config_selectorIbEEZNS1_11reduce_implILb1ES3_N6hipcub16HIPCUB_304000_NS22TransformInputIteratorIb7NonZeroIsEPslEEPllNS8_6detail34convert_binary_result_type_wrapperINS8_3SumESD_lEEEE10hipError_tPvRmT1_T2_T3_mT4_P12ihipStream_tbEUlT_E1_NS1_11comp_targetILNS1_3genE10ELNS1_11target_archE1200ELNS1_3gpuE4ELNS1_3repE0EEENS1_30default_config_static_selectorELNS0_4arch9wavefront6targetE0EEEvSM_ ; -- Begin function _ZN7rocprim17ROCPRIM_400000_NS6detail17trampoline_kernelINS0_14default_configENS1_22reduce_config_selectorIbEEZNS1_11reduce_implILb1ES3_N6hipcub16HIPCUB_304000_NS22TransformInputIteratorIb7NonZeroIsEPslEEPllNS8_6detail34convert_binary_result_type_wrapperINS8_3SumESD_lEEEE10hipError_tPvRmT1_T2_T3_mT4_P12ihipStream_tbEUlT_E1_NS1_11comp_targetILNS1_3genE10ELNS1_11target_archE1200ELNS1_3gpuE4ELNS1_3repE0EEENS1_30default_config_static_selectorELNS0_4arch9wavefront6targetE0EEEvSM_
	.globl	_ZN7rocprim17ROCPRIM_400000_NS6detail17trampoline_kernelINS0_14default_configENS1_22reduce_config_selectorIbEEZNS1_11reduce_implILb1ES3_N6hipcub16HIPCUB_304000_NS22TransformInputIteratorIb7NonZeroIsEPslEEPllNS8_6detail34convert_binary_result_type_wrapperINS8_3SumESD_lEEEE10hipError_tPvRmT1_T2_T3_mT4_P12ihipStream_tbEUlT_E1_NS1_11comp_targetILNS1_3genE10ELNS1_11target_archE1200ELNS1_3gpuE4ELNS1_3repE0EEENS1_30default_config_static_selectorELNS0_4arch9wavefront6targetE0EEEvSM_
	.p2align	8
	.type	_ZN7rocprim17ROCPRIM_400000_NS6detail17trampoline_kernelINS0_14default_configENS1_22reduce_config_selectorIbEEZNS1_11reduce_implILb1ES3_N6hipcub16HIPCUB_304000_NS22TransformInputIteratorIb7NonZeroIsEPslEEPllNS8_6detail34convert_binary_result_type_wrapperINS8_3SumESD_lEEEE10hipError_tPvRmT1_T2_T3_mT4_P12ihipStream_tbEUlT_E1_NS1_11comp_targetILNS1_3genE10ELNS1_11target_archE1200ELNS1_3gpuE4ELNS1_3repE0EEENS1_30default_config_static_selectorELNS0_4arch9wavefront6targetE0EEEvSM_,@function
_ZN7rocprim17ROCPRIM_400000_NS6detail17trampoline_kernelINS0_14default_configENS1_22reduce_config_selectorIbEEZNS1_11reduce_implILb1ES3_N6hipcub16HIPCUB_304000_NS22TransformInputIteratorIb7NonZeroIsEPslEEPllNS8_6detail34convert_binary_result_type_wrapperINS8_3SumESD_lEEEE10hipError_tPvRmT1_T2_T3_mT4_P12ihipStream_tbEUlT_E1_NS1_11comp_targetILNS1_3genE10ELNS1_11target_archE1200ELNS1_3gpuE4ELNS1_3repE0EEENS1_30default_config_static_selectorELNS0_4arch9wavefront6targetE0EEEvSM_: ; @_ZN7rocprim17ROCPRIM_400000_NS6detail17trampoline_kernelINS0_14default_configENS1_22reduce_config_selectorIbEEZNS1_11reduce_implILb1ES3_N6hipcub16HIPCUB_304000_NS22TransformInputIteratorIb7NonZeroIsEPslEEPllNS8_6detail34convert_binary_result_type_wrapperINS8_3SumESD_lEEEE10hipError_tPvRmT1_T2_T3_mT4_P12ihipStream_tbEUlT_E1_NS1_11comp_targetILNS1_3genE10ELNS1_11target_archE1200ELNS1_3gpuE4ELNS1_3repE0EEENS1_30default_config_static_selectorELNS0_4arch9wavefront6targetE0EEEvSM_
; %bb.0:
	.section	.rodata,"a",@progbits
	.p2align	6, 0x0
	.amdhsa_kernel _ZN7rocprim17ROCPRIM_400000_NS6detail17trampoline_kernelINS0_14default_configENS1_22reduce_config_selectorIbEEZNS1_11reduce_implILb1ES3_N6hipcub16HIPCUB_304000_NS22TransformInputIteratorIb7NonZeroIsEPslEEPllNS8_6detail34convert_binary_result_type_wrapperINS8_3SumESD_lEEEE10hipError_tPvRmT1_T2_T3_mT4_P12ihipStream_tbEUlT_E1_NS1_11comp_targetILNS1_3genE10ELNS1_11target_archE1200ELNS1_3gpuE4ELNS1_3repE0EEENS1_30default_config_static_selectorELNS0_4arch9wavefront6targetE0EEEvSM_
		.amdhsa_group_segment_fixed_size 0
		.amdhsa_private_segment_fixed_size 0
		.amdhsa_kernarg_size 56
		.amdhsa_user_sgpr_count 15
		.amdhsa_user_sgpr_dispatch_ptr 0
		.amdhsa_user_sgpr_queue_ptr 0
		.amdhsa_user_sgpr_kernarg_segment_ptr 1
		.amdhsa_user_sgpr_dispatch_id 0
		.amdhsa_user_sgpr_private_segment_size 0
		.amdhsa_wavefront_size32 1
		.amdhsa_uses_dynamic_stack 0
		.amdhsa_enable_private_segment 0
		.amdhsa_system_sgpr_workgroup_id_x 1
		.amdhsa_system_sgpr_workgroup_id_y 0
		.amdhsa_system_sgpr_workgroup_id_z 0
		.amdhsa_system_sgpr_workgroup_info 0
		.amdhsa_system_vgpr_workitem_id 0
		.amdhsa_next_free_vgpr 1
		.amdhsa_next_free_sgpr 1
		.amdhsa_reserve_vcc 0
		.amdhsa_float_round_mode_32 0
		.amdhsa_float_round_mode_16_64 0
		.amdhsa_float_denorm_mode_32 3
		.amdhsa_float_denorm_mode_16_64 3
		.amdhsa_dx10_clamp 1
		.amdhsa_ieee_mode 1
		.amdhsa_fp16_overflow 0
		.amdhsa_workgroup_processor_mode 1
		.amdhsa_memory_ordered 1
		.amdhsa_forward_progress 0
		.amdhsa_shared_vgpr_count 0
		.amdhsa_exception_fp_ieee_invalid_op 0
		.amdhsa_exception_fp_denorm_src 0
		.amdhsa_exception_fp_ieee_div_zero 0
		.amdhsa_exception_fp_ieee_overflow 0
		.amdhsa_exception_fp_ieee_underflow 0
		.amdhsa_exception_fp_ieee_inexact 0
		.amdhsa_exception_int_div_zero 0
	.end_amdhsa_kernel
	.section	.text._ZN7rocprim17ROCPRIM_400000_NS6detail17trampoline_kernelINS0_14default_configENS1_22reduce_config_selectorIbEEZNS1_11reduce_implILb1ES3_N6hipcub16HIPCUB_304000_NS22TransformInputIteratorIb7NonZeroIsEPslEEPllNS8_6detail34convert_binary_result_type_wrapperINS8_3SumESD_lEEEE10hipError_tPvRmT1_T2_T3_mT4_P12ihipStream_tbEUlT_E1_NS1_11comp_targetILNS1_3genE10ELNS1_11target_archE1200ELNS1_3gpuE4ELNS1_3repE0EEENS1_30default_config_static_selectorELNS0_4arch9wavefront6targetE0EEEvSM_,"axG",@progbits,_ZN7rocprim17ROCPRIM_400000_NS6detail17trampoline_kernelINS0_14default_configENS1_22reduce_config_selectorIbEEZNS1_11reduce_implILb1ES3_N6hipcub16HIPCUB_304000_NS22TransformInputIteratorIb7NonZeroIsEPslEEPllNS8_6detail34convert_binary_result_type_wrapperINS8_3SumESD_lEEEE10hipError_tPvRmT1_T2_T3_mT4_P12ihipStream_tbEUlT_E1_NS1_11comp_targetILNS1_3genE10ELNS1_11target_archE1200ELNS1_3gpuE4ELNS1_3repE0EEENS1_30default_config_static_selectorELNS0_4arch9wavefront6targetE0EEEvSM_,comdat
.Lfunc_end114:
	.size	_ZN7rocprim17ROCPRIM_400000_NS6detail17trampoline_kernelINS0_14default_configENS1_22reduce_config_selectorIbEEZNS1_11reduce_implILb1ES3_N6hipcub16HIPCUB_304000_NS22TransformInputIteratorIb7NonZeroIsEPslEEPllNS8_6detail34convert_binary_result_type_wrapperINS8_3SumESD_lEEEE10hipError_tPvRmT1_T2_T3_mT4_P12ihipStream_tbEUlT_E1_NS1_11comp_targetILNS1_3genE10ELNS1_11target_archE1200ELNS1_3gpuE4ELNS1_3repE0EEENS1_30default_config_static_selectorELNS0_4arch9wavefront6targetE0EEEvSM_, .Lfunc_end114-_ZN7rocprim17ROCPRIM_400000_NS6detail17trampoline_kernelINS0_14default_configENS1_22reduce_config_selectorIbEEZNS1_11reduce_implILb1ES3_N6hipcub16HIPCUB_304000_NS22TransformInputIteratorIb7NonZeroIsEPslEEPllNS8_6detail34convert_binary_result_type_wrapperINS8_3SumESD_lEEEE10hipError_tPvRmT1_T2_T3_mT4_P12ihipStream_tbEUlT_E1_NS1_11comp_targetILNS1_3genE10ELNS1_11target_archE1200ELNS1_3gpuE4ELNS1_3repE0EEENS1_30default_config_static_selectorELNS0_4arch9wavefront6targetE0EEEvSM_
                                        ; -- End function
	.section	.AMDGPU.csdata,"",@progbits
; Kernel info:
; codeLenInByte = 0
; NumSgprs: 0
; NumVgprs: 0
; ScratchSize: 0
; MemoryBound: 0
; FloatMode: 240
; IeeeMode: 1
; LDSByteSize: 0 bytes/workgroup (compile time only)
; SGPRBlocks: 0
; VGPRBlocks: 0
; NumSGPRsForWavesPerEU: 1
; NumVGPRsForWavesPerEU: 1
; Occupancy: 16
; WaveLimiterHint : 0
; COMPUTE_PGM_RSRC2:SCRATCH_EN: 0
; COMPUTE_PGM_RSRC2:USER_SGPR: 15
; COMPUTE_PGM_RSRC2:TRAP_HANDLER: 0
; COMPUTE_PGM_RSRC2:TGID_X_EN: 1
; COMPUTE_PGM_RSRC2:TGID_Y_EN: 0
; COMPUTE_PGM_RSRC2:TGID_Z_EN: 0
; COMPUTE_PGM_RSRC2:TIDIG_COMP_CNT: 0
	.section	.text._ZN7rocprim17ROCPRIM_400000_NS6detail17trampoline_kernelINS0_14default_configENS1_22reduce_config_selectorIbEEZNS1_11reduce_implILb1ES3_N6hipcub16HIPCUB_304000_NS22TransformInputIteratorIb7NonZeroIsEPslEEPllNS8_6detail34convert_binary_result_type_wrapperINS8_3SumESD_lEEEE10hipError_tPvRmT1_T2_T3_mT4_P12ihipStream_tbEUlT_E1_NS1_11comp_targetILNS1_3genE9ELNS1_11target_archE1100ELNS1_3gpuE3ELNS1_3repE0EEENS1_30default_config_static_selectorELNS0_4arch9wavefront6targetE0EEEvSM_,"axG",@progbits,_ZN7rocprim17ROCPRIM_400000_NS6detail17trampoline_kernelINS0_14default_configENS1_22reduce_config_selectorIbEEZNS1_11reduce_implILb1ES3_N6hipcub16HIPCUB_304000_NS22TransformInputIteratorIb7NonZeroIsEPslEEPllNS8_6detail34convert_binary_result_type_wrapperINS8_3SumESD_lEEEE10hipError_tPvRmT1_T2_T3_mT4_P12ihipStream_tbEUlT_E1_NS1_11comp_targetILNS1_3genE9ELNS1_11target_archE1100ELNS1_3gpuE3ELNS1_3repE0EEENS1_30default_config_static_selectorELNS0_4arch9wavefront6targetE0EEEvSM_,comdat
	.protected	_ZN7rocprim17ROCPRIM_400000_NS6detail17trampoline_kernelINS0_14default_configENS1_22reduce_config_selectorIbEEZNS1_11reduce_implILb1ES3_N6hipcub16HIPCUB_304000_NS22TransformInputIteratorIb7NonZeroIsEPslEEPllNS8_6detail34convert_binary_result_type_wrapperINS8_3SumESD_lEEEE10hipError_tPvRmT1_T2_T3_mT4_P12ihipStream_tbEUlT_E1_NS1_11comp_targetILNS1_3genE9ELNS1_11target_archE1100ELNS1_3gpuE3ELNS1_3repE0EEENS1_30default_config_static_selectorELNS0_4arch9wavefront6targetE0EEEvSM_ ; -- Begin function _ZN7rocprim17ROCPRIM_400000_NS6detail17trampoline_kernelINS0_14default_configENS1_22reduce_config_selectorIbEEZNS1_11reduce_implILb1ES3_N6hipcub16HIPCUB_304000_NS22TransformInputIteratorIb7NonZeroIsEPslEEPllNS8_6detail34convert_binary_result_type_wrapperINS8_3SumESD_lEEEE10hipError_tPvRmT1_T2_T3_mT4_P12ihipStream_tbEUlT_E1_NS1_11comp_targetILNS1_3genE9ELNS1_11target_archE1100ELNS1_3gpuE3ELNS1_3repE0EEENS1_30default_config_static_selectorELNS0_4arch9wavefront6targetE0EEEvSM_
	.globl	_ZN7rocprim17ROCPRIM_400000_NS6detail17trampoline_kernelINS0_14default_configENS1_22reduce_config_selectorIbEEZNS1_11reduce_implILb1ES3_N6hipcub16HIPCUB_304000_NS22TransformInputIteratorIb7NonZeroIsEPslEEPllNS8_6detail34convert_binary_result_type_wrapperINS8_3SumESD_lEEEE10hipError_tPvRmT1_T2_T3_mT4_P12ihipStream_tbEUlT_E1_NS1_11comp_targetILNS1_3genE9ELNS1_11target_archE1100ELNS1_3gpuE3ELNS1_3repE0EEENS1_30default_config_static_selectorELNS0_4arch9wavefront6targetE0EEEvSM_
	.p2align	8
	.type	_ZN7rocprim17ROCPRIM_400000_NS6detail17trampoline_kernelINS0_14default_configENS1_22reduce_config_selectorIbEEZNS1_11reduce_implILb1ES3_N6hipcub16HIPCUB_304000_NS22TransformInputIteratorIb7NonZeroIsEPslEEPllNS8_6detail34convert_binary_result_type_wrapperINS8_3SumESD_lEEEE10hipError_tPvRmT1_T2_T3_mT4_P12ihipStream_tbEUlT_E1_NS1_11comp_targetILNS1_3genE9ELNS1_11target_archE1100ELNS1_3gpuE3ELNS1_3repE0EEENS1_30default_config_static_selectorELNS0_4arch9wavefront6targetE0EEEvSM_,@function
_ZN7rocprim17ROCPRIM_400000_NS6detail17trampoline_kernelINS0_14default_configENS1_22reduce_config_selectorIbEEZNS1_11reduce_implILb1ES3_N6hipcub16HIPCUB_304000_NS22TransformInputIteratorIb7NonZeroIsEPslEEPllNS8_6detail34convert_binary_result_type_wrapperINS8_3SumESD_lEEEE10hipError_tPvRmT1_T2_T3_mT4_P12ihipStream_tbEUlT_E1_NS1_11comp_targetILNS1_3genE9ELNS1_11target_archE1100ELNS1_3gpuE3ELNS1_3repE0EEENS1_30default_config_static_selectorELNS0_4arch9wavefront6targetE0EEEvSM_: ; @_ZN7rocprim17ROCPRIM_400000_NS6detail17trampoline_kernelINS0_14default_configENS1_22reduce_config_selectorIbEEZNS1_11reduce_implILb1ES3_N6hipcub16HIPCUB_304000_NS22TransformInputIteratorIb7NonZeroIsEPslEEPllNS8_6detail34convert_binary_result_type_wrapperINS8_3SumESD_lEEEE10hipError_tPvRmT1_T2_T3_mT4_P12ihipStream_tbEUlT_E1_NS1_11comp_targetILNS1_3genE9ELNS1_11target_archE1100ELNS1_3gpuE3ELNS1_3repE0EEENS1_30default_config_static_selectorELNS0_4arch9wavefront6targetE0EEEvSM_
; %bb.0:
	s_clause 0x2
	s_load_b32 s26, s[0:1], 0x4
	s_load_b64 s[24:25], s[0:1], 0x8
	s_load_b128 s[20:23], s[0:1], 0x18
	s_mov_b32 s18, s15
	s_waitcnt lgkmcnt(0)
	s_cmp_lt_i32 s26, 16
	s_cbranch_scc1 .LBB115_11
; %bb.1:
	s_cmp_gt_i32 s26, 63
	s_cbranch_scc0 .LBB115_12
; %bb.2:
	s_cmpk_gt_i32 s26, 0x7f
	s_cbranch_scc0 .LBB115_13
; %bb.3:
	s_mov_b32 s3, 0
	s_cmpk_eq_i32 s26, 0x80
	s_mov_b32 s2, 0
                                        ; implicit-def: $vgpr1_vgpr2
	s_cbranch_scc0 .LBB115_14
; %bb.4:
	s_mov_b32 s19, 0
	s_lshl_b32 s6, s18, 14
	s_mov_b32 s7, s19
	s_lshr_b64 s[8:9], s[20:21], 14
	s_lshl_b64 s[4:5], s[6:7], 1
	s_delay_alu instid0(SALU_CYCLE_1)
	s_add_u32 s4, s24, s4
	s_addc_u32 s5, s25, s5
	s_cmp_lg_u64 s[8:9], s[18:19]
	s_cbranch_scc0 .LBB115_22
; %bb.5:
	v_lshlrev_b32_e32 v1, 1, v0
	s_clause 0xd
	global_load_u16 v33, v1, s[4:5]
	global_load_u16 v34, v1, s[4:5] offset:256
	global_load_u16 v35, v1, s[4:5] offset:512
	;; [unrolled: 1-line block ×13, first 2 shown]
	v_add_co_u32 v31, s2, s4, v1
	s_delay_alu instid0(VALU_DEP_1)
	v_add_co_ci_u32_e64 v32, null, s5, 0, s2
	global_load_u16 v13, v1, s[4:5] offset:3584
	v_add_co_u32 v6, vcc_lo, v31, 0x2000
	v_add_co_ci_u32_e32 v7, vcc_lo, 0, v32, vcc_lo
	v_add_co_u32 v17, vcc_lo, 0x1000, v31
	s_clause 0x1
	global_load_u16 v44, v1, s[4:5] offset:3840
	global_load_u16 v45, v[6:7], off offset:-4096
	v_add_co_ci_u32_e32 v18, vcc_lo, 0, v32, vcc_lo
	s_clause 0xf
	global_load_u16 v46, v[17:18], off offset:256
	global_load_u16 v47, v[17:18], off offset:512
	;; [unrolled: 1-line block ×15, first 2 shown]
	global_load_u16 v6, v[6:7], off
	v_add_co_u32 v17, vcc_lo, 0x2000, v31
	v_add_co_ci_u32_e32 v18, vcc_lo, 0, v32, vcc_lo
	s_clause 0x7
	global_load_u16 v9, v[17:18], off offset:256
	global_load_u16 v7, v[17:18], off offset:512
	;; [unrolled: 1-line block ×8, first 2 shown]
	v_add_co_u32 v19, vcc_lo, 0x3000, v31
	v_add_co_ci_u32_e32 v20, vcc_lo, 0, v32, vcc_lo
	v_add_co_u32 v21, vcc_lo, v31, 0x4000
	v_add_co_ci_u32_e32 v22, vcc_lo, 0, v32, vcc_lo
	v_add_co_u32 v23, vcc_lo, 0x4000, v31
	v_add_co_ci_u32_e32 v24, vcc_lo, 0, v32, vcc_lo
	v_add_co_u32 v25, vcc_lo, 0x5000, v31
	v_add_co_ci_u32_e32 v26, vcc_lo, 0, v32, vcc_lo
	v_add_co_u32 v27, vcc_lo, v31, 0x6000
	v_add_co_ci_u32_e32 v28, vcc_lo, 0, v32, vcc_lo
	v_add_co_u32 v29, vcc_lo, 0x6000, v31
	v_add_co_ci_u32_e32 v30, vcc_lo, 0, v32, vcc_lo
	v_add_co_u32 v31, vcc_lo, 0x7000, v31
	v_add_co_ci_u32_e32 v32, vcc_lo, 0, v32, vcc_lo
	s_clause 0x1f
	global_load_u16 v58, v[17:18], off offset:2304
	global_load_u16 v59, v[21:22], off offset:-4096
	global_load_u16 v60, v[17:18], off offset:2560
	global_load_u16 v61, v[17:18], off offset:2816
	;; [unrolled: 1-line block ×30, first 2 shown]
	s_clause 0x1f
	global_load_u16 v86, v[23:24], off offset:2560
	global_load_u16 v87, v[23:24], off offset:2816
	;; [unrolled: 1-line block ×18, first 2 shown]
	global_load_u16 v21, v[21:22], off
	global_load_u16 v22, v[27:28], off offset:-4096
	global_load_u16 v27, v[27:28], off
	global_load_u16 v28, v[25:26], off offset:3328
	global_load_u16 v102, v[25:26], off offset:3584
	global_load_u16 v25, v[25:26], off offset:3840
	global_load_u16 v26, v[29:30], off offset:256
	global_load_u16 v103, v[29:30], off offset:512
	global_load_u16 v104, v[29:30], off offset:768
	global_load_u16 v105, v[29:30], off offset:1024
	global_load_u16 v106, v[29:30], off offset:1280
	global_load_u16 v107, v[29:30], off offset:1536
	global_load_u16 v108, v[29:30], off offset:1792
	global_load_u16 v109, v[29:30], off offset:2048
	s_clause 0x16
	global_load_u16 v110, v[29:30], off offset:2304
	global_load_u16 v111, v[29:30], off offset:2560
	;; [unrolled: 1-line block ×7, first 2 shown]
	global_load_u16 v30, v[31:32], off
	global_load_u16 v116, v[31:32], off offset:256
	global_load_u16 v117, v[31:32], off offset:512
	;; [unrolled: 1-line block ×15, first 2 shown]
	s_waitcnt vmcnt(62)
	v_cmp_ne_u16_e32 vcc_lo, 0, v33
	v_cndmask_b32_e64 v33, 0, 1, vcc_lo
	v_cmp_ne_u16_e32 vcc_lo, 0, v34
	v_cndmask_b32_e64 v34, 0, 1, vcc_lo
	v_cmp_ne_u16_e32 vcc_lo, 0, v35
	s_delay_alu instid0(VALU_DEP_2)
	v_add_co_u32 v33, s2, v34, v33
	v_cndmask_b32_e64 v32, 0, 1, vcc_lo
	v_cmp_ne_u16_e32 vcc_lo, 0, v36
	v_add_co_ci_u32_e64 v35, null, 0, 0, s2
	v_cmp_ne_u16_e64 s2, 0, v37
	v_cndmask_b32_e64 v34, 0, 1, vcc_lo
	v_add_co_u32 v32, vcc_lo, v33, v32
	s_delay_alu instid0(VALU_DEP_4) | instskip(NEXT) | instid1(VALU_DEP_4)
	v_add_co_ci_u32_e32 v35, vcc_lo, 0, v35, vcc_lo
	v_cndmask_b32_e64 v33, 0, 1, s2
	s_delay_alu instid0(VALU_DEP_3) | instskip(SKIP_1) | instid1(VALU_DEP_4)
	v_add_co_u32 v32, vcc_lo, v32, v34
	v_cmp_ne_u16_e64 s2, 0, v38
	v_add_co_ci_u32_e32 v35, vcc_lo, 0, v35, vcc_lo
	s_delay_alu instid0(VALU_DEP_3) | instskip(NEXT) | instid1(VALU_DEP_3)
	v_add_co_u32 v32, vcc_lo, v32, v33
	v_cndmask_b32_e64 v34, 0, 1, s2
	v_cmp_ne_u16_e64 s2, 0, v39
	s_delay_alu instid0(VALU_DEP_4) | instskip(NEXT) | instid1(VALU_DEP_3)
	v_add_co_ci_u32_e32 v35, vcc_lo, 0, v35, vcc_lo
	v_add_co_u32 v32, vcc_lo, v32, v34
	s_delay_alu instid0(VALU_DEP_3) | instskip(SKIP_1) | instid1(VALU_DEP_4)
	v_cndmask_b32_e64 v33, 0, 1, s2
	v_cmp_ne_u16_e64 s2, 0, v40
	v_add_co_ci_u32_e32 v35, vcc_lo, 0, v35, vcc_lo
	s_delay_alu instid0(VALU_DEP_3) | instskip(NEXT) | instid1(VALU_DEP_3)
	v_add_co_u32 v32, vcc_lo, v32, v33
	v_cndmask_b32_e64 v34, 0, 1, s2
	v_cmp_ne_u16_e64 s2, 0, v41
	s_delay_alu instid0(VALU_DEP_4) | instskip(NEXT) | instid1(VALU_DEP_3)
	v_add_co_ci_u32_e32 v35, vcc_lo, 0, v35, vcc_lo
	v_add_co_u32 v32, vcc_lo, v32, v34
	s_delay_alu instid0(VALU_DEP_3) | instskip(SKIP_1) | instid1(VALU_DEP_4)
	v_cndmask_b32_e64 v33, 0, 1, s2
	;; [unrolled: 11-line block ×29, first 2 shown]
	v_cmp_ne_u16_e64 s2, 0, v19
	v_add_co_ci_u32_e32 v4, vcc_lo, 0, v4, vcc_lo
	s_delay_alu instid0(VALU_DEP_3) | instskip(NEXT) | instid1(VALU_DEP_3)
	v_add_co_u32 v1, vcc_lo, v1, v3
	v_cndmask_b32_e64 v2, 0, 1, s2
	s_waitcnt vmcnt(36)
	v_cmp_ne_u16_e64 s2, 0, v21
	v_add_co_ci_u32_e32 v4, vcc_lo, 0, v4, vcc_lo
	s_delay_alu instid0(VALU_DEP_3) | instskip(NEXT) | instid1(VALU_DEP_3)
	v_add_co_u32 v1, vcc_lo, v1, v2
	v_cndmask_b32_e64 v3, 0, 1, s2
	v_cmp_ne_u16_e64 s2, 0, v20
	s_delay_alu instid0(VALU_DEP_4) | instskip(NEXT) | instid1(VALU_DEP_3)
	v_add_co_ci_u32_e32 v4, vcc_lo, 0, v4, vcc_lo
	v_add_co_u32 v1, vcc_lo, v1, v3
	s_delay_alu instid0(VALU_DEP_3) | instskip(SKIP_1) | instid1(VALU_DEP_4)
	v_cndmask_b32_e64 v2, 0, 1, s2
	v_cmp_ne_u16_e64 s2, 0, v78
	v_add_co_ci_u32_e32 v4, vcc_lo, 0, v4, vcc_lo
	s_delay_alu instid0(VALU_DEP_3) | instskip(NEXT) | instid1(VALU_DEP_3)
	v_add_co_u32 v1, vcc_lo, v1, v2
	v_cndmask_b32_e64 v3, 0, 1, s2
	v_cmp_ne_u16_e64 s2, 0, v79
	s_delay_alu instid0(VALU_DEP_4) | instskip(NEXT) | instid1(VALU_DEP_3)
	v_add_co_ci_u32_e32 v4, vcc_lo, 0, v4, vcc_lo
	v_add_co_u32 v1, vcc_lo, v1, v3
	s_delay_alu instid0(VALU_DEP_3) | instskip(SKIP_1) | instid1(VALU_DEP_4)
	v_cndmask_b32_e64 v2, 0, 1, s2
	;; [unrolled: 11-line block ×7, first 2 shown]
	v_cmp_ne_u16_e64 s2, 0, v90
	v_add_co_ci_u32_e32 v4, vcc_lo, 0, v4, vcc_lo
	s_delay_alu instid0(VALU_DEP_3) | instskip(NEXT) | instid1(VALU_DEP_3)
	v_add_co_u32 v1, vcc_lo, v1, v2
	v_cndmask_b32_e64 v3, 0, 1, s2
	v_cmp_ne_u16_e64 s2, 0, v23
	s_delay_alu instid0(VALU_DEP_4) | instskip(NEXT) | instid1(VALU_DEP_3)
	v_add_co_ci_u32_e32 v4, vcc_lo, 0, v4, vcc_lo
	v_add_co_u32 v1, vcc_lo, v1, v3
	s_delay_alu instid0(VALU_DEP_3) | instskip(SKIP_3) | instid1(VALU_DEP_3)
	v_cndmask_b32_e64 v2, 0, 1, s2
	s_waitcnt vmcnt(35)
	v_cmp_ne_u16_e64 s2, 0, v22
	v_add_co_ci_u32_e32 v4, vcc_lo, 0, v4, vcc_lo
	v_add_co_u32 v1, vcc_lo, v1, v2
	s_delay_alu instid0(VALU_DEP_3) | instskip(SKIP_1) | instid1(VALU_DEP_4)
	v_cndmask_b32_e64 v3, 0, 1, s2
	v_cmp_ne_u16_e64 s2, 0, v24
	v_add_co_ci_u32_e32 v4, vcc_lo, 0, v4, vcc_lo
	s_delay_alu instid0(VALU_DEP_3) | instskip(NEXT) | instid1(VALU_DEP_3)
	v_add_co_u32 v1, vcc_lo, v1, v3
	v_cndmask_b32_e64 v2, 0, 1, s2
	v_cmp_ne_u16_e64 s2, 0, v91
	s_delay_alu instid0(VALU_DEP_4) | instskip(NEXT) | instid1(VALU_DEP_3)
	v_add_co_ci_u32_e32 v4, vcc_lo, 0, v4, vcc_lo
	v_add_co_u32 v1, vcc_lo, v1, v2
	s_delay_alu instid0(VALU_DEP_3) | instskip(SKIP_1) | instid1(VALU_DEP_4)
	v_cndmask_b32_e64 v3, 0, 1, s2
	v_cmp_ne_u16_e64 s2, 0, v92
	v_add_co_ci_u32_e32 v4, vcc_lo, 0, v4, vcc_lo
	s_delay_alu instid0(VALU_DEP_3) | instskip(NEXT) | instid1(VALU_DEP_3)
	v_add_co_u32 v1, vcc_lo, v1, v3
	v_cndmask_b32_e64 v2, 0, 1, s2
	v_cmp_ne_u16_e64 s2, 0, v93
	s_delay_alu instid0(VALU_DEP_4) | instskip(NEXT) | instid1(VALU_DEP_3)
	;; [unrolled: 11-line block ×6, first 2 shown]
	v_add_co_ci_u32_e32 v4, vcc_lo, 0, v4, vcc_lo
	v_add_co_u32 v1, vcc_lo, v1, v2
	s_delay_alu instid0(VALU_DEP_3) | instskip(SKIP_3) | instid1(VALU_DEP_3)
	v_cndmask_b32_e64 v3, 0, 1, s2
	s_waitcnt vmcnt(33)
	v_cmp_ne_u16_e64 s2, 0, v28
	v_add_co_ci_u32_e32 v4, vcc_lo, 0, v4, vcc_lo
	v_add_co_u32 v1, vcc_lo, v1, v3
	s_delay_alu instid0(VALU_DEP_3) | instskip(SKIP_3) | instid1(VALU_DEP_3)
	v_cndmask_b32_e64 v2, 0, 1, s2
	s_waitcnt vmcnt(32)
	v_cmp_ne_u16_e64 s2, 0, v102
	;; [unrolled: 6-line block ×3, first 2 shown]
	v_add_co_ci_u32_e32 v4, vcc_lo, 0, v4, vcc_lo
	v_add_co_u32 v1, vcc_lo, v1, v3
	s_delay_alu instid0(VALU_DEP_3) | instskip(SKIP_1) | instid1(VALU_DEP_4)
	v_cndmask_b32_e64 v2, 0, 1, s2
	v_cmp_ne_u16_e64 s2, 0, v27
	v_add_co_ci_u32_e32 v4, vcc_lo, 0, v4, vcc_lo
	s_delay_alu instid0(VALU_DEP_3) | instskip(NEXT) | instid1(VALU_DEP_3)
	v_add_co_u32 v1, vcc_lo, v1, v2
	v_cndmask_b32_e64 v3, 0, 1, s2
	s_waitcnt vmcnt(30)
	v_cmp_ne_u16_e64 s2, 0, v26
	v_add_co_ci_u32_e32 v4, vcc_lo, 0, v4, vcc_lo
	s_delay_alu instid0(VALU_DEP_3) | instskip(NEXT) | instid1(VALU_DEP_3)
	v_add_co_u32 v1, vcc_lo, v1, v3
	v_cndmask_b32_e64 v2, 0, 1, s2
	s_waitcnt vmcnt(29)
	;; [unrolled: 6-line block ×31, first 2 shown]
	v_cmp_ne_u16_e64 s2, 0, v31
	v_add_co_ci_u32_e32 v4, vcc_lo, 0, v4, vcc_lo
	s_delay_alu instid0(VALU_DEP_3) | instskip(NEXT) | instid1(VALU_DEP_3)
	v_add_co_u32 v1, vcc_lo, v1, v3
	v_cndmask_b32_e64 v2, 0, 1, s2
	s_delay_alu instid0(VALU_DEP_3) | instskip(SKIP_2) | instid1(VALU_DEP_3)
	v_add_co_ci_u32_e32 v3, vcc_lo, 0, v4, vcc_lo
	v_mov_b32_e32 v4, 0
	s_mov_b32 s2, exec_lo
	v_add_co_u32 v1, vcc_lo, v1, v2
	s_delay_alu instid0(VALU_DEP_3) | instskip(NEXT) | instid1(VALU_DEP_2)
	v_add_co_ci_u32_e32 v2, vcc_lo, 0, v3, vcc_lo
	v_mov_b32_dpp v3, v1 quad_perm:[1,0,3,2] row_mask:0xf bank_mask:0xf
	s_delay_alu instid0(VALU_DEP_1) | instskip(SKIP_1) | instid1(VALU_DEP_4)
	v_add_co_u32 v1, vcc_lo, v1, v3
	v_mov_b32_dpp v3, v4 quad_perm:[1,0,3,2] row_mask:0xf bank_mask:0xf
	v_add_co_ci_u32_e32 v2, vcc_lo, 0, v2, vcc_lo
	s_delay_alu instid0(VALU_DEP_3) | instskip(SKIP_1) | instid1(VALU_DEP_3)
	v_mov_b32_dpp v5, v1 quad_perm:[2,3,0,1] row_mask:0xf bank_mask:0xf
	v_add_co_u32 v1, vcc_lo, 0, v1
	v_add_co_ci_u32_e32 v2, vcc_lo, v3, v2, vcc_lo
	s_delay_alu instid0(VALU_DEP_2) | instskip(NEXT) | instid1(VALU_DEP_2)
	v_add_co_u32 v1, vcc_lo, v1, v5
	v_mov_b32_dpp v3, v2 quad_perm:[2,3,0,1] row_mask:0xf bank_mask:0xf
	v_add_co_ci_u32_e32 v2, vcc_lo, 0, v2, vcc_lo
	s_delay_alu instid0(VALU_DEP_3) | instskip(SKIP_1) | instid1(VALU_DEP_3)
	v_mov_b32_dpp v5, v1 row_ror:4 row_mask:0xf bank_mask:0xf
	v_add_co_u32 v1, vcc_lo, v1, 0
	v_add_co_ci_u32_e32 v2, vcc_lo, v2, v3, vcc_lo
	s_delay_alu instid0(VALU_DEP_2) | instskip(NEXT) | instid1(VALU_DEP_2)
	v_add_co_u32 v1, vcc_lo, v1, v5
	v_mov_b32_dpp v3, v2 row_ror:4 row_mask:0xf bank_mask:0xf
	v_add_co_ci_u32_e32 v2, vcc_lo, 0, v2, vcc_lo
	s_delay_alu instid0(VALU_DEP_3) | instskip(SKIP_1) | instid1(VALU_DEP_3)
	v_mov_b32_dpp v5, v1 row_ror:8 row_mask:0xf bank_mask:0xf
	v_add_co_u32 v1, vcc_lo, v1, 0
	v_add_co_ci_u32_e32 v2, vcc_lo, v2, v3, vcc_lo
	s_delay_alu instid0(VALU_DEP_2) | instskip(NEXT) | instid1(VALU_DEP_2)
	v_add_co_u32 v1, vcc_lo, v1, v5
	v_mov_b32_dpp v3, v2 row_ror:8 row_mask:0xf bank_mask:0xf
	v_add_co_ci_u32_e32 v2, vcc_lo, 0, v2, vcc_lo
	ds_swizzle_b32 v5, v1 offset:swizzle(BROADCAST,32,15)
	v_add_co_u32 v1, vcc_lo, v1, 0
	v_add_co_ci_u32_e32 v2, vcc_lo, v2, v3, vcc_lo
	ds_swizzle_b32 v3, v2 offset:swizzle(BROADCAST,32,15)
	s_waitcnt lgkmcnt(1)
	v_add_co_u32 v1, vcc_lo, v1, v5
	v_add_co_ci_u32_e32 v2, vcc_lo, 0, v2, vcc_lo
	ds_bpermute_b32 v1, v4, v1 offset:124
	s_waitcnt lgkmcnt(1)
	v_add_nc_u32_e32 v2, v3, v2
	v_mbcnt_lo_u32_b32 v3, -1, 0
	ds_bpermute_b32 v2, v4, v2 offset:124
	v_cmpx_eq_u32_e32 0, v3
	s_cbranch_execz .LBB115_7
; %bb.6:
	v_lshrrev_b32_e32 v4, 2, v0
	s_delay_alu instid0(VALU_DEP_1)
	v_and_b32_e32 v4, 24, v4
	s_waitcnt lgkmcnt(0)
	ds_store_b64 v4, v[1:2]
.LBB115_7:
	s_or_b32 exec_lo, exec_lo, s2
	s_delay_alu instid0(SALU_CYCLE_1)
	s_mov_b32 s2, exec_lo
	s_waitcnt lgkmcnt(0)
	s_barrier
	buffer_gl0_inv
	v_cmpx_gt_u32_e32 32, v0
	s_cbranch_execz .LBB115_9
; %bb.8:
	v_and_b32_e32 v4, 3, v3
	s_delay_alu instid0(VALU_DEP_1) | instskip(SKIP_4) | instid1(VALU_DEP_2)
	v_lshlrev_b32_e32 v1, 3, v4
	v_cmp_ne_u32_e32 vcc_lo, 3, v4
	ds_load_b64 v[1:2], v1
	v_add_co_ci_u32_e32 v5, vcc_lo, 0, v3, vcc_lo
	v_cmp_gt_u32_e32 vcc_lo, 2, v4
	v_lshlrev_b32_e32 v5, 2, v5
	v_cndmask_b32_e64 v4, 0, 1, vcc_lo
	s_delay_alu instid0(VALU_DEP_1) | instskip(NEXT) | instid1(VALU_DEP_1)
	v_lshlrev_b32_e32 v4, 1, v4
	v_add_lshl_u32 v3, v4, v3, 2
	s_waitcnt lgkmcnt(0)
	ds_bpermute_b32 v6, v5, v1
	ds_bpermute_b32 v5, v5, v2
	s_waitcnt lgkmcnt(1)
	v_add_co_u32 v1, vcc_lo, v1, v6
	v_add_co_ci_u32_e32 v2, vcc_lo, 0, v2, vcc_lo
	ds_bpermute_b32 v4, v3, v1
	v_add_co_u32 v1, vcc_lo, 0, v1
	s_waitcnt lgkmcnt(1)
	v_add_co_ci_u32_e32 v2, vcc_lo, v5, v2, vcc_lo
	ds_bpermute_b32 v3, v3, v2
	s_waitcnt lgkmcnt(1)
	v_add_co_u32 v1, vcc_lo, v1, v4
	v_add_co_ci_u32_e32 v2, vcc_lo, 0, v2, vcc_lo
	s_delay_alu instid0(VALU_DEP_2) | instskip(SKIP_1) | instid1(VALU_DEP_2)
	v_add_co_u32 v1, vcc_lo, v1, 0
	s_waitcnt lgkmcnt(0)
	v_add_co_ci_u32_e32 v2, vcc_lo, v2, v3, vcc_lo
.LBB115_9:
	s_or_b32 exec_lo, exec_lo, s2
.LBB115_10:
	v_cmp_eq_u32_e64 s2, 0, v0
	s_and_b32 vcc_lo, exec_lo, s3
	s_cbranch_vccnz .LBB115_15
	s_branch .LBB115_448
.LBB115_11:
	s_mov_b32 s2, 0
                                        ; implicit-def: $vgpr1_vgpr2
	s_cbranch_execnz .LBB115_606
	s_branch .LBB115_758
.LBB115_12:
	s_mov_b32 s2, 0
                                        ; implicit-def: $vgpr1_vgpr2
	s_cbranch_execnz .LBB115_449
	s_branch .LBB115_605
.LBB115_13:
	s_mov_b32 s3, -1
	s_mov_b32 s2, 0
                                        ; implicit-def: $vgpr1_vgpr2
.LBB115_14:
	s_and_b32 vcc_lo, exec_lo, s3
	s_cbranch_vccz .LBB115_448
.LBB115_15:
	s_cmp_eq_u32 s26, 64
                                        ; implicit-def: $vgpr1_vgpr2
	s_cbranch_scc0 .LBB115_448
; %bb.16:
	s_mov_b32 s19, 0
	s_lshl_b32 s6, s18, 13
	s_mov_b32 s7, s19
	s_lshr_b64 s[8:9], s[20:21], 13
	s_lshl_b64 s[2:3], s[6:7], 1
	s_delay_alu instid0(SALU_CYCLE_1)
	s_add_u32 s4, s24, s2
	s_addc_u32 s5, s25, s3
	s_cmp_lg_u64 s[8:9], s[18:19]
	s_cbranch_scc0 .LBB115_298
; %bb.17:
	s_waitcnt lgkmcnt(0)
	v_lshlrev_b32_e32 v3, 1, v0
	s_clause 0xd
	global_load_u16 v5, v3, s[4:5]
	global_load_u16 v6, v3, s[4:5] offset:256
	global_load_u16 v7, v3, s[4:5] offset:512
	;; [unrolled: 1-line block ×13, first 2 shown]
	v_add_co_u32 v19, s2, s4, v3
	s_delay_alu instid0(VALU_DEP_1)
	v_add_co_ci_u32_e64 v20, null, s5, 0, s2
	global_load_u16 v21, v3, s[4:5] offset:3584
	v_add_co_u32 v1, vcc_lo, v19, 0x2000
	v_add_co_ci_u32_e32 v2, vcc_lo, 0, v20, vcc_lo
	s_clause 0x1
	global_load_u16 v22, v3, s[4:5] offset:3840
	global_load_u16 v23, v[1:2], off offset:-4096
	v_add_co_u32 v3, vcc_lo, 0x1000, v19
	v_add_co_ci_u32_e32 v4, vcc_lo, 0, v20, vcc_lo
	s_clause 0xf
	global_load_u16 v24, v[3:4], off offset:256
	global_load_u16 v25, v[3:4], off offset:512
	;; [unrolled: 1-line block ×15, first 2 shown]
	global_load_u16 v4, v[1:2], off
	v_add_co_u32 v1, vcc_lo, 0x2000, v19
	v_add_co_ci_u32_e32 v2, vcc_lo, 0, v20, vcc_lo
	s_clause 0xe
	global_load_u16 v38, v[1:2], off offset:256
	global_load_u16 v39, v[1:2], off offset:512
	;; [unrolled: 1-line block ×15, first 2 shown]
	v_add_co_u32 v1, vcc_lo, 0x3000, v19
	v_add_co_ci_u32_e32 v2, vcc_lo, 0, v20, vcc_lo
	s_clause 0xf
	global_load_u16 v19, v[1:2], off
	global_load_u16 v20, v[1:2], off offset:256
	global_load_u16 v53, v[1:2], off offset:512
	;; [unrolled: 1-line block ×15, first 2 shown]
	s_waitcnt vmcnt(62)
	v_cmp_ne_u16_e32 vcc_lo, 0, v5
	v_cndmask_b32_e64 v5, 0, 1, vcc_lo
	v_cmp_ne_u16_e32 vcc_lo, 0, v6
	v_cndmask_b32_e64 v6, 0, 1, vcc_lo
	s_waitcnt vmcnt(61)
	v_cmp_ne_u16_e32 vcc_lo, 0, v7
	s_delay_alu instid0(VALU_DEP_2)
	v_add_co_u32 v5, s2, v6, v5
	v_cndmask_b32_e64 v2, 0, 1, vcc_lo
	s_waitcnt vmcnt(60)
	v_cmp_ne_u16_e32 vcc_lo, 0, v8
	v_add_co_ci_u32_e64 v7, null, 0, 0, s2
	s_waitcnt vmcnt(59)
	v_cmp_ne_u16_e64 s2, 0, v9
	v_cndmask_b32_e64 v6, 0, 1, vcc_lo
	v_add_co_u32 v2, vcc_lo, v5, v2
	v_add_co_ci_u32_e32 v7, vcc_lo, 0, v7, vcc_lo
	s_delay_alu instid0(VALU_DEP_4) | instskip(NEXT) | instid1(VALU_DEP_3)
	v_cndmask_b32_e64 v5, 0, 1, s2
	v_add_co_u32 v2, vcc_lo, v2, v6
	s_waitcnt vmcnt(58)
	v_cmp_ne_u16_e64 s2, 0, v10
	v_add_co_ci_u32_e32 v7, vcc_lo, 0, v7, vcc_lo
	s_delay_alu instid0(VALU_DEP_3) | instskip(NEXT) | instid1(VALU_DEP_3)
	v_add_co_u32 v2, vcc_lo, v2, v5
	v_cndmask_b32_e64 v6, 0, 1, s2
	s_waitcnt vmcnt(57)
	v_cmp_ne_u16_e64 s2, 0, v11
	v_add_co_ci_u32_e32 v7, vcc_lo, 0, v7, vcc_lo
	s_delay_alu instid0(VALU_DEP_3) | instskip(NEXT) | instid1(VALU_DEP_3)
	v_add_co_u32 v2, vcc_lo, v2, v6
	v_cndmask_b32_e64 v5, 0, 1, s2
	;; [unrolled: 6-line block ×58, first 2 shown]
	s_waitcnt vmcnt(0)
	v_cmp_ne_u16_e64 s2, 0, v1
	v_add_co_ci_u32_e32 v3, vcc_lo, 0, v5, vcc_lo
	s_delay_alu instid0(VALU_DEP_3) | instskip(SKIP_1) | instid1(VALU_DEP_4)
	v_add_co_u32 v2, vcc_lo, v2, v4
	v_mov_b32_e32 v4, 0
	v_cndmask_b32_e64 v1, 0, 1, s2
	s_delay_alu instid0(VALU_DEP_4) | instskip(SKIP_1) | instid1(VALU_DEP_2)
	v_add_co_ci_u32_e32 v3, vcc_lo, 0, v3, vcc_lo
	s_mov_b32 s2, exec_lo
	v_add_co_u32 v1, vcc_lo, v2, v1
	s_delay_alu instid0(VALU_DEP_2) | instskip(NEXT) | instid1(VALU_DEP_2)
	v_add_co_ci_u32_e32 v2, vcc_lo, 0, v3, vcc_lo
	v_mov_b32_dpp v3, v1 quad_perm:[1,0,3,2] row_mask:0xf bank_mask:0xf
	s_delay_alu instid0(VALU_DEP_1) | instskip(SKIP_1) | instid1(VALU_DEP_4)
	v_add_co_u32 v1, vcc_lo, v1, v3
	v_mov_b32_dpp v3, v4 quad_perm:[1,0,3,2] row_mask:0xf bank_mask:0xf
	v_add_co_ci_u32_e32 v2, vcc_lo, 0, v2, vcc_lo
	s_delay_alu instid0(VALU_DEP_3) | instskip(SKIP_1) | instid1(VALU_DEP_3)
	v_mov_b32_dpp v5, v1 quad_perm:[2,3,0,1] row_mask:0xf bank_mask:0xf
	v_add_co_u32 v1, vcc_lo, 0, v1
	v_add_co_ci_u32_e32 v2, vcc_lo, v3, v2, vcc_lo
	s_delay_alu instid0(VALU_DEP_2) | instskip(NEXT) | instid1(VALU_DEP_2)
	v_add_co_u32 v1, vcc_lo, v1, v5
	v_mov_b32_dpp v3, v2 quad_perm:[2,3,0,1] row_mask:0xf bank_mask:0xf
	v_add_co_ci_u32_e32 v2, vcc_lo, 0, v2, vcc_lo
	s_delay_alu instid0(VALU_DEP_3) | instskip(SKIP_1) | instid1(VALU_DEP_3)
	v_mov_b32_dpp v5, v1 row_ror:4 row_mask:0xf bank_mask:0xf
	v_add_co_u32 v1, vcc_lo, v1, 0
	v_add_co_ci_u32_e32 v2, vcc_lo, v2, v3, vcc_lo
	s_delay_alu instid0(VALU_DEP_2) | instskip(NEXT) | instid1(VALU_DEP_2)
	v_add_co_u32 v1, vcc_lo, v1, v5
	v_mov_b32_dpp v3, v2 row_ror:4 row_mask:0xf bank_mask:0xf
	v_add_co_ci_u32_e32 v2, vcc_lo, 0, v2, vcc_lo
	s_delay_alu instid0(VALU_DEP_3) | instskip(SKIP_1) | instid1(VALU_DEP_3)
	v_mov_b32_dpp v5, v1 row_ror:8 row_mask:0xf bank_mask:0xf
	v_add_co_u32 v1, vcc_lo, v1, 0
	v_add_co_ci_u32_e32 v2, vcc_lo, v2, v3, vcc_lo
	s_delay_alu instid0(VALU_DEP_2) | instskip(NEXT) | instid1(VALU_DEP_2)
	v_add_co_u32 v1, vcc_lo, v1, v5
	v_mov_b32_dpp v3, v2 row_ror:8 row_mask:0xf bank_mask:0xf
	v_add_co_ci_u32_e32 v2, vcc_lo, 0, v2, vcc_lo
	ds_swizzle_b32 v5, v1 offset:swizzle(BROADCAST,32,15)
	v_add_co_u32 v1, vcc_lo, v1, 0
	v_add_co_ci_u32_e32 v2, vcc_lo, v2, v3, vcc_lo
	ds_swizzle_b32 v3, v2 offset:swizzle(BROADCAST,32,15)
	s_waitcnt lgkmcnt(1)
	v_add_co_u32 v1, vcc_lo, v1, v5
	v_add_co_ci_u32_e32 v2, vcc_lo, 0, v2, vcc_lo
	ds_bpermute_b32 v1, v4, v1 offset:124
	s_waitcnt lgkmcnt(1)
	v_add_nc_u32_e32 v2, v3, v2
	v_mbcnt_lo_u32_b32 v3, -1, 0
	ds_bpermute_b32 v2, v4, v2 offset:124
	v_cmpx_eq_u32_e32 0, v3
	s_cbranch_execz .LBB115_19
; %bb.18:
	v_lshrrev_b32_e32 v4, 2, v0
	s_delay_alu instid0(VALU_DEP_1)
	v_and_b32_e32 v4, 24, v4
	s_waitcnt lgkmcnt(0)
	ds_store_b64 v4, v[1:2] offset:192
.LBB115_19:
	s_or_b32 exec_lo, exec_lo, s2
	s_delay_alu instid0(SALU_CYCLE_1)
	s_mov_b32 s2, exec_lo
	s_waitcnt lgkmcnt(0)
	s_barrier
	buffer_gl0_inv
	v_cmpx_gt_u32_e32 32, v0
	s_cbranch_execz .LBB115_21
; %bb.20:
	v_and_b32_e32 v4, 3, v3
	s_delay_alu instid0(VALU_DEP_1) | instskip(SKIP_4) | instid1(VALU_DEP_2)
	v_lshlrev_b32_e32 v1, 3, v4
	v_cmp_ne_u32_e32 vcc_lo, 3, v4
	ds_load_b64 v[1:2], v1 offset:192
	v_add_co_ci_u32_e32 v5, vcc_lo, 0, v3, vcc_lo
	v_cmp_gt_u32_e32 vcc_lo, 2, v4
	v_lshlrev_b32_e32 v5, 2, v5
	v_cndmask_b32_e64 v4, 0, 1, vcc_lo
	s_delay_alu instid0(VALU_DEP_1) | instskip(NEXT) | instid1(VALU_DEP_1)
	v_lshlrev_b32_e32 v4, 1, v4
	v_add_lshl_u32 v3, v4, v3, 2
	s_waitcnt lgkmcnt(0)
	ds_bpermute_b32 v6, v5, v1
	ds_bpermute_b32 v5, v5, v2
	s_waitcnt lgkmcnt(1)
	v_add_co_u32 v1, vcc_lo, v1, v6
	v_add_co_ci_u32_e32 v2, vcc_lo, 0, v2, vcc_lo
	ds_bpermute_b32 v4, v3, v1
	v_add_co_u32 v1, vcc_lo, 0, v1
	s_waitcnt lgkmcnt(1)
	v_add_co_ci_u32_e32 v2, vcc_lo, v5, v2, vcc_lo
	ds_bpermute_b32 v3, v3, v2
	s_waitcnt lgkmcnt(1)
	v_add_co_u32 v1, vcc_lo, v1, v4
	v_add_co_ci_u32_e32 v2, vcc_lo, 0, v2, vcc_lo
	s_delay_alu instid0(VALU_DEP_2) | instskip(SKIP_1) | instid1(VALU_DEP_2)
	v_add_co_u32 v1, vcc_lo, v1, 0
	s_waitcnt lgkmcnt(0)
	v_add_co_ci_u32_e32 v2, vcc_lo, v2, v3, vcc_lo
.LBB115_21:
	s_or_b32 exec_lo, exec_lo, s2
	s_mov_b32 s2, 0
	s_branch .LBB115_299
.LBB115_22:
                                        ; implicit-def: $vgpr1_vgpr2
	s_cbranch_execz .LBB115_10
; %bb.23:
	s_sub_i32 s2, s20, s6
	s_mov_b32 s6, exec_lo
                                        ; implicit-def: $vgpr1_vgpr2
                                        ; kill: killed $vgpr1_vgpr2
	v_cmpx_gt_u32_e64 s2, v0
	s_cbranch_execz .LBB115_25
; %bb.24:
	s_mov_b32 s7, 0
	s_delay_alu instid0(SALU_CYCLE_1)
	v_dual_mov_b32 v2, s7 :: v_dual_lshlrev_b32 v1, 1, v0
	global_load_u16 v1, v1, s[4:5]
	s_waitcnt vmcnt(0)
	v_cmp_ne_u16_e32 vcc_lo, 0, v1
	v_cndmask_b32_e64 v1, 0, 1, vcc_lo
	scratch_store_b64 off, v[1:2], off offset:8 ; 8-byte Folded Spill
.LBB115_25:
	s_or_b32 exec_lo, exec_lo, s6
	v_mov_b32_e32 v3, 0
	v_or_b32_e32 v1, 0x80, v0
	v_mov_b32_e32 v4, 0
	s_delay_alu instid0(VALU_DEP_2) | instskip(NEXT) | instid1(VALU_DEP_2)
	v_cmp_gt_u32_e32 vcc_lo, s2, v1
	v_dual_mov_b32 v1, v3 :: v_dual_mov_b32 v2, v4
	s_and_saveexec_b32 s6, vcc_lo
	s_cbranch_execz .LBB115_27
; %bb.26:
	s_mov_b32 s7, 0
	s_delay_alu instid0(SALU_CYCLE_1)
	v_dual_mov_b32 v2, s7 :: v_dual_lshlrev_b32 v1, 1, v0
	global_load_u16 v1, v1, s[4:5] offset:256
	s_waitcnt vmcnt(0)
	v_cmp_ne_u16_e32 vcc_lo, 0, v1
	v_cndmask_b32_e64 v1, 0, 1, vcc_lo
.LBB115_27:
	s_or_b32 exec_lo, exec_lo, s6
	v_or_b32_e32 v5, 0x100, v0
	s_mov_b32 s6, exec_lo
	s_delay_alu instid0(VALU_DEP_1)
	v_cmpx_gt_u32_e64 s2, v5
	s_cbranch_execz .LBB115_29
; %bb.28:
	s_mov_b32 s7, 0
	s_delay_alu instid0(SALU_CYCLE_1)
	v_dual_mov_b32 v4, s7 :: v_dual_lshlrev_b32 v3, 1, v0
	global_load_u16 v3, v3, s[4:5] offset:512
	s_waitcnt vmcnt(0)
	v_cmp_ne_u16_e32 vcc_lo, 0, v3
	v_cndmask_b32_e64 v3, 0, 1, vcc_lo
.LBB115_29:
	s_or_b32 exec_lo, exec_lo, s6
	v_mov_b32_e32 v7, 0
	v_mov_b32_e32 v8, 0
	v_or_b32_e32 v5, 0x180, v0
	s_mov_b32 s6, exec_lo
	s_delay_alu instid0(VALU_DEP_2) | instskip(NEXT) | instid1(VALU_DEP_2)
	v_dual_mov_b32 v14, v8 :: v_dual_mov_b32 v13, v7
	v_cmpx_gt_u32_e64 s2, v5
	s_cbranch_execz .LBB115_31
; %bb.30:
	s_mov_b32 s7, 0
	s_delay_alu instid0(SALU_CYCLE_1)
	v_dual_mov_b32 v14, s7 :: v_dual_lshlrev_b32 v5, 1, v0
	global_load_u16 v5, v5, s[4:5] offset:768
	s_waitcnt vmcnt(0)
	v_cmp_ne_u16_e32 vcc_lo, 0, v5
	v_cndmask_b32_e64 v13, 0, 1, vcc_lo
.LBB115_31:
	s_or_b32 exec_lo, exec_lo, s6
	v_or_b32_e32 v5, 0x200, v0
	s_mov_b32 s6, exec_lo
	s_delay_alu instid0(VALU_DEP_1)
	v_cmpx_gt_u32_e64 s2, v5
	s_cbranch_execz .LBB115_33
; %bb.32:
	s_mov_b32 s7, 0
	s_delay_alu instid0(SALU_CYCLE_1)
	v_dual_mov_b32 v8, s7 :: v_dual_lshlrev_b32 v5, 1, v0
	global_load_u16 v5, v5, s[4:5] offset:1024
	s_waitcnt vmcnt(0)
	v_cmp_ne_u16_e32 vcc_lo, 0, v5
	v_cndmask_b32_e64 v7, 0, 1, vcc_lo
.LBB115_33:
	s_or_b32 exec_lo, exec_lo, s6
	v_mov_b32_e32 v11, 0
	v_or_b32_e32 v5, 0x280, v0
	v_mov_b32_e32 v12, 0
	s_mov_b32 s6, exec_lo
	scratch_store_b64 off, v[11:12], off    ; 8-byte Folded Spill
	v_cmpx_gt_u32_e64 s2, v5
	s_cbranch_execz .LBB115_35
; %bb.34:
	s_mov_b32 s7, 0
	s_delay_alu instid0(SALU_CYCLE_1)
	v_dual_mov_b32 v6, s7 :: v_dual_lshlrev_b32 v5, 1, v0
	global_load_u16 v5, v5, s[4:5] offset:1280
	s_waitcnt vmcnt(0)
	v_cmp_ne_u16_e32 vcc_lo, 0, v5
	v_cndmask_b32_e64 v5, 0, 1, vcc_lo
	scratch_store_b64 off, v[5:6], off      ; 8-byte Folded Spill
.LBB115_35:
	s_or_b32 exec_lo, exec_lo, s6
	v_or_b32_e32 v5, 0x300, v0
	s_mov_b32 s6, exec_lo
	s_delay_alu instid0(VALU_DEP_1)
	v_cmpx_gt_u32_e64 s2, v5
	s_cbranch_execz .LBB115_37
; %bb.36:
	s_mov_b32 s7, 0
	s_delay_alu instid0(SALU_CYCLE_1)
	v_dual_mov_b32 v12, s7 :: v_dual_lshlrev_b32 v5, 1, v0
	global_load_u16 v5, v5, s[4:5] offset:1536
	s_waitcnt vmcnt(0)
	v_cmp_ne_u16_e32 vcc_lo, 0, v5
	v_cndmask_b32_e64 v11, 0, 1, vcc_lo
.LBB115_37:
	s_or_b32 exec_lo, exec_lo, s6
	v_mov_b32_e32 v15, 0
	v_mov_b32_e32 v16, 0
	v_or_b32_e32 v5, 0x380, v0
	s_mov_b32 s6, exec_lo
	s_delay_alu instid0(VALU_DEP_2) | instskip(NEXT) | instid1(VALU_DEP_2)
	v_dual_mov_b32 v18, v16 :: v_dual_mov_b32 v17, v15
	v_cmpx_gt_u32_e64 s2, v5
	s_cbranch_execz .LBB115_39
; %bb.38:
	s_mov_b32 s7, 0
	s_delay_alu instid0(SALU_CYCLE_1)
	v_dual_mov_b32 v18, s7 :: v_dual_lshlrev_b32 v5, 1, v0
	global_load_u16 v5, v5, s[4:5] offset:1792
	s_waitcnt vmcnt(0)
	v_cmp_ne_u16_e32 vcc_lo, 0, v5
	v_cndmask_b32_e64 v17, 0, 1, vcc_lo
.LBB115_39:
	s_or_b32 exec_lo, exec_lo, s6
	v_or_b32_e32 v5, 0x400, v0
	s_mov_b32 s6, exec_lo
	s_delay_alu instid0(VALU_DEP_1)
	v_cmpx_gt_u32_e64 s2, v5
	s_cbranch_execz .LBB115_41
; %bb.40:
	s_mov_b32 s7, 0
	s_delay_alu instid0(SALU_CYCLE_1)
	v_dual_mov_b32 v16, s7 :: v_dual_lshlrev_b32 v5, 1, v0
	global_load_u16 v5, v5, s[4:5] offset:2048
	s_waitcnt vmcnt(0)
	v_cmp_ne_u16_e32 vcc_lo, 0, v5
	v_cndmask_b32_e64 v15, 0, 1, vcc_lo
.LBB115_41:
	s_or_b32 exec_lo, exec_lo, s6
	v_mov_b32_e32 v19, 0
	v_mov_b32_e32 v20, 0
	v_or_b32_e32 v5, 0x480, v0
	s_mov_b32 s6, exec_lo
	s_delay_alu instid0(VALU_DEP_2) | instskip(NEXT) | instid1(VALU_DEP_2)
	v_dual_mov_b32 v22, v20 :: v_dual_mov_b32 v21, v19
	v_cmpx_gt_u32_e64 s2, v5
	s_cbranch_execz .LBB115_43
; %bb.42:
	s_mov_b32 s7, 0
	s_delay_alu instid0(SALU_CYCLE_1)
	v_dual_mov_b32 v22, s7 :: v_dual_lshlrev_b32 v5, 1, v0
	global_load_u16 v5, v5, s[4:5] offset:2304
	s_waitcnt vmcnt(0)
	v_cmp_ne_u16_e32 vcc_lo, 0, v5
	v_cndmask_b32_e64 v21, 0, 1, vcc_lo
.LBB115_43:
	;; [unrolled: 33-line block ×5, first 2 shown]
	s_or_b32 exec_lo, exec_lo, s6
	v_or_b32_e32 v5, 0x800, v0
	s_mov_b32 s6, exec_lo
	s_delay_alu instid0(VALU_DEP_1)
	v_cmpx_gt_u32_e64 s2, v5
	s_cbranch_execz .LBB115_57
; %bb.56:
	s_mov_b32 s7, 0
	s_delay_alu instid0(SALU_CYCLE_1)
	v_dual_mov_b32 v32, s7 :: v_dual_lshlrev_b32 v5, 1, v5
	global_load_u16 v5, v5, s[4:5]
	s_waitcnt vmcnt(0)
	v_cmp_ne_u16_e32 vcc_lo, 0, v5
	v_cndmask_b32_e64 v31, 0, 1, vcc_lo
.LBB115_57:
	s_or_b32 exec_lo, exec_lo, s6
	v_mov_b32_e32 v35, 0
	v_mov_b32_e32 v36, 0
	v_or_b32_e32 v5, 0x880, v0
	s_mov_b32 s6, exec_lo
	s_delay_alu instid0(VALU_DEP_2) | instskip(NEXT) | instid1(VALU_DEP_2)
	v_dual_mov_b32 v38, v36 :: v_dual_mov_b32 v37, v35
	v_cmpx_gt_u32_e64 s2, v5
	s_cbranch_execz .LBB115_59
; %bb.58:
	s_mov_b32 s7, 0
	s_delay_alu instid0(SALU_CYCLE_1)
	v_dual_mov_b32 v38, s7 :: v_dual_lshlrev_b32 v5, 1, v5
	global_load_u16 v5, v5, s[4:5]
	s_waitcnt vmcnt(0)
	v_cmp_ne_u16_e32 vcc_lo, 0, v5
	v_cndmask_b32_e64 v37, 0, 1, vcc_lo
.LBB115_59:
	s_or_b32 exec_lo, exec_lo, s6
	v_or_b32_e32 v5, 0x900, v0
	s_mov_b32 s6, exec_lo
	s_delay_alu instid0(VALU_DEP_1)
	v_cmpx_gt_u32_e64 s2, v5
	s_cbranch_execz .LBB115_61
; %bb.60:
	s_mov_b32 s7, 0
	s_delay_alu instid0(SALU_CYCLE_1)
	v_dual_mov_b32 v36, s7 :: v_dual_lshlrev_b32 v5, 1, v5
	global_load_u16 v5, v5, s[4:5]
	s_waitcnt vmcnt(0)
	v_cmp_ne_u16_e32 vcc_lo, 0, v5
	v_cndmask_b32_e64 v35, 0, 1, vcc_lo
.LBB115_61:
	s_or_b32 exec_lo, exec_lo, s6
	v_mov_b32_e32 v39, 0
	v_mov_b32_e32 v40, 0
	v_or_b32_e32 v5, 0x980, v0
	s_mov_b32 s6, exec_lo
	s_delay_alu instid0(VALU_DEP_2) | instskip(NEXT) | instid1(VALU_DEP_2)
	v_dual_mov_b32 v42, v40 :: v_dual_mov_b32 v41, v39
	v_cmpx_gt_u32_e64 s2, v5
	s_cbranch_execz .LBB115_63
; %bb.62:
	s_mov_b32 s7, 0
	s_delay_alu instid0(SALU_CYCLE_1)
	v_dual_mov_b32 v42, s7 :: v_dual_lshlrev_b32 v5, 1, v5
	global_load_u16 v5, v5, s[4:5]
	s_waitcnt vmcnt(0)
	v_cmp_ne_u16_e32 vcc_lo, 0, v5
	v_cndmask_b32_e64 v41, 0, 1, vcc_lo
.LBB115_63:
	;; [unrolled: 33-line block ×55, first 2 shown]
	s_or_b32 exec_lo, exec_lo, s6
	v_or_b32_e32 v5, 0x3f00, v0
	s_mov_b32 s6, exec_lo
	s_delay_alu instid0(VALU_DEP_1)
	v_cmpx_gt_u32_e64 s2, v5
	s_cbranch_execz .LBB115_277
; %bb.276:
	s_mov_b32 s7, 0
	s_delay_alu instid0(SALU_CYCLE_1)
	v_dual_mov_b32 v252, s7 :: v_dual_lshlrev_b32 v5, 1, v5
	global_load_u16 v5, v5, s[4:5]
	s_waitcnt vmcnt(0)
	v_cmp_ne_u16_e32 vcc_lo, 0, v5
	v_cndmask_b32_e64 v251, 0, 1, vcc_lo
.LBB115_277:
	s_or_b32 exec_lo, exec_lo, s6
	v_mov_b32_e32 v5, 0
	v_or_b32_e32 v255, 0x3f80, v0
	v_mov_b32_e32 v6, 0
	s_mov_b32 s6, exec_lo
	s_delay_alu instid0(VALU_DEP_2)
	v_cmpx_gt_u32_e64 s2, v255
	s_cbranch_execz .LBB115_279
; %bb.278:
	v_lshlrev_b32_e32 v5, 1, v255
	global_load_u16 v5, v5, s[4:5]
	s_mov_b32 s4, 0
	s_delay_alu instid0(SALU_CYCLE_1)
	v_mov_b32_e32 v6, s4
	s_waitcnt vmcnt(0)
	v_cmp_ne_u16_e32 vcc_lo, 0, v5
	v_cndmask_b32_e64 v5, 0, 1, vcc_lo
.LBB115_279:
	s_or_b32 exec_lo, exec_lo, s6
	scratch_load_b64 v[9:10], off, off offset:8 ; 8-byte Folded Reload
	s_min_u32 s2, s2, 0x80
	s_waitcnt vmcnt(0)
	v_add_co_u32 v1, vcc_lo, v1, v9
	v_add_co_ci_u32_e32 v2, vcc_lo, v2, v10, vcc_lo
	s_delay_alu instid0(VALU_DEP_2) | instskip(NEXT) | instid1(VALU_DEP_2)
	v_add_co_u32 v1, vcc_lo, v1, v3
	v_add_co_ci_u32_e32 v2, vcc_lo, v2, v4, vcc_lo
	scratch_load_b64 v[3:4], off, off       ; 8-byte Folded Reload
	v_add_co_u32 v1, vcc_lo, v1, v13
	v_add_co_ci_u32_e32 v2, vcc_lo, v2, v14, vcc_lo
	s_delay_alu instid0(VALU_DEP_2) | instskip(NEXT) | instid1(VALU_DEP_2)
	v_add_co_u32 v1, vcc_lo, v1, v7
	v_add_co_ci_u32_e32 v2, vcc_lo, v2, v8, vcc_lo
	s_waitcnt vmcnt(0)
	s_delay_alu instid0(VALU_DEP_2) | instskip(NEXT) | instid1(VALU_DEP_2)
	v_add_co_u32 v1, vcc_lo, v1, v3
	v_add_co_ci_u32_e32 v2, vcc_lo, v2, v4, vcc_lo
	v_mbcnt_lo_u32_b32 v3, -1, 0
	s_delay_alu instid0(VALU_DEP_3) | instskip(NEXT) | instid1(VALU_DEP_3)
	v_add_co_u32 v1, vcc_lo, v1, v11
	v_add_co_ci_u32_e32 v2, vcc_lo, v2, v12, vcc_lo
	s_delay_alu instid0(VALU_DEP_2) | instskip(NEXT) | instid1(VALU_DEP_2)
	v_add_co_u32 v1, vcc_lo, v1, v17
	v_add_co_ci_u32_e32 v2, vcc_lo, v2, v18, vcc_lo
	s_delay_alu instid0(VALU_DEP_2) | instskip(NEXT) | instid1(VALU_DEP_2)
	;; [unrolled: 3-line block ×119, first 2 shown]
	v_add_co_u32 v1, vcc_lo, v1, v253
	v_add_co_ci_u32_e32 v2, vcc_lo, v2, v254, vcc_lo
	v_cmp_ne_u32_e32 vcc_lo, 31, v3
	v_add_co_ci_u32_e32 v4, vcc_lo, 0, v3, vcc_lo
	s_delay_alu instid0(VALU_DEP_4) | instskip(NEXT) | instid1(VALU_DEP_4)
	v_add_co_u32 v1, vcc_lo, v1, v251
	v_add_co_ci_u32_e32 v2, vcc_lo, v2, v252, vcc_lo
	s_delay_alu instid0(VALU_DEP_2) | instskip(NEXT) | instid1(VALU_DEP_4)
	v_add_co_u32 v1, vcc_lo, v1, v5
	v_lshlrev_b32_e32 v4, 2, v4
	s_delay_alu instid0(VALU_DEP_3) | instskip(SKIP_4) | instid1(VALU_DEP_1)
	v_add_co_ci_u32_e32 v2, vcc_lo, v2, v6, vcc_lo
	v_add_nc_u32_e32 v5, 1, v3
	ds_bpermute_b32 v7, v4, v1
	ds_bpermute_b32 v6, v4, v2
	v_and_b32_e32 v4, 0x60, v0
	v_sub_nc_u32_e64 v4, s2, v4 clamp
	s_delay_alu instid0(VALU_DEP_1)
	v_cmp_lt_u32_e32 vcc_lo, v5, v4
	v_mov_b32_e32 v5, v1
	s_and_saveexec_b32 s4, vcc_lo
	s_cbranch_execz .LBB115_281
; %bb.280:
	s_waitcnt lgkmcnt(1)
	v_add_co_u32 v5, vcc_lo, v1, v7
	v_add_co_ci_u32_e32 v2, vcc_lo, 0, v2, vcc_lo
	s_delay_alu instid0(VALU_DEP_2) | instskip(SKIP_1) | instid1(VALU_DEP_2)
	v_add_co_u32 v1, vcc_lo, 0, v5
	s_waitcnt lgkmcnt(0)
	v_add_co_ci_u32_e32 v2, vcc_lo, v6, v2, vcc_lo
.LBB115_281:
	s_or_b32 exec_lo, exec_lo, s4
	v_cmp_gt_u32_e32 vcc_lo, 30, v3
	v_add_nc_u32_e32 v8, 2, v3
	s_mov_b32 s4, exec_lo
	s_waitcnt lgkmcnt(0)
	v_cndmask_b32_e64 v6, 0, 1, vcc_lo
	s_delay_alu instid0(VALU_DEP_1) | instskip(NEXT) | instid1(VALU_DEP_1)
	v_lshlrev_b32_e32 v6, 1, v6
	v_add_lshl_u32 v6, v6, v3, 2
	ds_bpermute_b32 v7, v6, v5
	ds_bpermute_b32 v6, v6, v2
	v_cmpx_lt_u32_e64 v8, v4
	s_cbranch_execz .LBB115_283
; %bb.282:
	s_waitcnt lgkmcnt(1)
	v_add_co_u32 v5, vcc_lo, v1, v7
	v_add_co_ci_u32_e32 v2, vcc_lo, 0, v2, vcc_lo
	s_delay_alu instid0(VALU_DEP_2) | instskip(SKIP_1) | instid1(VALU_DEP_2)
	v_add_co_u32 v1, vcc_lo, 0, v5
	s_waitcnt lgkmcnt(0)
	v_add_co_ci_u32_e32 v2, vcc_lo, v6, v2, vcc_lo
.LBB115_283:
	s_or_b32 exec_lo, exec_lo, s4
	v_cmp_gt_u32_e32 vcc_lo, 28, v3
	v_add_nc_u32_e32 v8, 4, v3
	s_mov_b32 s4, exec_lo
	s_waitcnt lgkmcnt(0)
	v_cndmask_b32_e64 v6, 0, 1, vcc_lo
	s_delay_alu instid0(VALU_DEP_1) | instskip(NEXT) | instid1(VALU_DEP_1)
	v_lshlrev_b32_e32 v6, 2, v6
	v_add_lshl_u32 v6, v6, v3, 2
	ds_bpermute_b32 v7, v6, v5
	ds_bpermute_b32 v6, v6, v2
	v_cmpx_lt_u32_e64 v8, v4
	;; [unrolled: 22-line block ×3, first 2 shown]
	s_cbranch_execz .LBB115_287
; %bb.286:
	s_waitcnt lgkmcnt(1)
	v_add_co_u32 v5, vcc_lo, v1, v7
	v_add_co_ci_u32_e32 v2, vcc_lo, 0, v2, vcc_lo
	s_delay_alu instid0(VALU_DEP_2) | instskip(SKIP_1) | instid1(VALU_DEP_2)
	v_add_co_u32 v1, vcc_lo, 0, v5
	s_waitcnt lgkmcnt(0)
	v_add_co_ci_u32_e32 v2, vcc_lo, v6, v2, vcc_lo
.LBB115_287:
	s_or_b32 exec_lo, exec_lo, s4
	v_cmp_gt_u32_e32 vcc_lo, 16, v3
	s_mov_b32 s4, exec_lo
	s_waitcnt lgkmcnt(0)
	v_cndmask_b32_e64 v6, 0, 1, vcc_lo
	s_delay_alu instid0(VALU_DEP_1) | instskip(NEXT) | instid1(VALU_DEP_1)
	v_lshlrev_b32_e32 v6, 4, v6
	v_add_lshl_u32 v7, v6, v3, 2
	ds_bpermute_b32 v6, v7, v5
	ds_bpermute_b32 v5, v7, v2
	v_add_nc_u32_e32 v7, 16, v3
	s_delay_alu instid0(VALU_DEP_1)
	v_cmpx_lt_u32_e64 v7, v4
	s_cbranch_execz .LBB115_289
; %bb.288:
	s_waitcnt lgkmcnt(1)
	v_add_co_u32 v1, vcc_lo, v1, v6
	v_add_co_ci_u32_e32 v2, vcc_lo, 0, v2, vcc_lo
	s_delay_alu instid0(VALU_DEP_2) | instskip(SKIP_1) | instid1(VALU_DEP_2)
	v_add_co_u32 v1, vcc_lo, v1, 0
	s_waitcnt lgkmcnt(0)
	v_add_co_ci_u32_e32 v2, vcc_lo, v2, v5, vcc_lo
.LBB115_289:
	s_or_b32 exec_lo, exec_lo, s4
	s_delay_alu instid0(SALU_CYCLE_1)
	s_mov_b32 s4, exec_lo
	v_cmpx_eq_u32_e32 0, v3
	s_cbranch_execz .LBB115_291
; %bb.290:
	v_lshrrev_b32_e32 v4, 2, v0
	s_delay_alu instid0(VALU_DEP_1)
	v_and_b32_e32 v4, 24, v4
	ds_store_b64 v4, v[1:2] offset:256
.LBB115_291:
	s_or_b32 exec_lo, exec_lo, s4
	s_delay_alu instid0(SALU_CYCLE_1)
	s_mov_b32 s4, exec_lo
	s_waitcnt lgkmcnt(0)
	s_waitcnt_vscnt null, 0x0
	s_barrier
	buffer_gl0_inv
	v_cmpx_gt_u32_e32 4, v0
	s_cbranch_execz .LBB115_297
; %bb.292:
	v_lshlrev_b32_e32 v1, 3, v3
	s_add_i32 s2, s2, 31
	s_delay_alu instid0(SALU_CYCLE_1) | instskip(SKIP_2) | instid1(VALU_DEP_1)
	s_lshr_b32 s2, s2, 5
	ds_load_b64 v[1:2], v1 offset:256
	v_and_b32_e32 v4, 3, v3
	v_cmp_ne_u32_e32 vcc_lo, 3, v4
	v_add_co_ci_u32_e32 v5, vcc_lo, 0, v3, vcc_lo
	s_delay_alu instid0(VALU_DEP_1) | instskip(SKIP_4) | instid1(VALU_DEP_1)
	v_lshlrev_b32_e32 v5, 2, v5
	s_waitcnt lgkmcnt(0)
	ds_bpermute_b32 v7, v5, v1
	ds_bpermute_b32 v6, v5, v2
	v_add_nc_u32_e32 v5, 1, v4
	v_cmp_gt_u32_e32 vcc_lo, s2, v5
	v_mov_b32_e32 v5, v1
	s_and_saveexec_b32 s5, vcc_lo
	s_cbranch_execz .LBB115_294
; %bb.293:
	s_waitcnt lgkmcnt(1)
	v_add_co_u32 v5, vcc_lo, v1, v7
	v_add_co_ci_u32_e32 v2, vcc_lo, 0, v2, vcc_lo
	s_delay_alu instid0(VALU_DEP_2) | instskip(SKIP_1) | instid1(VALU_DEP_2)
	v_add_co_u32 v1, vcc_lo, 0, v5
	s_waitcnt lgkmcnt(0)
	v_add_co_ci_u32_e32 v2, vcc_lo, v6, v2, vcc_lo
.LBB115_294:
	s_or_b32 exec_lo, exec_lo, s5
	v_cmp_gt_u32_e32 vcc_lo, 2, v4
	v_add_nc_u32_e32 v4, 2, v4
	s_waitcnt lgkmcnt(0)
	v_cndmask_b32_e64 v6, 0, 1, vcc_lo
	s_delay_alu instid0(VALU_DEP_2) | instskip(NEXT) | instid1(VALU_DEP_2)
	v_cmp_gt_u32_e32 vcc_lo, s2, v4
	v_lshlrev_b32_e32 v6, 1, v6
	s_delay_alu instid0(VALU_DEP_1)
	v_add_lshl_u32 v3, v6, v3, 2
	ds_bpermute_b32 v5, v3, v5
	ds_bpermute_b32 v3, v3, v2
	s_and_saveexec_b32 s2, vcc_lo
	s_cbranch_execz .LBB115_296
; %bb.295:
	s_waitcnt lgkmcnt(1)
	v_add_co_u32 v1, vcc_lo, v1, v5
	v_add_co_ci_u32_e32 v2, vcc_lo, 0, v2, vcc_lo
	s_delay_alu instid0(VALU_DEP_2) | instskip(SKIP_1) | instid1(VALU_DEP_2)
	v_add_co_u32 v1, vcc_lo, v1, 0
	s_waitcnt lgkmcnt(0)
	v_add_co_ci_u32_e32 v2, vcc_lo, v2, v3, vcc_lo
.LBB115_296:
	s_or_b32 exec_lo, exec_lo, s2
.LBB115_297:
	s_delay_alu instid0(SALU_CYCLE_1)
	s_or_b32 exec_lo, exec_lo, s4
	v_cmp_eq_u32_e64 s2, 0, v0
	s_and_b32 vcc_lo, exec_lo, s3
	s_cbranch_vccnz .LBB115_15
	s_branch .LBB115_448
.LBB115_298:
	s_mov_b32 s2, -1
                                        ; implicit-def: $vgpr1_vgpr2
.LBB115_299:
	s_delay_alu instid0(SALU_CYCLE_1)
	s_and_b32 vcc_lo, exec_lo, s2
	s_cbranch_vccz .LBB115_447
; %bb.300:
	s_sub_i32 s2, s20, s6
	s_mov_b32 s3, exec_lo
                                        ; implicit-def: $vgpr1_vgpr2
	v_cmpx_gt_u32_e64 s2, v0
	s_cbranch_execz .LBB115_302
; %bb.301:
	s_mov_b32 s6, 0
	s_delay_alu instid0(SALU_CYCLE_1)
	v_dual_mov_b32 v2, s6 :: v_dual_lshlrev_b32 v1, 1, v0
	global_load_u16 v1, v1, s[4:5]
	s_waitcnt vmcnt(0)
	v_cmp_ne_u16_e32 vcc_lo, 0, v1
	v_cndmask_b32_e64 v1, 0, 1, vcc_lo
.LBB115_302:
	s_or_b32 exec_lo, exec_lo, s3
	s_waitcnt lgkmcnt(0)
	v_mov_b32_e32 v3, 0
	v_or_b32_e32 v5, 0x80, v0
	v_mov_b32_e32 v4, 0
	s_delay_alu instid0(VALU_DEP_2) | instskip(NEXT) | instid1(VALU_DEP_2)
	v_cmp_gt_u32_e32 vcc_lo, s2, v5
	v_dual_mov_b32 v6, v4 :: v_dual_mov_b32 v5, v3
	s_and_saveexec_b32 s3, vcc_lo
	s_cbranch_execz .LBB115_304
; %bb.303:
	s_mov_b32 s6, 0
	s_delay_alu instid0(SALU_CYCLE_1)
	v_dual_mov_b32 v6, s6 :: v_dual_lshlrev_b32 v5, 1, v0
	global_load_u16 v5, v5, s[4:5] offset:256
	s_waitcnt vmcnt(0)
	v_cmp_ne_u16_e32 vcc_lo, 0, v5
	v_cndmask_b32_e64 v5, 0, 1, vcc_lo
.LBB115_304:
	s_or_b32 exec_lo, exec_lo, s3
	v_or_b32_e32 v7, 0x100, v0
	s_mov_b32 s3, exec_lo
	s_delay_alu instid0(VALU_DEP_1)
	v_cmpx_gt_u32_e64 s2, v7
	s_cbranch_execz .LBB115_306
; %bb.305:
	s_mov_b32 s6, 0
	s_delay_alu instid0(SALU_CYCLE_1)
	v_dual_mov_b32 v4, s6 :: v_dual_lshlrev_b32 v3, 1, v0
	global_load_u16 v3, v3, s[4:5] offset:512
	s_waitcnt vmcnt(0)
	v_cmp_ne_u16_e32 vcc_lo, 0, v3
	v_cndmask_b32_e64 v3, 0, 1, vcc_lo
.LBB115_306:
	s_or_b32 exec_lo, exec_lo, s3
	v_mov_b32_e32 v7, 0
	v_or_b32_e32 v9, 0x180, v0
	v_mov_b32_e32 v8, 0
	s_delay_alu instid0(VALU_DEP_2) | instskip(NEXT) | instid1(VALU_DEP_2)
	v_cmp_gt_u32_e32 vcc_lo, s2, v9
	v_dual_mov_b32 v10, v8 :: v_dual_mov_b32 v9, v7
	s_and_saveexec_b32 s3, vcc_lo
	s_cbranch_execz .LBB115_308
; %bb.307:
	s_mov_b32 s6, 0
	s_delay_alu instid0(SALU_CYCLE_1)
	v_dual_mov_b32 v10, s6 :: v_dual_lshlrev_b32 v9, 1, v0
	global_load_u16 v9, v9, s[4:5] offset:768
	s_waitcnt vmcnt(0)
	v_cmp_ne_u16_e32 vcc_lo, 0, v9
	v_cndmask_b32_e64 v9, 0, 1, vcc_lo
.LBB115_308:
	s_or_b32 exec_lo, exec_lo, s3
	v_or_b32_e32 v11, 0x200, v0
	s_mov_b32 s3, exec_lo
	s_delay_alu instid0(VALU_DEP_1)
	v_cmpx_gt_u32_e64 s2, v11
	s_cbranch_execz .LBB115_310
; %bb.309:
	s_mov_b32 s6, 0
	s_delay_alu instid0(SALU_CYCLE_1)
	v_dual_mov_b32 v8, s6 :: v_dual_lshlrev_b32 v7, 1, v0
	global_load_u16 v7, v7, s[4:5] offset:1024
	s_waitcnt vmcnt(0)
	v_cmp_ne_u16_e32 vcc_lo, 0, v7
	v_cndmask_b32_e64 v7, 0, 1, vcc_lo
.LBB115_310:
	s_or_b32 exec_lo, exec_lo, s3
	;; [unrolled: 33-line block ×7, first 2 shown]
	v_mov_b32_e32 v31, 0
	v_or_b32_e32 v33, 0x780, v0
	v_mov_b32_e32 v32, 0
	s_delay_alu instid0(VALU_DEP_2) | instskip(NEXT) | instid1(VALU_DEP_2)
	v_cmp_gt_u32_e32 vcc_lo, s2, v33
	v_dual_mov_b32 v34, v32 :: v_dual_mov_b32 v33, v31
	s_and_saveexec_b32 s3, vcc_lo
	s_cbranch_execz .LBB115_332
; %bb.331:
	s_mov_b32 s6, 0
	s_delay_alu instid0(SALU_CYCLE_1)
	v_dual_mov_b32 v34, s6 :: v_dual_lshlrev_b32 v33, 1, v0
	global_load_u16 v33, v33, s[4:5] offset:3840
	s_waitcnt vmcnt(0)
	v_cmp_ne_u16_e32 vcc_lo, 0, v33
	v_cndmask_b32_e64 v33, 0, 1, vcc_lo
.LBB115_332:
	s_or_b32 exec_lo, exec_lo, s3
	v_or_b32_e32 v35, 0x800, v0
	s_mov_b32 s3, exec_lo
	s_delay_alu instid0(VALU_DEP_1)
	v_cmpx_gt_u32_e64 s2, v35
	s_cbranch_execz .LBB115_334
; %bb.333:
	s_mov_b32 s6, 0
	s_delay_alu instid0(SALU_CYCLE_1)
	v_dual_mov_b32 v32, s6 :: v_dual_lshlrev_b32 v31, 1, v35
	global_load_u16 v31, v31, s[4:5]
	s_waitcnt vmcnt(0)
	v_cmp_ne_u16_e32 vcc_lo, 0, v31
	v_cndmask_b32_e64 v31, 0, 1, vcc_lo
.LBB115_334:
	s_or_b32 exec_lo, exec_lo, s3
	v_mov_b32_e32 v35, 0
	v_mov_b32_e32 v36, 0
	v_or_b32_e32 v39, 0x880, v0
	s_mov_b32 s3, exec_lo
	s_delay_alu instid0(VALU_DEP_2) | instskip(NEXT) | instid1(VALU_DEP_2)
	v_dual_mov_b32 v38, v36 :: v_dual_mov_b32 v37, v35
	v_cmpx_gt_u32_e64 s2, v39
	s_cbranch_execz .LBB115_336
; %bb.335:
	s_mov_b32 s6, 0
	s_delay_alu instid0(SALU_CYCLE_1)
	v_dual_mov_b32 v38, s6 :: v_dual_lshlrev_b32 v37, 1, v39
	global_load_u16 v37, v37, s[4:5]
	s_waitcnt vmcnt(0)
	v_cmp_ne_u16_e32 vcc_lo, 0, v37
	v_cndmask_b32_e64 v37, 0, 1, vcc_lo
.LBB115_336:
	s_or_b32 exec_lo, exec_lo, s3
	v_or_b32_e32 v39, 0x900, v0
	s_mov_b32 s3, exec_lo
	s_delay_alu instid0(VALU_DEP_1)
	v_cmpx_gt_u32_e64 s2, v39
	s_cbranch_execz .LBB115_338
; %bb.337:
	s_mov_b32 s6, 0
	s_delay_alu instid0(SALU_CYCLE_1)
	v_dual_mov_b32 v36, s6 :: v_dual_lshlrev_b32 v35, 1, v39
	global_load_u16 v35, v35, s[4:5]
	s_waitcnt vmcnt(0)
	v_cmp_ne_u16_e32 vcc_lo, 0, v35
	v_cndmask_b32_e64 v35, 0, 1, vcc_lo
.LBB115_338:
	s_or_b32 exec_lo, exec_lo, s3
	v_mov_b32_e32 v39, 0
	v_mov_b32_e32 v40, 0
	v_or_b32_e32 v43, 0x980, v0
	s_mov_b32 s3, exec_lo
	s_delay_alu instid0(VALU_DEP_2) | instskip(NEXT) | instid1(VALU_DEP_2)
	v_dual_mov_b32 v42, v40 :: v_dual_mov_b32 v41, v39
	v_cmpx_gt_u32_e64 s2, v43
	s_cbranch_execz .LBB115_340
; %bb.339:
	s_mov_b32 s6, 0
	s_delay_alu instid0(SALU_CYCLE_1)
	v_dual_mov_b32 v42, s6 :: v_dual_lshlrev_b32 v41, 1, v43
	global_load_u16 v41, v41, s[4:5]
	s_waitcnt vmcnt(0)
	v_cmp_ne_u16_e32 vcc_lo, 0, v41
	v_cndmask_b32_e64 v41, 0, 1, vcc_lo
.LBB115_340:
	;; [unrolled: 33-line block ×23, first 2 shown]
	s_or_b32 exec_lo, exec_lo, s3
	v_or_b32_e32 v127, 0x1f00, v0
	s_mov_b32 s3, exec_lo
	s_delay_alu instid0(VALU_DEP_1)
	v_cmpx_gt_u32_e64 s2, v127
	s_cbranch_execz .LBB115_426
; %bb.425:
	s_mov_b32 s6, 0
	s_delay_alu instid0(SALU_CYCLE_1)
	v_dual_mov_b32 v124, s6 :: v_dual_lshlrev_b32 v123, 1, v127
	global_load_u16 v123, v123, s[4:5]
	s_waitcnt vmcnt(0)
	v_cmp_ne_u16_e32 vcc_lo, 0, v123
	v_cndmask_b32_e64 v123, 0, 1, vcc_lo
.LBB115_426:
	s_or_b32 exec_lo, exec_lo, s3
	v_mov_b32_e32 v127, 0
	v_or_b32_e32 v129, 0x1f80, v0
	v_mov_b32_e32 v128, 0
	s_mov_b32 s3, exec_lo
	s_delay_alu instid0(VALU_DEP_2)
	v_cmpx_gt_u32_e64 s2, v129
	s_cbranch_execz .LBB115_428
; %bb.427:
	v_lshlrev_b32_e32 v127, 1, v129
	global_load_u16 v127, v127, s[4:5]
	s_mov_b32 s4, 0
	s_delay_alu instid0(SALU_CYCLE_1)
	v_mov_b32_e32 v128, s4
	s_waitcnt vmcnt(0)
	v_cmp_ne_u16_e32 vcc_lo, 0, v127
	v_cndmask_b32_e64 v127, 0, 1, vcc_lo
.LBB115_428:
	s_or_b32 exec_lo, exec_lo, s3
	v_add_co_u32 v1, vcc_lo, v5, v1
	v_add_co_ci_u32_e32 v2, vcc_lo, v6, v2, vcc_lo
	s_min_u32 s2, s2, 0x80
	s_delay_alu instid0(VALU_DEP_2) | instskip(NEXT) | instid1(VALU_DEP_2)
	v_add_co_u32 v1, vcc_lo, v1, v3
	v_add_co_ci_u32_e32 v2, vcc_lo, v2, v4, vcc_lo
	v_mbcnt_lo_u32_b32 v3, -1, 0
	s_delay_alu instid0(VALU_DEP_3) | instskip(NEXT) | instid1(VALU_DEP_3)
	v_add_co_u32 v1, vcc_lo, v1, v9
	v_add_co_ci_u32_e32 v2, vcc_lo, v2, v10, vcc_lo
	s_delay_alu instid0(VALU_DEP_3) | instskip(NEXT) | instid1(VALU_DEP_3)
	v_add_nc_u32_e32 v5, 1, v3
	v_add_co_u32 v1, vcc_lo, v1, v7
	s_delay_alu instid0(VALU_DEP_3) | instskip(NEXT) | instid1(VALU_DEP_2)
	v_add_co_ci_u32_e32 v2, vcc_lo, v2, v8, vcc_lo
	v_add_co_u32 v1, vcc_lo, v1, v13
	s_delay_alu instid0(VALU_DEP_2) | instskip(NEXT) | instid1(VALU_DEP_2)
	v_add_co_ci_u32_e32 v2, vcc_lo, v2, v14, vcc_lo
	v_add_co_u32 v1, vcc_lo, v1, v11
	s_delay_alu instid0(VALU_DEP_2) | instskip(NEXT) | instid1(VALU_DEP_2)
	;; [unrolled: 3-line block ×56, first 2 shown]
	v_add_co_ci_u32_e32 v2, vcc_lo, v2, v120, vcc_lo
	v_add_co_u32 v1, vcc_lo, v1, v125
	s_delay_alu instid0(VALU_DEP_2) | instskip(SKIP_2) | instid1(VALU_DEP_4)
	v_add_co_ci_u32_e32 v2, vcc_lo, v2, v126, vcc_lo
	v_cmp_ne_u32_e32 vcc_lo, 31, v3
	v_add_co_ci_u32_e32 v4, vcc_lo, 0, v3, vcc_lo
	v_add_co_u32 v1, vcc_lo, v1, v123
	s_delay_alu instid0(VALU_DEP_4) | instskip(NEXT) | instid1(VALU_DEP_2)
	v_add_co_ci_u32_e32 v2, vcc_lo, v2, v124, vcc_lo
	v_add_co_u32 v1, vcc_lo, v1, v127
	s_delay_alu instid0(VALU_DEP_4) | instskip(NEXT) | instid1(VALU_DEP_3)
	v_lshlrev_b32_e32 v4, 2, v4
	v_add_co_ci_u32_e32 v2, vcc_lo, v2, v128, vcc_lo
	ds_bpermute_b32 v7, v4, v1
	ds_bpermute_b32 v6, v4, v2
	v_and_b32_e32 v4, 0x60, v0
	s_delay_alu instid0(VALU_DEP_1) | instskip(NEXT) | instid1(VALU_DEP_1)
	v_sub_nc_u32_e64 v4, s2, v4 clamp
	v_cmp_lt_u32_e32 vcc_lo, v5, v4
	v_mov_b32_e32 v5, v1
	s_and_saveexec_b32 s3, vcc_lo
	s_cbranch_execz .LBB115_430
; %bb.429:
	s_waitcnt lgkmcnt(1)
	v_add_co_u32 v5, vcc_lo, v1, v7
	v_add_co_ci_u32_e32 v2, vcc_lo, 0, v2, vcc_lo
	s_delay_alu instid0(VALU_DEP_2) | instskip(SKIP_1) | instid1(VALU_DEP_2)
	v_add_co_u32 v1, vcc_lo, 0, v5
	s_waitcnt lgkmcnt(0)
	v_add_co_ci_u32_e32 v2, vcc_lo, v6, v2, vcc_lo
.LBB115_430:
	s_or_b32 exec_lo, exec_lo, s3
	v_cmp_gt_u32_e32 vcc_lo, 30, v3
	v_add_nc_u32_e32 v8, 2, v3
	s_mov_b32 s3, exec_lo
	s_waitcnt lgkmcnt(0)
	v_cndmask_b32_e64 v6, 0, 1, vcc_lo
	s_delay_alu instid0(VALU_DEP_1) | instskip(NEXT) | instid1(VALU_DEP_1)
	v_lshlrev_b32_e32 v6, 1, v6
	v_add_lshl_u32 v6, v6, v3, 2
	ds_bpermute_b32 v7, v6, v5
	ds_bpermute_b32 v6, v6, v2
	v_cmpx_lt_u32_e64 v8, v4
	s_cbranch_execz .LBB115_432
; %bb.431:
	s_waitcnt lgkmcnt(1)
	v_add_co_u32 v5, vcc_lo, v1, v7
	v_add_co_ci_u32_e32 v2, vcc_lo, 0, v2, vcc_lo
	s_delay_alu instid0(VALU_DEP_2) | instskip(SKIP_1) | instid1(VALU_DEP_2)
	v_add_co_u32 v1, vcc_lo, 0, v5
	s_waitcnt lgkmcnt(0)
	v_add_co_ci_u32_e32 v2, vcc_lo, v6, v2, vcc_lo
.LBB115_432:
	s_or_b32 exec_lo, exec_lo, s3
	v_cmp_gt_u32_e32 vcc_lo, 28, v3
	v_add_nc_u32_e32 v8, 4, v3
	s_mov_b32 s3, exec_lo
	s_waitcnt lgkmcnt(0)
	v_cndmask_b32_e64 v6, 0, 1, vcc_lo
	s_delay_alu instid0(VALU_DEP_1) | instskip(NEXT) | instid1(VALU_DEP_1)
	v_lshlrev_b32_e32 v6, 2, v6
	v_add_lshl_u32 v6, v6, v3, 2
	ds_bpermute_b32 v7, v6, v5
	ds_bpermute_b32 v6, v6, v2
	v_cmpx_lt_u32_e64 v8, v4
	;; [unrolled: 22-line block ×3, first 2 shown]
	s_cbranch_execz .LBB115_436
; %bb.435:
	s_waitcnt lgkmcnt(1)
	v_add_co_u32 v5, vcc_lo, v1, v7
	v_add_co_ci_u32_e32 v2, vcc_lo, 0, v2, vcc_lo
	s_delay_alu instid0(VALU_DEP_2) | instskip(SKIP_1) | instid1(VALU_DEP_2)
	v_add_co_u32 v1, vcc_lo, 0, v5
	s_waitcnt lgkmcnt(0)
	v_add_co_ci_u32_e32 v2, vcc_lo, v6, v2, vcc_lo
.LBB115_436:
	s_or_b32 exec_lo, exec_lo, s3
	v_cmp_gt_u32_e32 vcc_lo, 16, v3
	s_mov_b32 s3, exec_lo
	s_waitcnt lgkmcnt(0)
	v_cndmask_b32_e64 v6, 0, 1, vcc_lo
	s_delay_alu instid0(VALU_DEP_1) | instskip(NEXT) | instid1(VALU_DEP_1)
	v_lshlrev_b32_e32 v6, 4, v6
	v_add_lshl_u32 v7, v6, v3, 2
	ds_bpermute_b32 v6, v7, v5
	ds_bpermute_b32 v5, v7, v2
	v_add_nc_u32_e32 v7, 16, v3
	s_delay_alu instid0(VALU_DEP_1)
	v_cmpx_lt_u32_e64 v7, v4
	s_cbranch_execz .LBB115_438
; %bb.437:
	s_waitcnt lgkmcnt(1)
	v_add_co_u32 v1, vcc_lo, v1, v6
	v_add_co_ci_u32_e32 v2, vcc_lo, 0, v2, vcc_lo
	s_delay_alu instid0(VALU_DEP_2) | instskip(SKIP_1) | instid1(VALU_DEP_2)
	v_add_co_u32 v1, vcc_lo, v1, 0
	s_waitcnt lgkmcnt(0)
	v_add_co_ci_u32_e32 v2, vcc_lo, v2, v5, vcc_lo
.LBB115_438:
	s_or_b32 exec_lo, exec_lo, s3
	s_delay_alu instid0(SALU_CYCLE_1)
	s_mov_b32 s3, exec_lo
	v_cmpx_eq_u32_e32 0, v3
	s_cbranch_execz .LBB115_440
; %bb.439:
	v_lshrrev_b32_e32 v4, 2, v0
	s_delay_alu instid0(VALU_DEP_1)
	v_and_b32_e32 v4, 24, v4
	ds_store_b64 v4, v[1:2] offset:256
.LBB115_440:
	s_or_b32 exec_lo, exec_lo, s3
	s_delay_alu instid0(SALU_CYCLE_1)
	s_mov_b32 s3, exec_lo
	s_waitcnt lgkmcnt(0)
	s_barrier
	buffer_gl0_inv
	v_cmpx_gt_u32_e32 4, v0
	s_cbranch_execz .LBB115_446
; %bb.441:
	v_lshlrev_b32_e32 v1, 3, v3
	s_add_i32 s2, s2, 31
	s_delay_alu instid0(SALU_CYCLE_1) | instskip(SKIP_2) | instid1(VALU_DEP_1)
	s_lshr_b32 s2, s2, 5
	ds_load_b64 v[1:2], v1 offset:256
	v_and_b32_e32 v4, 3, v3
	v_cmp_ne_u32_e32 vcc_lo, 3, v4
	v_add_co_ci_u32_e32 v5, vcc_lo, 0, v3, vcc_lo
	s_delay_alu instid0(VALU_DEP_1) | instskip(SKIP_4) | instid1(VALU_DEP_1)
	v_lshlrev_b32_e32 v5, 2, v5
	s_waitcnt lgkmcnt(0)
	ds_bpermute_b32 v7, v5, v1
	ds_bpermute_b32 v6, v5, v2
	v_add_nc_u32_e32 v5, 1, v4
	v_cmp_gt_u32_e32 vcc_lo, s2, v5
	v_mov_b32_e32 v5, v1
	s_and_saveexec_b32 s4, vcc_lo
	s_cbranch_execz .LBB115_443
; %bb.442:
	s_waitcnt lgkmcnt(1)
	v_add_co_u32 v5, vcc_lo, v1, v7
	v_add_co_ci_u32_e32 v2, vcc_lo, 0, v2, vcc_lo
	s_delay_alu instid0(VALU_DEP_2) | instskip(SKIP_1) | instid1(VALU_DEP_2)
	v_add_co_u32 v1, vcc_lo, 0, v5
	s_waitcnt lgkmcnt(0)
	v_add_co_ci_u32_e32 v2, vcc_lo, v6, v2, vcc_lo
.LBB115_443:
	s_or_b32 exec_lo, exec_lo, s4
	v_cmp_gt_u32_e32 vcc_lo, 2, v4
	v_add_nc_u32_e32 v4, 2, v4
	s_waitcnt lgkmcnt(0)
	v_cndmask_b32_e64 v6, 0, 1, vcc_lo
	s_delay_alu instid0(VALU_DEP_2) | instskip(NEXT) | instid1(VALU_DEP_2)
	v_cmp_gt_u32_e32 vcc_lo, s2, v4
	v_lshlrev_b32_e32 v6, 1, v6
	s_delay_alu instid0(VALU_DEP_1)
	v_add_lshl_u32 v3, v6, v3, 2
	ds_bpermute_b32 v5, v3, v5
	ds_bpermute_b32 v3, v3, v2
	s_and_saveexec_b32 s2, vcc_lo
	s_cbranch_execz .LBB115_445
; %bb.444:
	s_waitcnt lgkmcnt(1)
	v_add_co_u32 v1, vcc_lo, v1, v5
	v_add_co_ci_u32_e32 v2, vcc_lo, 0, v2, vcc_lo
	s_delay_alu instid0(VALU_DEP_2) | instskip(SKIP_1) | instid1(VALU_DEP_2)
	v_add_co_u32 v1, vcc_lo, v1, 0
	s_waitcnt lgkmcnt(0)
	v_add_co_ci_u32_e32 v2, vcc_lo, v2, v3, vcc_lo
.LBB115_445:
	s_or_b32 exec_lo, exec_lo, s2
.LBB115_446:
	s_delay_alu instid0(SALU_CYCLE_1)
	s_or_b32 exec_lo, exec_lo, s3
.LBB115_447:
	v_cmp_eq_u32_e64 s2, 0, v0
.LBB115_448:
	s_branch .LBB115_605
.LBB115_449:
	s_cmp_gt_i32 s26, 31
	s_cbranch_scc0 .LBB115_458
; %bb.450:
	s_cmp_eq_u32 s26, 32
                                        ; implicit-def: $vgpr1_vgpr2
	s_cbranch_scc0 .LBB115_459
; %bb.451:
	s_mov_b32 s19, 0
	s_lshl_b32 s6, s18, 12
	s_mov_b32 s7, s19
	s_lshr_b64 s[8:9], s[20:21], 12
	s_lshl_b64 s[2:3], s[6:7], 1
	s_delay_alu instid0(SALU_CYCLE_1)
	s_add_u32 s4, s24, s2
	s_addc_u32 s5, s25, s3
	s_cmp_lg_u64 s[8:9], s[18:19]
	s_cbranch_scc0 .LBB115_460
; %bb.452:
	v_lshlrev_b32_e32 v1, 1, v0
	s_waitcnt lgkmcnt(0)
	s_clause 0xf
	global_load_u16 v3, v1, s[4:5]
	global_load_u16 v4, v1, s[4:5] offset:256
	global_load_u16 v5, v1, s[4:5] offset:512
	global_load_u16 v6, v1, s[4:5] offset:768
	global_load_u16 v7, v1, s[4:5] offset:1024
	global_load_u16 v8, v1, s[4:5] offset:1280
	global_load_u16 v9, v1, s[4:5] offset:1536
	global_load_u16 v10, v1, s[4:5] offset:1792
	global_load_u16 v11, v1, s[4:5] offset:2048
	global_load_u16 v12, v1, s[4:5] offset:2304
	global_load_u16 v13, v1, s[4:5] offset:2560
	global_load_u16 v14, v1, s[4:5] offset:2816
	global_load_u16 v15, v1, s[4:5] offset:3072
	global_load_u16 v16, v1, s[4:5] offset:3328
	global_load_u16 v17, v1, s[4:5] offset:3584
	global_load_u16 v19, v1, s[4:5] offset:3840
	v_add_co_u32 v2, s2, s4, v1
	s_delay_alu instid0(VALU_DEP_1) | instskip(NEXT) | instid1(VALU_DEP_2)
	v_add_co_ci_u32_e64 v18, null, s5, 0, s2
	v_add_co_u32 v1, vcc_lo, 0x1000, v2
	s_delay_alu instid0(VALU_DEP_2)
	v_add_co_ci_u32_e32 v2, vcc_lo, 0, v18, vcc_lo
	s_clause 0xf
	global_load_u16 v18, v[1:2], off
	global_load_u16 v20, v[1:2], off offset:256
	global_load_u16 v21, v[1:2], off offset:512
	;; [unrolled: 1-line block ×15, first 2 shown]
	s_waitcnt vmcnt(31)
	v_cmp_ne_u16_e32 vcc_lo, 0, v3
	v_cndmask_b32_e64 v2, 0, 1, vcc_lo
	s_waitcnt vmcnt(30)
	v_cmp_ne_u16_e32 vcc_lo, 0, v4
	v_cndmask_b32_e64 v3, 0, 1, vcc_lo
	s_waitcnt vmcnt(29)
	v_cmp_ne_u16_e32 vcc_lo, 0, v5
	s_delay_alu instid0(VALU_DEP_2)
	v_add_co_u32 v2, s2, v3, v2
	v_cndmask_b32_e64 v4, 0, 1, vcc_lo
	s_waitcnt vmcnt(28)
	v_cmp_ne_u16_e32 vcc_lo, 0, v6
	v_add_co_ci_u32_e64 v5, null, 0, 0, s2
	s_waitcnt vmcnt(27)
	v_cmp_ne_u16_e64 s2, 0, v7
	v_cndmask_b32_e64 v3, 0, 1, vcc_lo
	v_add_co_u32 v2, vcc_lo, v2, v4
	v_add_co_ci_u32_e32 v5, vcc_lo, 0, v5, vcc_lo
	s_delay_alu instid0(VALU_DEP_4) | instskip(NEXT) | instid1(VALU_DEP_3)
	v_cndmask_b32_e64 v4, 0, 1, s2
	v_add_co_u32 v2, vcc_lo, v2, v3
	s_waitcnt vmcnt(26)
	v_cmp_ne_u16_e64 s2, 0, v8
	v_add_co_ci_u32_e32 v5, vcc_lo, 0, v5, vcc_lo
	s_delay_alu instid0(VALU_DEP_3) | instskip(NEXT) | instid1(VALU_DEP_3)
	v_add_co_u32 v2, vcc_lo, v2, v4
	v_cndmask_b32_e64 v3, 0, 1, s2
	s_waitcnt vmcnt(25)
	v_cmp_ne_u16_e64 s2, 0, v9
	v_add_co_ci_u32_e32 v5, vcc_lo, 0, v5, vcc_lo
	s_delay_alu instid0(VALU_DEP_3) | instskip(NEXT) | instid1(VALU_DEP_3)
	v_add_co_u32 v2, vcc_lo, v2, v3
	v_cndmask_b32_e64 v4, 0, 1, s2
	;; [unrolled: 6-line block ×26, first 2 shown]
	s_waitcnt vmcnt(0)
	v_cmp_ne_u16_e64 s2, 0, v1
	v_add_co_ci_u32_e32 v3, vcc_lo, 0, v5, vcc_lo
	s_delay_alu instid0(VALU_DEP_3) | instskip(SKIP_1) | instid1(VALU_DEP_4)
	v_add_co_u32 v2, vcc_lo, v2, v4
	v_mov_b32_e32 v4, 0
	v_cndmask_b32_e64 v1, 0, 1, s2
	s_delay_alu instid0(VALU_DEP_4) | instskip(SKIP_1) | instid1(VALU_DEP_2)
	v_add_co_ci_u32_e32 v3, vcc_lo, 0, v3, vcc_lo
	s_mov_b32 s2, exec_lo
	v_add_co_u32 v1, vcc_lo, v2, v1
	s_delay_alu instid0(VALU_DEP_2) | instskip(NEXT) | instid1(VALU_DEP_2)
	v_add_co_ci_u32_e32 v2, vcc_lo, 0, v3, vcc_lo
	v_mov_b32_dpp v3, v1 quad_perm:[1,0,3,2] row_mask:0xf bank_mask:0xf
	s_delay_alu instid0(VALU_DEP_1) | instskip(SKIP_1) | instid1(VALU_DEP_4)
	v_add_co_u32 v1, vcc_lo, v1, v3
	v_mov_b32_dpp v3, v4 quad_perm:[1,0,3,2] row_mask:0xf bank_mask:0xf
	v_add_co_ci_u32_e32 v2, vcc_lo, 0, v2, vcc_lo
	s_delay_alu instid0(VALU_DEP_3) | instskip(SKIP_1) | instid1(VALU_DEP_3)
	v_mov_b32_dpp v5, v1 quad_perm:[2,3,0,1] row_mask:0xf bank_mask:0xf
	v_add_co_u32 v1, vcc_lo, 0, v1
	v_add_co_ci_u32_e32 v2, vcc_lo, v3, v2, vcc_lo
	s_delay_alu instid0(VALU_DEP_2) | instskip(NEXT) | instid1(VALU_DEP_2)
	v_add_co_u32 v1, vcc_lo, v1, v5
	v_mov_b32_dpp v3, v2 quad_perm:[2,3,0,1] row_mask:0xf bank_mask:0xf
	v_add_co_ci_u32_e32 v2, vcc_lo, 0, v2, vcc_lo
	s_delay_alu instid0(VALU_DEP_3) | instskip(SKIP_1) | instid1(VALU_DEP_3)
	v_mov_b32_dpp v5, v1 row_ror:4 row_mask:0xf bank_mask:0xf
	v_add_co_u32 v1, vcc_lo, v1, 0
	v_add_co_ci_u32_e32 v2, vcc_lo, v2, v3, vcc_lo
	s_delay_alu instid0(VALU_DEP_2) | instskip(NEXT) | instid1(VALU_DEP_2)
	v_add_co_u32 v1, vcc_lo, v1, v5
	v_mov_b32_dpp v3, v2 row_ror:4 row_mask:0xf bank_mask:0xf
	v_add_co_ci_u32_e32 v2, vcc_lo, 0, v2, vcc_lo
	s_delay_alu instid0(VALU_DEP_3) | instskip(SKIP_1) | instid1(VALU_DEP_3)
	v_mov_b32_dpp v5, v1 row_ror:8 row_mask:0xf bank_mask:0xf
	v_add_co_u32 v1, vcc_lo, v1, 0
	v_add_co_ci_u32_e32 v2, vcc_lo, v2, v3, vcc_lo
	s_delay_alu instid0(VALU_DEP_2) | instskip(NEXT) | instid1(VALU_DEP_2)
	v_add_co_u32 v1, vcc_lo, v1, v5
	v_mov_b32_dpp v3, v2 row_ror:8 row_mask:0xf bank_mask:0xf
	v_add_co_ci_u32_e32 v2, vcc_lo, 0, v2, vcc_lo
	ds_swizzle_b32 v5, v1 offset:swizzle(BROADCAST,32,15)
	v_add_co_u32 v1, vcc_lo, v1, 0
	v_add_co_ci_u32_e32 v2, vcc_lo, v2, v3, vcc_lo
	ds_swizzle_b32 v3, v2 offset:swizzle(BROADCAST,32,15)
	s_waitcnt lgkmcnt(1)
	v_add_co_u32 v1, vcc_lo, v1, v5
	v_add_co_ci_u32_e32 v2, vcc_lo, 0, v2, vcc_lo
	ds_bpermute_b32 v1, v4, v1 offset:124
	s_waitcnt lgkmcnt(1)
	v_add_nc_u32_e32 v2, v3, v2
	v_mbcnt_lo_u32_b32 v3, -1, 0
	ds_bpermute_b32 v2, v4, v2 offset:124
	v_cmpx_eq_u32_e32 0, v3
	s_cbranch_execz .LBB115_454
; %bb.453:
	v_lshrrev_b32_e32 v4, 2, v0
	s_delay_alu instid0(VALU_DEP_1)
	v_and_b32_e32 v4, 24, v4
	s_waitcnt lgkmcnt(0)
	ds_store_b64 v4, v[1:2] offset:128
.LBB115_454:
	s_or_b32 exec_lo, exec_lo, s2
	s_delay_alu instid0(SALU_CYCLE_1)
	s_mov_b32 s2, exec_lo
	s_waitcnt lgkmcnt(0)
	s_barrier
	buffer_gl0_inv
	v_cmpx_gt_u32_e32 32, v0
	s_cbranch_execz .LBB115_456
; %bb.455:
	v_and_b32_e32 v4, 3, v3
	s_delay_alu instid0(VALU_DEP_1) | instskip(SKIP_4) | instid1(VALU_DEP_2)
	v_lshlrev_b32_e32 v1, 3, v4
	v_cmp_ne_u32_e32 vcc_lo, 3, v4
	ds_load_b64 v[1:2], v1 offset:128
	v_add_co_ci_u32_e32 v5, vcc_lo, 0, v3, vcc_lo
	v_cmp_gt_u32_e32 vcc_lo, 2, v4
	v_lshlrev_b32_e32 v5, 2, v5
	v_cndmask_b32_e64 v4, 0, 1, vcc_lo
	s_delay_alu instid0(VALU_DEP_1) | instskip(NEXT) | instid1(VALU_DEP_1)
	v_lshlrev_b32_e32 v4, 1, v4
	v_add_lshl_u32 v3, v4, v3, 2
	s_waitcnt lgkmcnt(0)
	ds_bpermute_b32 v6, v5, v1
	ds_bpermute_b32 v5, v5, v2
	s_waitcnt lgkmcnt(1)
	v_add_co_u32 v1, vcc_lo, v1, v6
	v_add_co_ci_u32_e32 v2, vcc_lo, 0, v2, vcc_lo
	ds_bpermute_b32 v4, v3, v1
	v_add_co_u32 v1, vcc_lo, 0, v1
	s_waitcnt lgkmcnt(1)
	v_add_co_ci_u32_e32 v2, vcc_lo, v5, v2, vcc_lo
	ds_bpermute_b32 v3, v3, v2
	s_waitcnt lgkmcnt(1)
	v_add_co_u32 v1, vcc_lo, v1, v4
	v_add_co_ci_u32_e32 v2, vcc_lo, 0, v2, vcc_lo
	s_delay_alu instid0(VALU_DEP_2) | instskip(SKIP_1) | instid1(VALU_DEP_2)
	v_add_co_u32 v1, vcc_lo, v1, 0
	s_waitcnt lgkmcnt(0)
	v_add_co_ci_u32_e32 v2, vcc_lo, v2, v3, vcc_lo
.LBB115_456:
	s_or_b32 exec_lo, exec_lo, s2
.LBB115_457:
	v_cmp_eq_u32_e64 s2, 0, v0
	s_branch .LBB115_605
.LBB115_458:
                                        ; implicit-def: $vgpr1_vgpr2
	s_cbranch_execnz .LBB115_544
	s_branch .LBB115_605
.LBB115_459:
	s_branch .LBB115_605
.LBB115_460:
                                        ; implicit-def: $vgpr1_vgpr2
	s_cbranch_execz .LBB115_457
; %bb.461:
	s_sub_i32 s2, s20, s6
	s_mov_b32 s3, exec_lo
                                        ; implicit-def: $vgpr1_vgpr2
	v_cmpx_gt_u32_e64 s2, v0
	s_cbranch_execz .LBB115_463
; %bb.462:
	s_mov_b32 s6, 0
	s_delay_alu instid0(SALU_CYCLE_1)
	v_dual_mov_b32 v2, s6 :: v_dual_lshlrev_b32 v1, 1, v0
	global_load_u16 v1, v1, s[4:5]
	s_waitcnt vmcnt(0)
	v_cmp_ne_u16_e32 vcc_lo, 0, v1
	v_cndmask_b32_e64 v1, 0, 1, vcc_lo
.LBB115_463:
	s_or_b32 exec_lo, exec_lo, s3
	s_waitcnt lgkmcnt(0)
	v_mov_b32_e32 v3, 0
	v_or_b32_e32 v5, 0x80, v0
	v_mov_b32_e32 v4, 0
	s_delay_alu instid0(VALU_DEP_2) | instskip(NEXT) | instid1(VALU_DEP_2)
	v_cmp_gt_u32_e32 vcc_lo, s2, v5
	v_dual_mov_b32 v6, v4 :: v_dual_mov_b32 v5, v3
	s_and_saveexec_b32 s3, vcc_lo
	s_cbranch_execz .LBB115_465
; %bb.464:
	s_mov_b32 s6, 0
	s_delay_alu instid0(SALU_CYCLE_1)
	v_dual_mov_b32 v6, s6 :: v_dual_lshlrev_b32 v5, 1, v0
	global_load_u16 v5, v5, s[4:5] offset:256
	s_waitcnt vmcnt(0)
	v_cmp_ne_u16_e32 vcc_lo, 0, v5
	v_cndmask_b32_e64 v5, 0, 1, vcc_lo
.LBB115_465:
	s_or_b32 exec_lo, exec_lo, s3
	v_or_b32_e32 v7, 0x100, v0
	s_mov_b32 s3, exec_lo
	s_delay_alu instid0(VALU_DEP_1)
	v_cmpx_gt_u32_e64 s2, v7
	s_cbranch_execz .LBB115_467
; %bb.466:
	s_mov_b32 s6, 0
	s_delay_alu instid0(SALU_CYCLE_1)
	v_dual_mov_b32 v4, s6 :: v_dual_lshlrev_b32 v3, 1, v0
	global_load_u16 v3, v3, s[4:5] offset:512
	s_waitcnt vmcnt(0)
	v_cmp_ne_u16_e32 vcc_lo, 0, v3
	v_cndmask_b32_e64 v3, 0, 1, vcc_lo
.LBB115_467:
	s_or_b32 exec_lo, exec_lo, s3
	v_mov_b32_e32 v7, 0
	v_or_b32_e32 v9, 0x180, v0
	v_mov_b32_e32 v8, 0
	s_delay_alu instid0(VALU_DEP_2) | instskip(NEXT) | instid1(VALU_DEP_2)
	v_cmp_gt_u32_e32 vcc_lo, s2, v9
	v_dual_mov_b32 v10, v8 :: v_dual_mov_b32 v9, v7
	s_and_saveexec_b32 s3, vcc_lo
	s_cbranch_execz .LBB115_469
; %bb.468:
	s_mov_b32 s6, 0
	s_delay_alu instid0(SALU_CYCLE_1)
	v_dual_mov_b32 v10, s6 :: v_dual_lshlrev_b32 v9, 1, v0
	global_load_u16 v9, v9, s[4:5] offset:768
	s_waitcnt vmcnt(0)
	v_cmp_ne_u16_e32 vcc_lo, 0, v9
	v_cndmask_b32_e64 v9, 0, 1, vcc_lo
.LBB115_469:
	s_or_b32 exec_lo, exec_lo, s3
	v_or_b32_e32 v11, 0x200, v0
	s_mov_b32 s3, exec_lo
	s_delay_alu instid0(VALU_DEP_1)
	v_cmpx_gt_u32_e64 s2, v11
	s_cbranch_execz .LBB115_471
; %bb.470:
	s_mov_b32 s6, 0
	s_delay_alu instid0(SALU_CYCLE_1)
	v_dual_mov_b32 v8, s6 :: v_dual_lshlrev_b32 v7, 1, v0
	global_load_u16 v7, v7, s[4:5] offset:1024
	s_waitcnt vmcnt(0)
	v_cmp_ne_u16_e32 vcc_lo, 0, v7
	v_cndmask_b32_e64 v7, 0, 1, vcc_lo
.LBB115_471:
	s_or_b32 exec_lo, exec_lo, s3
	;; [unrolled: 33-line block ×7, first 2 shown]
	v_mov_b32_e32 v31, 0
	v_or_b32_e32 v33, 0x780, v0
	v_mov_b32_e32 v32, 0
	s_delay_alu instid0(VALU_DEP_2) | instskip(NEXT) | instid1(VALU_DEP_2)
	v_cmp_gt_u32_e32 vcc_lo, s2, v33
	v_dual_mov_b32 v34, v32 :: v_dual_mov_b32 v33, v31
	s_and_saveexec_b32 s3, vcc_lo
	s_cbranch_execz .LBB115_493
; %bb.492:
	s_mov_b32 s6, 0
	s_delay_alu instid0(SALU_CYCLE_1)
	v_dual_mov_b32 v34, s6 :: v_dual_lshlrev_b32 v33, 1, v0
	global_load_u16 v33, v33, s[4:5] offset:3840
	s_waitcnt vmcnt(0)
	v_cmp_ne_u16_e32 vcc_lo, 0, v33
	v_cndmask_b32_e64 v33, 0, 1, vcc_lo
.LBB115_493:
	s_or_b32 exec_lo, exec_lo, s3
	v_or_b32_e32 v35, 0x800, v0
	s_mov_b32 s3, exec_lo
	s_delay_alu instid0(VALU_DEP_1)
	v_cmpx_gt_u32_e64 s2, v35
	s_cbranch_execz .LBB115_495
; %bb.494:
	s_mov_b32 s6, 0
	s_delay_alu instid0(SALU_CYCLE_1)
	v_dual_mov_b32 v32, s6 :: v_dual_lshlrev_b32 v31, 1, v35
	global_load_u16 v31, v31, s[4:5]
	s_waitcnt vmcnt(0)
	v_cmp_ne_u16_e32 vcc_lo, 0, v31
	v_cndmask_b32_e64 v31, 0, 1, vcc_lo
.LBB115_495:
	s_or_b32 exec_lo, exec_lo, s3
	v_mov_b32_e32 v35, 0
	v_mov_b32_e32 v36, 0
	v_or_b32_e32 v39, 0x880, v0
	s_mov_b32 s3, exec_lo
	s_delay_alu instid0(VALU_DEP_2) | instskip(NEXT) | instid1(VALU_DEP_2)
	v_dual_mov_b32 v38, v36 :: v_dual_mov_b32 v37, v35
	v_cmpx_gt_u32_e64 s2, v39
	s_cbranch_execz .LBB115_497
; %bb.496:
	s_mov_b32 s6, 0
	s_delay_alu instid0(SALU_CYCLE_1)
	v_dual_mov_b32 v38, s6 :: v_dual_lshlrev_b32 v37, 1, v39
	global_load_u16 v37, v37, s[4:5]
	s_waitcnt vmcnt(0)
	v_cmp_ne_u16_e32 vcc_lo, 0, v37
	v_cndmask_b32_e64 v37, 0, 1, vcc_lo
.LBB115_497:
	s_or_b32 exec_lo, exec_lo, s3
	v_or_b32_e32 v39, 0x900, v0
	s_mov_b32 s3, exec_lo
	s_delay_alu instid0(VALU_DEP_1)
	v_cmpx_gt_u32_e64 s2, v39
	s_cbranch_execz .LBB115_499
; %bb.498:
	s_mov_b32 s6, 0
	s_delay_alu instid0(SALU_CYCLE_1)
	v_dual_mov_b32 v36, s6 :: v_dual_lshlrev_b32 v35, 1, v39
	global_load_u16 v35, v35, s[4:5]
	s_waitcnt vmcnt(0)
	v_cmp_ne_u16_e32 vcc_lo, 0, v35
	v_cndmask_b32_e64 v35, 0, 1, vcc_lo
.LBB115_499:
	s_or_b32 exec_lo, exec_lo, s3
	v_mov_b32_e32 v39, 0
	v_mov_b32_e32 v40, 0
	v_or_b32_e32 v43, 0x980, v0
	s_mov_b32 s3, exec_lo
	s_delay_alu instid0(VALU_DEP_2) | instskip(NEXT) | instid1(VALU_DEP_2)
	v_dual_mov_b32 v42, v40 :: v_dual_mov_b32 v41, v39
	v_cmpx_gt_u32_e64 s2, v43
	s_cbranch_execz .LBB115_501
; %bb.500:
	s_mov_b32 s6, 0
	s_delay_alu instid0(SALU_CYCLE_1)
	v_dual_mov_b32 v42, s6 :: v_dual_lshlrev_b32 v41, 1, v43
	global_load_u16 v41, v41, s[4:5]
	s_waitcnt vmcnt(0)
	v_cmp_ne_u16_e32 vcc_lo, 0, v41
	v_cndmask_b32_e64 v41, 0, 1, vcc_lo
.LBB115_501:
	;; [unrolled: 33-line block ×7, first 2 shown]
	s_or_b32 exec_lo, exec_lo, s3
	v_or_b32_e32 v63, 0xf00, v0
	s_mov_b32 s3, exec_lo
	s_delay_alu instid0(VALU_DEP_1)
	v_cmpx_gt_u32_e64 s2, v63
	s_cbranch_execz .LBB115_523
; %bb.522:
	s_mov_b32 s6, 0
	s_delay_alu instid0(SALU_CYCLE_1)
	v_dual_mov_b32 v60, s6 :: v_dual_lshlrev_b32 v59, 1, v63
	global_load_u16 v59, v59, s[4:5]
	s_waitcnt vmcnt(0)
	v_cmp_ne_u16_e32 vcc_lo, 0, v59
	v_cndmask_b32_e64 v59, 0, 1, vcc_lo
.LBB115_523:
	s_or_b32 exec_lo, exec_lo, s3
	v_mov_b32_e32 v63, 0
	v_or_b32_e32 v65, 0xf80, v0
	v_mov_b32_e32 v64, 0
	s_mov_b32 s3, exec_lo
	s_delay_alu instid0(VALU_DEP_2)
	v_cmpx_gt_u32_e64 s2, v65
	s_cbranch_execz .LBB115_525
; %bb.524:
	v_lshlrev_b32_e32 v63, 1, v65
	global_load_u16 v63, v63, s[4:5]
	s_mov_b32 s4, 0
	s_delay_alu instid0(SALU_CYCLE_1)
	v_mov_b32_e32 v64, s4
	s_waitcnt vmcnt(0)
	v_cmp_ne_u16_e32 vcc_lo, 0, v63
	v_cndmask_b32_e64 v63, 0, 1, vcc_lo
.LBB115_525:
	s_or_b32 exec_lo, exec_lo, s3
	v_add_co_u32 v1, vcc_lo, v5, v1
	v_add_co_ci_u32_e32 v2, vcc_lo, v6, v2, vcc_lo
	s_min_u32 s2, s2, 0x80
	s_delay_alu instid0(VALU_DEP_2) | instskip(NEXT) | instid1(VALU_DEP_2)
	v_add_co_u32 v1, vcc_lo, v1, v3
	v_add_co_ci_u32_e32 v2, vcc_lo, v2, v4, vcc_lo
	v_mbcnt_lo_u32_b32 v3, -1, 0
	s_delay_alu instid0(VALU_DEP_3) | instskip(NEXT) | instid1(VALU_DEP_3)
	v_add_co_u32 v1, vcc_lo, v1, v9
	v_add_co_ci_u32_e32 v2, vcc_lo, v2, v10, vcc_lo
	s_delay_alu instid0(VALU_DEP_3) | instskip(NEXT) | instid1(VALU_DEP_3)
	v_add_nc_u32_e32 v5, 1, v3
	v_add_co_u32 v1, vcc_lo, v1, v7
	s_delay_alu instid0(VALU_DEP_3) | instskip(NEXT) | instid1(VALU_DEP_2)
	v_add_co_ci_u32_e32 v2, vcc_lo, v2, v8, vcc_lo
	v_add_co_u32 v1, vcc_lo, v1, v13
	s_delay_alu instid0(VALU_DEP_2) | instskip(NEXT) | instid1(VALU_DEP_2)
	v_add_co_ci_u32_e32 v2, vcc_lo, v2, v14, vcc_lo
	v_add_co_u32 v1, vcc_lo, v1, v11
	s_delay_alu instid0(VALU_DEP_2) | instskip(NEXT) | instid1(VALU_DEP_2)
	;; [unrolled: 3-line block ×24, first 2 shown]
	v_add_co_ci_u32_e32 v2, vcc_lo, v2, v56, vcc_lo
	v_add_co_u32 v1, vcc_lo, v1, v61
	s_delay_alu instid0(VALU_DEP_2) | instskip(SKIP_2) | instid1(VALU_DEP_4)
	v_add_co_ci_u32_e32 v2, vcc_lo, v2, v62, vcc_lo
	v_cmp_ne_u32_e32 vcc_lo, 31, v3
	v_add_co_ci_u32_e32 v4, vcc_lo, 0, v3, vcc_lo
	v_add_co_u32 v1, vcc_lo, v1, v59
	s_delay_alu instid0(VALU_DEP_4) | instskip(NEXT) | instid1(VALU_DEP_2)
	v_add_co_ci_u32_e32 v2, vcc_lo, v2, v60, vcc_lo
	v_add_co_u32 v1, vcc_lo, v1, v63
	s_delay_alu instid0(VALU_DEP_4) | instskip(NEXT) | instid1(VALU_DEP_3)
	v_lshlrev_b32_e32 v4, 2, v4
	v_add_co_ci_u32_e32 v2, vcc_lo, v2, v64, vcc_lo
	ds_bpermute_b32 v7, v4, v1
	ds_bpermute_b32 v6, v4, v2
	v_and_b32_e32 v4, 0x60, v0
	s_delay_alu instid0(VALU_DEP_1) | instskip(NEXT) | instid1(VALU_DEP_1)
	v_sub_nc_u32_e64 v4, s2, v4 clamp
	v_cmp_lt_u32_e32 vcc_lo, v5, v4
	v_mov_b32_e32 v5, v1
	s_and_saveexec_b32 s3, vcc_lo
	s_cbranch_execz .LBB115_527
; %bb.526:
	s_waitcnt lgkmcnt(1)
	v_add_co_u32 v5, vcc_lo, v1, v7
	v_add_co_ci_u32_e32 v2, vcc_lo, 0, v2, vcc_lo
	s_delay_alu instid0(VALU_DEP_2) | instskip(SKIP_1) | instid1(VALU_DEP_2)
	v_add_co_u32 v1, vcc_lo, 0, v5
	s_waitcnt lgkmcnt(0)
	v_add_co_ci_u32_e32 v2, vcc_lo, v6, v2, vcc_lo
.LBB115_527:
	s_or_b32 exec_lo, exec_lo, s3
	v_cmp_gt_u32_e32 vcc_lo, 30, v3
	v_add_nc_u32_e32 v8, 2, v3
	s_mov_b32 s3, exec_lo
	s_waitcnt lgkmcnt(0)
	v_cndmask_b32_e64 v6, 0, 1, vcc_lo
	s_delay_alu instid0(VALU_DEP_1) | instskip(NEXT) | instid1(VALU_DEP_1)
	v_lshlrev_b32_e32 v6, 1, v6
	v_add_lshl_u32 v6, v6, v3, 2
	ds_bpermute_b32 v7, v6, v5
	ds_bpermute_b32 v6, v6, v2
	v_cmpx_lt_u32_e64 v8, v4
	s_cbranch_execz .LBB115_529
; %bb.528:
	s_waitcnt lgkmcnt(1)
	v_add_co_u32 v5, vcc_lo, v1, v7
	v_add_co_ci_u32_e32 v2, vcc_lo, 0, v2, vcc_lo
	s_delay_alu instid0(VALU_DEP_2) | instskip(SKIP_1) | instid1(VALU_DEP_2)
	v_add_co_u32 v1, vcc_lo, 0, v5
	s_waitcnt lgkmcnt(0)
	v_add_co_ci_u32_e32 v2, vcc_lo, v6, v2, vcc_lo
.LBB115_529:
	s_or_b32 exec_lo, exec_lo, s3
	v_cmp_gt_u32_e32 vcc_lo, 28, v3
	v_add_nc_u32_e32 v8, 4, v3
	s_mov_b32 s3, exec_lo
	s_waitcnt lgkmcnt(0)
	v_cndmask_b32_e64 v6, 0, 1, vcc_lo
	s_delay_alu instid0(VALU_DEP_1) | instskip(NEXT) | instid1(VALU_DEP_1)
	v_lshlrev_b32_e32 v6, 2, v6
	v_add_lshl_u32 v6, v6, v3, 2
	ds_bpermute_b32 v7, v6, v5
	ds_bpermute_b32 v6, v6, v2
	v_cmpx_lt_u32_e64 v8, v4
	;; [unrolled: 22-line block ×3, first 2 shown]
	s_cbranch_execz .LBB115_533
; %bb.532:
	s_waitcnt lgkmcnt(1)
	v_add_co_u32 v5, vcc_lo, v1, v7
	v_add_co_ci_u32_e32 v2, vcc_lo, 0, v2, vcc_lo
	s_delay_alu instid0(VALU_DEP_2) | instskip(SKIP_1) | instid1(VALU_DEP_2)
	v_add_co_u32 v1, vcc_lo, 0, v5
	s_waitcnt lgkmcnt(0)
	v_add_co_ci_u32_e32 v2, vcc_lo, v6, v2, vcc_lo
.LBB115_533:
	s_or_b32 exec_lo, exec_lo, s3
	v_cmp_gt_u32_e32 vcc_lo, 16, v3
	s_mov_b32 s3, exec_lo
	s_waitcnt lgkmcnt(0)
	v_cndmask_b32_e64 v6, 0, 1, vcc_lo
	s_delay_alu instid0(VALU_DEP_1) | instskip(NEXT) | instid1(VALU_DEP_1)
	v_lshlrev_b32_e32 v6, 4, v6
	v_add_lshl_u32 v7, v6, v3, 2
	ds_bpermute_b32 v6, v7, v5
	ds_bpermute_b32 v5, v7, v2
	v_add_nc_u32_e32 v7, 16, v3
	s_delay_alu instid0(VALU_DEP_1)
	v_cmpx_lt_u32_e64 v7, v4
	s_cbranch_execz .LBB115_535
; %bb.534:
	s_waitcnt lgkmcnt(1)
	v_add_co_u32 v1, vcc_lo, v1, v6
	v_add_co_ci_u32_e32 v2, vcc_lo, 0, v2, vcc_lo
	s_delay_alu instid0(VALU_DEP_2) | instskip(SKIP_1) | instid1(VALU_DEP_2)
	v_add_co_u32 v1, vcc_lo, v1, 0
	s_waitcnt lgkmcnt(0)
	v_add_co_ci_u32_e32 v2, vcc_lo, v2, v5, vcc_lo
.LBB115_535:
	s_or_b32 exec_lo, exec_lo, s3
	s_delay_alu instid0(SALU_CYCLE_1)
	s_mov_b32 s3, exec_lo
	v_cmpx_eq_u32_e32 0, v3
	s_cbranch_execz .LBB115_537
; %bb.536:
	v_lshrrev_b32_e32 v4, 2, v0
	s_delay_alu instid0(VALU_DEP_1)
	v_and_b32_e32 v4, 24, v4
	ds_store_b64 v4, v[1:2] offset:256
.LBB115_537:
	s_or_b32 exec_lo, exec_lo, s3
	s_delay_alu instid0(SALU_CYCLE_1)
	s_mov_b32 s3, exec_lo
	s_waitcnt lgkmcnt(0)
	s_barrier
	buffer_gl0_inv
	v_cmpx_gt_u32_e32 4, v0
	s_cbranch_execz .LBB115_543
; %bb.538:
	v_lshlrev_b32_e32 v1, 3, v3
	s_add_i32 s2, s2, 31
	s_delay_alu instid0(SALU_CYCLE_1) | instskip(SKIP_2) | instid1(VALU_DEP_1)
	s_lshr_b32 s2, s2, 5
	ds_load_b64 v[1:2], v1 offset:256
	v_and_b32_e32 v4, 3, v3
	v_cmp_ne_u32_e32 vcc_lo, 3, v4
	v_add_co_ci_u32_e32 v5, vcc_lo, 0, v3, vcc_lo
	s_delay_alu instid0(VALU_DEP_1) | instskip(SKIP_4) | instid1(VALU_DEP_1)
	v_lshlrev_b32_e32 v5, 2, v5
	s_waitcnt lgkmcnt(0)
	ds_bpermute_b32 v7, v5, v1
	ds_bpermute_b32 v6, v5, v2
	v_add_nc_u32_e32 v5, 1, v4
	v_cmp_gt_u32_e32 vcc_lo, s2, v5
	v_mov_b32_e32 v5, v1
	s_and_saveexec_b32 s4, vcc_lo
	s_cbranch_execz .LBB115_540
; %bb.539:
	s_waitcnt lgkmcnt(1)
	v_add_co_u32 v5, vcc_lo, v1, v7
	v_add_co_ci_u32_e32 v2, vcc_lo, 0, v2, vcc_lo
	s_delay_alu instid0(VALU_DEP_2) | instskip(SKIP_1) | instid1(VALU_DEP_2)
	v_add_co_u32 v1, vcc_lo, 0, v5
	s_waitcnt lgkmcnt(0)
	v_add_co_ci_u32_e32 v2, vcc_lo, v6, v2, vcc_lo
.LBB115_540:
	s_or_b32 exec_lo, exec_lo, s4
	v_cmp_gt_u32_e32 vcc_lo, 2, v4
	v_add_nc_u32_e32 v4, 2, v4
	s_waitcnt lgkmcnt(0)
	v_cndmask_b32_e64 v6, 0, 1, vcc_lo
	s_delay_alu instid0(VALU_DEP_2) | instskip(NEXT) | instid1(VALU_DEP_2)
	v_cmp_gt_u32_e32 vcc_lo, s2, v4
	v_lshlrev_b32_e32 v6, 1, v6
	s_delay_alu instid0(VALU_DEP_1)
	v_add_lshl_u32 v3, v6, v3, 2
	ds_bpermute_b32 v5, v3, v5
	ds_bpermute_b32 v3, v3, v2
	s_and_saveexec_b32 s2, vcc_lo
	s_cbranch_execz .LBB115_542
; %bb.541:
	s_waitcnt lgkmcnt(1)
	v_add_co_u32 v1, vcc_lo, v1, v5
	v_add_co_ci_u32_e32 v2, vcc_lo, 0, v2, vcc_lo
	s_delay_alu instid0(VALU_DEP_2) | instskip(SKIP_1) | instid1(VALU_DEP_2)
	v_add_co_u32 v1, vcc_lo, v1, 0
	s_waitcnt lgkmcnt(0)
	v_add_co_ci_u32_e32 v2, vcc_lo, v2, v3, vcc_lo
.LBB115_542:
	s_or_b32 exec_lo, exec_lo, s2
.LBB115_543:
	s_delay_alu instid0(SALU_CYCLE_1)
	s_or_b32 exec_lo, exec_lo, s3
	v_cmp_eq_u32_e64 s2, 0, v0
	s_branch .LBB115_605
.LBB115_544:
	s_cmp_eq_u32 s26, 16
                                        ; implicit-def: $vgpr1_vgpr2
	s_cbranch_scc0 .LBB115_605
; %bb.545:
	s_mov_b32 s19, 0
	s_lshl_b32 s4, s18, 11
	s_mov_b32 s5, s19
	s_lshr_b64 s[6:7], s[20:21], 11
	s_lshl_b64 s[2:3], s[4:5], 1
	s_delay_alu instid0(SALU_CYCLE_1)
	s_add_u32 s16, s24, s2
	s_addc_u32 s17, s25, s3
	s_cmp_lg_u64 s[6:7], s[18:19]
	s_cbranch_scc0 .LBB115_551
; %bb.546:
	v_lshlrev_b32_e32 v1, 1, v0
	global_load_u16 v2, v1, s[16:17]
	s_waitcnt lgkmcnt(0)
	s_clause 0xe
	global_load_u16 v3, v1, s[16:17] offset:256
	global_load_u16 v4, v1, s[16:17] offset:512
	;; [unrolled: 1-line block ×15, first 2 shown]
	s_waitcnt vmcnt(15)
	v_cmp_ne_u16_e32 vcc_lo, 0, v2
	v_cndmask_b32_e64 v2, 0, 1, vcc_lo
	s_waitcnt vmcnt(14)
	v_cmp_ne_u16_e32 vcc_lo, 0, v3
	v_cndmask_b32_e64 v3, 0, 1, vcc_lo
	s_waitcnt vmcnt(13)
	v_cmp_ne_u16_e32 vcc_lo, 0, v4
	s_delay_alu instid0(VALU_DEP_2)
	v_add_co_u32 v2, s2, v3, v2
	v_cndmask_b32_e64 v4, 0, 1, vcc_lo
	s_waitcnt vmcnt(12)
	v_cmp_ne_u16_e32 vcc_lo, 0, v5
	v_add_co_ci_u32_e64 v5, null, 0, 0, s2
	s_waitcnt vmcnt(11)
	v_cmp_ne_u16_e64 s2, 0, v6
	v_cndmask_b32_e64 v3, 0, 1, vcc_lo
	v_add_co_u32 v2, vcc_lo, v2, v4
	v_add_co_ci_u32_e32 v5, vcc_lo, 0, v5, vcc_lo
	s_delay_alu instid0(VALU_DEP_4) | instskip(NEXT) | instid1(VALU_DEP_3)
	v_cndmask_b32_e64 v4, 0, 1, s2
	v_add_co_u32 v2, vcc_lo, v2, v3
	s_waitcnt vmcnt(10)
	v_cmp_ne_u16_e64 s2, 0, v7
	v_add_co_ci_u32_e32 v5, vcc_lo, 0, v5, vcc_lo
	s_delay_alu instid0(VALU_DEP_3) | instskip(NEXT) | instid1(VALU_DEP_3)
	v_add_co_u32 v2, vcc_lo, v2, v4
	v_cndmask_b32_e64 v3, 0, 1, s2
	s_waitcnt vmcnt(9)
	v_cmp_ne_u16_e64 s2, 0, v8
	v_add_co_ci_u32_e32 v5, vcc_lo, 0, v5, vcc_lo
	s_delay_alu instid0(VALU_DEP_3) | instskip(NEXT) | instid1(VALU_DEP_3)
	v_add_co_u32 v2, vcc_lo, v2, v3
	v_cndmask_b32_e64 v4, 0, 1, s2
	;; [unrolled: 6-line block ×10, first 2 shown]
	s_waitcnt vmcnt(0)
	v_cmp_ne_u16_e64 s2, 0, v1
	v_add_co_ci_u32_e32 v3, vcc_lo, 0, v5, vcc_lo
	s_delay_alu instid0(VALU_DEP_3) | instskip(SKIP_1) | instid1(VALU_DEP_4)
	v_add_co_u32 v2, vcc_lo, v2, v4
	v_mov_b32_e32 v4, 0
	v_cndmask_b32_e64 v1, 0, 1, s2
	s_delay_alu instid0(VALU_DEP_4) | instskip(SKIP_1) | instid1(VALU_DEP_2)
	v_add_co_ci_u32_e32 v3, vcc_lo, 0, v3, vcc_lo
	s_mov_b32 s2, exec_lo
	v_add_co_u32 v1, vcc_lo, v2, v1
	s_delay_alu instid0(VALU_DEP_2) | instskip(NEXT) | instid1(VALU_DEP_2)
	v_add_co_ci_u32_e32 v2, vcc_lo, 0, v3, vcc_lo
	v_mov_b32_dpp v3, v1 quad_perm:[1,0,3,2] row_mask:0xf bank_mask:0xf
	s_delay_alu instid0(VALU_DEP_1) | instskip(SKIP_1) | instid1(VALU_DEP_4)
	v_add_co_u32 v1, vcc_lo, v1, v3
	v_mov_b32_dpp v3, v4 quad_perm:[1,0,3,2] row_mask:0xf bank_mask:0xf
	v_add_co_ci_u32_e32 v2, vcc_lo, 0, v2, vcc_lo
	s_delay_alu instid0(VALU_DEP_3) | instskip(SKIP_1) | instid1(VALU_DEP_3)
	v_mov_b32_dpp v5, v1 quad_perm:[2,3,0,1] row_mask:0xf bank_mask:0xf
	v_add_co_u32 v1, vcc_lo, 0, v1
	v_add_co_ci_u32_e32 v2, vcc_lo, v3, v2, vcc_lo
	s_delay_alu instid0(VALU_DEP_2) | instskip(NEXT) | instid1(VALU_DEP_2)
	v_add_co_u32 v1, vcc_lo, v1, v5
	v_mov_b32_dpp v3, v2 quad_perm:[2,3,0,1] row_mask:0xf bank_mask:0xf
	v_add_co_ci_u32_e32 v2, vcc_lo, 0, v2, vcc_lo
	s_delay_alu instid0(VALU_DEP_3) | instskip(SKIP_1) | instid1(VALU_DEP_3)
	v_mov_b32_dpp v5, v1 row_ror:4 row_mask:0xf bank_mask:0xf
	v_add_co_u32 v1, vcc_lo, v1, 0
	v_add_co_ci_u32_e32 v2, vcc_lo, v2, v3, vcc_lo
	s_delay_alu instid0(VALU_DEP_2) | instskip(NEXT) | instid1(VALU_DEP_2)
	v_add_co_u32 v1, vcc_lo, v1, v5
	v_mov_b32_dpp v3, v2 row_ror:4 row_mask:0xf bank_mask:0xf
	v_add_co_ci_u32_e32 v2, vcc_lo, 0, v2, vcc_lo
	s_delay_alu instid0(VALU_DEP_3) | instskip(SKIP_1) | instid1(VALU_DEP_3)
	v_mov_b32_dpp v5, v1 row_ror:8 row_mask:0xf bank_mask:0xf
	v_add_co_u32 v1, vcc_lo, v1, 0
	v_add_co_ci_u32_e32 v2, vcc_lo, v2, v3, vcc_lo
	s_delay_alu instid0(VALU_DEP_2) | instskip(NEXT) | instid1(VALU_DEP_2)
	v_add_co_u32 v1, vcc_lo, v1, v5
	v_mov_b32_dpp v3, v2 row_ror:8 row_mask:0xf bank_mask:0xf
	v_add_co_ci_u32_e32 v2, vcc_lo, 0, v2, vcc_lo
	ds_swizzle_b32 v5, v1 offset:swizzle(BROADCAST,32,15)
	v_add_co_u32 v1, vcc_lo, v1, 0
	v_add_co_ci_u32_e32 v2, vcc_lo, v2, v3, vcc_lo
	ds_swizzle_b32 v3, v2 offset:swizzle(BROADCAST,32,15)
	s_waitcnt lgkmcnt(1)
	v_add_co_u32 v1, vcc_lo, v1, v5
	v_add_co_ci_u32_e32 v2, vcc_lo, 0, v2, vcc_lo
	ds_bpermute_b32 v1, v4, v1 offset:124
	s_waitcnt lgkmcnt(1)
	v_add_nc_u32_e32 v2, v3, v2
	v_mbcnt_lo_u32_b32 v3, -1, 0
	ds_bpermute_b32 v2, v4, v2 offset:124
	v_cmpx_eq_u32_e32 0, v3
	s_cbranch_execz .LBB115_548
; %bb.547:
	v_lshrrev_b32_e32 v4, 2, v0
	s_delay_alu instid0(VALU_DEP_1)
	v_and_b32_e32 v4, 24, v4
	s_waitcnt lgkmcnt(0)
	ds_store_b64 v4, v[1:2] offset:32
.LBB115_548:
	s_or_b32 exec_lo, exec_lo, s2
	s_delay_alu instid0(SALU_CYCLE_1)
	s_mov_b32 s2, exec_lo
	s_waitcnt lgkmcnt(0)
	s_barrier
	buffer_gl0_inv
	v_cmpx_gt_u32_e32 32, v0
	s_cbranch_execz .LBB115_550
; %bb.549:
	v_and_b32_e32 v4, 3, v3
	s_delay_alu instid0(VALU_DEP_1) | instskip(SKIP_4) | instid1(VALU_DEP_2)
	v_lshlrev_b32_e32 v1, 3, v4
	v_cmp_ne_u32_e32 vcc_lo, 3, v4
	ds_load_b64 v[1:2], v1 offset:32
	v_add_co_ci_u32_e32 v5, vcc_lo, 0, v3, vcc_lo
	v_cmp_gt_u32_e32 vcc_lo, 2, v4
	v_lshlrev_b32_e32 v5, 2, v5
	v_cndmask_b32_e64 v4, 0, 1, vcc_lo
	s_delay_alu instid0(VALU_DEP_1) | instskip(NEXT) | instid1(VALU_DEP_1)
	v_lshlrev_b32_e32 v4, 1, v4
	v_add_lshl_u32 v3, v4, v3, 2
	s_waitcnt lgkmcnt(0)
	ds_bpermute_b32 v6, v5, v1
	ds_bpermute_b32 v5, v5, v2
	s_waitcnt lgkmcnt(1)
	v_add_co_u32 v1, vcc_lo, v1, v6
	v_add_co_ci_u32_e32 v2, vcc_lo, 0, v2, vcc_lo
	ds_bpermute_b32 v4, v3, v1
	v_add_co_u32 v1, vcc_lo, 0, v1
	s_waitcnt lgkmcnt(1)
	v_add_co_ci_u32_e32 v2, vcc_lo, v5, v2, vcc_lo
	ds_bpermute_b32 v3, v3, v2
	s_waitcnt lgkmcnt(1)
	v_add_co_u32 v1, vcc_lo, v1, v4
	v_add_co_ci_u32_e32 v2, vcc_lo, 0, v2, vcc_lo
	s_delay_alu instid0(VALU_DEP_2) | instskip(SKIP_1) | instid1(VALU_DEP_2)
	v_add_co_u32 v1, vcc_lo, v1, 0
	s_waitcnt lgkmcnt(0)
	v_add_co_ci_u32_e32 v2, vcc_lo, v2, v3, vcc_lo
.LBB115_550:
	s_or_b32 exec_lo, exec_lo, s2
	s_mov_b32 s2, 0
	s_branch .LBB115_552
.LBB115_551:
	s_mov_b32 s2, -1
                                        ; implicit-def: $vgpr1_vgpr2
.LBB115_552:
	s_delay_alu instid0(SALU_CYCLE_1)
	s_and_b32 vcc_lo, exec_lo, s2
	s_cbranch_vccz .LBB115_604
; %bb.553:
	s_sub_i32 s27, s20, s4
	s_mov_b32 s2, exec_lo
                                        ; implicit-def: $vgpr1_vgpr2_vgpr3_vgpr4_vgpr5_vgpr6_vgpr7_vgpr8_vgpr9_vgpr10_vgpr11_vgpr12_vgpr13_vgpr14_vgpr15_vgpr16_vgpr17_vgpr18_vgpr19_vgpr20_vgpr21_vgpr22_vgpr23_vgpr24_vgpr25_vgpr26_vgpr27_vgpr28_vgpr29_vgpr30_vgpr31_vgpr32
	v_cmpx_gt_u32_e64 s27, v0
	s_cbranch_execz .LBB115_555
; %bb.554:
	v_dual_mov_b32 v2, 0 :: v_dual_lshlrev_b32 v1, 1, v0
	global_load_u16 v1, v1, s[16:17]
	s_waitcnt vmcnt(0)
	v_cmp_ne_u16_e32 vcc_lo, 0, v1
	v_cndmask_b32_e64 v1, 0, 1, vcc_lo
.LBB115_555:
	s_or_b32 exec_lo, exec_lo, s2
	v_or_b32_e32 v33, 0x80, v0
	s_delay_alu instid0(VALU_DEP_1)
	v_cmp_gt_u32_e32 vcc_lo, s27, v33
	s_and_saveexec_b32 s3, vcc_lo
	s_cbranch_execz .LBB115_557
; %bb.556:
	s_waitcnt lgkmcnt(0)
	v_dual_mov_b32 v4, 0 :: v_dual_lshlrev_b32 v3, 1, v0
	global_load_u16 v3, v3, s[16:17] offset:256
	s_waitcnt vmcnt(0)
	v_cmp_ne_u16_e64 s2, 0, v3
	s_delay_alu instid0(VALU_DEP_1)
	v_cndmask_b32_e64 v3, 0, 1, s2
.LBB115_557:
	s_or_b32 exec_lo, exec_lo, s3
	v_or_b32_e32 v33, 0x100, v0
	s_delay_alu instid0(VALU_DEP_1) | instskip(NEXT) | instid1(VALU_DEP_1)
	v_cmp_gt_u32_e64 s2, s27, v33
	s_and_saveexec_b32 s4, s2
	s_cbranch_execz .LBB115_559
; %bb.558:
	s_waitcnt lgkmcnt(1)
	v_dual_mov_b32 v6, 0 :: v_dual_lshlrev_b32 v5, 1, v0
	global_load_u16 v5, v5, s[16:17] offset:512
	s_waitcnt vmcnt(0)
	v_cmp_ne_u16_e64 s3, 0, v5
	s_delay_alu instid0(VALU_DEP_1)
	v_cndmask_b32_e64 v5, 0, 1, s3
.LBB115_559:
	s_or_b32 exec_lo, exec_lo, s4
	v_or_b32_e32 v33, 0x180, v0
	s_delay_alu instid0(VALU_DEP_1) | instskip(NEXT) | instid1(VALU_DEP_1)
	v_cmp_gt_u32_e64 s3, s27, v33
	s_and_saveexec_b32 s5, s3
	s_cbranch_execz .LBB115_561
; %bb.560:
	v_dual_mov_b32 v8, 0 :: v_dual_lshlrev_b32 v7, 1, v0
	global_load_u16 v7, v7, s[16:17] offset:768
	s_waitcnt vmcnt(0)
	v_cmp_ne_u16_e64 s4, 0, v7
	s_delay_alu instid0(VALU_DEP_1)
	v_cndmask_b32_e64 v7, 0, 1, s4
.LBB115_561:
	s_or_b32 exec_lo, exec_lo, s5
	v_or_b32_e32 v33, 0x200, v0
	s_delay_alu instid0(VALU_DEP_1) | instskip(NEXT) | instid1(VALU_DEP_1)
	v_cmp_gt_u32_e64 s4, s27, v33
	s_and_saveexec_b32 s6, s4
	s_cbranch_execz .LBB115_563
; %bb.562:
	v_dual_mov_b32 v10, 0 :: v_dual_lshlrev_b32 v9, 1, v0
	global_load_u16 v9, v9, s[16:17] offset:1024
	s_waitcnt vmcnt(0)
	v_cmp_ne_u16_e64 s5, 0, v9
	s_delay_alu instid0(VALU_DEP_1)
	v_cndmask_b32_e64 v9, 0, 1, s5
.LBB115_563:
	;; [unrolled: 14-line block ×13, first 2 shown]
	s_or_b32 exec_lo, exec_lo, s28
	s_waitcnt lgkmcnt(0)
	v_dual_cndmask_b32 v3, 0, v3 :: v_dual_cndmask_b32 v4, 0, v4
	v_cndmask_b32_e64 v5, 0, v5, s2
	v_cndmask_b32_e64 v6, 0, v6, s2
	s_min_u32 s2, s27, 0x80
	s_delay_alu instid0(VALU_DEP_3) | instskip(SKIP_2) | instid1(VALU_DEP_3)
	v_add_co_u32 v1, vcc_lo, v3, v1
	v_add_co_ci_u32_e32 v2, vcc_lo, v4, v2, vcc_lo
	v_cndmask_b32_e64 v3, 0, v7, s3
	v_add_co_u32 v1, vcc_lo, v1, v5
	s_delay_alu instid0(VALU_DEP_3) | instskip(SKIP_2) | instid1(VALU_DEP_4)
	v_add_co_ci_u32_e32 v2, vcc_lo, v2, v6, vcc_lo
	v_cndmask_b32_e64 v4, 0, v8, s3
	v_cndmask_b32_e64 v5, 0, v9, s4
	v_add_co_u32 v1, vcc_lo, v1, v3
	v_cndmask_b32_e64 v3, 0, v10, s4
	s_delay_alu instid0(VALU_DEP_4) | instskip(SKIP_1) | instid1(VALU_DEP_4)
	v_add_co_ci_u32_e32 v2, vcc_lo, v2, v4, vcc_lo
	v_cndmask_b32_e64 v4, 0, v11, s5
	v_add_co_u32 v1, vcc_lo, v1, v5
	s_delay_alu instid0(VALU_DEP_3) | instskip(SKIP_2) | instid1(VALU_DEP_4)
	v_add_co_ci_u32_e32 v2, vcc_lo, v2, v3, vcc_lo
	v_cndmask_b32_e64 v3, 0, v12, s5
	v_cndmask_b32_e64 v5, 0, v13, s6
	v_add_co_u32 v1, vcc_lo, v1, v4
	v_cndmask_b32_e64 v4, 0, v15, s7
	s_delay_alu instid0(VALU_DEP_4) | instskip(SKIP_1) | instid1(VALU_DEP_4)
	v_add_co_ci_u32_e32 v2, vcc_lo, v2, v3, vcc_lo
	v_cndmask_b32_e64 v3, 0, v14, s6
	v_add_co_u32 v1, vcc_lo, v1, v5
	v_cndmask_b32_e64 v5, 0, v17, s8
	v_cndmask_b32_e64 v6, 0, v31, s15
	s_delay_alu instid0(VALU_DEP_4) | instskip(SKIP_3) | instid1(VALU_DEP_3)
	v_add_co_ci_u32_e32 v2, vcc_lo, v2, v3, vcc_lo
	v_cndmask_b32_e64 v3, 0, v16, s7
	v_add_co_u32 v1, vcc_lo, v1, v4
	v_cndmask_b32_e64 v4, 0, v19, s9
	v_add_co_ci_u32_e32 v2, vcc_lo, v2, v3, vcc_lo
	v_cndmask_b32_e64 v3, 0, v18, s8
	s_delay_alu instid0(VALU_DEP_4) | instskip(SKIP_1) | instid1(VALU_DEP_3)
	v_add_co_u32 v1, vcc_lo, v1, v5
	v_cndmask_b32_e64 v5, 0, v21, s10
	v_add_co_ci_u32_e32 v2, vcc_lo, v2, v3, vcc_lo
	v_cndmask_b32_e64 v3, 0, v20, s9
	s_delay_alu instid0(VALU_DEP_4) | instskip(SKIP_1) | instid1(VALU_DEP_3)
	;; [unrolled: 5-line block ×5, first 2 shown]
	v_add_co_u32 v1, vcc_lo, v1, v5
	v_cndmask_b32_e64 v5, 0, v28, s13
	v_add_co_ci_u32_e32 v2, vcc_lo, v2, v3, vcc_lo
	v_mbcnt_lo_u32_b32 v3, -1, 0
	s_delay_alu instid0(VALU_DEP_4) | instskip(NEXT) | instid1(VALU_DEP_3)
	v_add_co_u32 v1, vcc_lo, v1, v4
	v_add_co_ci_u32_e32 v2, vcc_lo, v2, v5, vcc_lo
	s_delay_alu instid0(VALU_DEP_3) | instskip(SKIP_3) | instid1(VALU_DEP_3)
	v_cmp_ne_u32_e32 vcc_lo, 31, v3
	v_cndmask_b32_e64 v5, 0, v29, s14
	v_cndmask_b32_e64 v4, 0, v30, s14
	v_add_co_ci_u32_e32 v7, vcc_lo, 0, v3, vcc_lo
	v_add_co_u32 v1, vcc_lo, v1, v5
	s_delay_alu instid0(VALU_DEP_3) | instskip(SKIP_1) | instid1(VALU_DEP_3)
	v_add_co_ci_u32_e32 v2, vcc_lo, v2, v4, vcc_lo
	v_cndmask_b32_e64 v4, 0, v32, s15
	v_add_co_u32 v1, vcc_lo, v1, v6
	v_lshlrev_b32_e32 v5, 2, v7
	s_delay_alu instid0(VALU_DEP_3)
	v_add_co_ci_u32_e32 v2, vcc_lo, v2, v4, vcc_lo
	v_and_b32_e32 v4, 0x60, v0
	ds_bpermute_b32 v7, v5, v1
	ds_bpermute_b32 v6, v5, v2
	v_add_nc_u32_e32 v5, 1, v3
	v_sub_nc_u32_e64 v4, s2, v4 clamp
	s_delay_alu instid0(VALU_DEP_1)
	v_cmp_lt_u32_e32 vcc_lo, v5, v4
	v_mov_b32_e32 v5, v1
	s_and_saveexec_b32 s3, vcc_lo
	s_cbranch_execz .LBB115_587
; %bb.586:
	s_waitcnt lgkmcnt(1)
	v_add_co_u32 v5, vcc_lo, v1, v7
	v_add_co_ci_u32_e32 v2, vcc_lo, 0, v2, vcc_lo
	s_delay_alu instid0(VALU_DEP_2) | instskip(SKIP_1) | instid1(VALU_DEP_2)
	v_add_co_u32 v1, vcc_lo, v5, 0
	s_waitcnt lgkmcnt(0)
	v_add_co_ci_u32_e32 v2, vcc_lo, v2, v6, vcc_lo
.LBB115_587:
	s_or_b32 exec_lo, exec_lo, s3
	v_cmp_gt_u32_e32 vcc_lo, 30, v3
	v_add_nc_u32_e32 v8, 2, v3
	s_mov_b32 s3, exec_lo
	s_waitcnt lgkmcnt(0)
	v_cndmask_b32_e64 v6, 0, 1, vcc_lo
	s_delay_alu instid0(VALU_DEP_1) | instskip(NEXT) | instid1(VALU_DEP_1)
	v_lshlrev_b32_e32 v6, 1, v6
	v_add_lshl_u32 v6, v6, v3, 2
	ds_bpermute_b32 v7, v6, v5
	ds_bpermute_b32 v6, v6, v2
	v_cmpx_lt_u32_e64 v8, v4
	s_cbranch_execz .LBB115_589
; %bb.588:
	s_waitcnt lgkmcnt(1)
	v_add_co_u32 v5, vcc_lo, v1, v7
	v_add_co_ci_u32_e32 v2, vcc_lo, 0, v2, vcc_lo
	s_delay_alu instid0(VALU_DEP_2) | instskip(SKIP_1) | instid1(VALU_DEP_2)
	v_add_co_u32 v1, vcc_lo, 0, v5
	s_waitcnt lgkmcnt(0)
	v_add_co_ci_u32_e32 v2, vcc_lo, v6, v2, vcc_lo
.LBB115_589:
	s_or_b32 exec_lo, exec_lo, s3
	v_cmp_gt_u32_e32 vcc_lo, 28, v3
	v_add_nc_u32_e32 v8, 4, v3
	s_mov_b32 s3, exec_lo
	s_waitcnt lgkmcnt(0)
	v_cndmask_b32_e64 v6, 0, 1, vcc_lo
	s_delay_alu instid0(VALU_DEP_1) | instskip(NEXT) | instid1(VALU_DEP_1)
	v_lshlrev_b32_e32 v6, 2, v6
	v_add_lshl_u32 v6, v6, v3, 2
	ds_bpermute_b32 v7, v6, v5
	ds_bpermute_b32 v6, v6, v2
	v_cmpx_lt_u32_e64 v8, v4
	;; [unrolled: 22-line block ×3, first 2 shown]
	s_cbranch_execz .LBB115_593
; %bb.592:
	s_waitcnt lgkmcnt(1)
	v_add_co_u32 v5, vcc_lo, v1, v7
	v_add_co_ci_u32_e32 v2, vcc_lo, 0, v2, vcc_lo
	s_delay_alu instid0(VALU_DEP_2) | instskip(SKIP_1) | instid1(VALU_DEP_2)
	v_add_co_u32 v1, vcc_lo, 0, v5
	s_waitcnt lgkmcnt(0)
	v_add_co_ci_u32_e32 v2, vcc_lo, v6, v2, vcc_lo
.LBB115_593:
	s_or_b32 exec_lo, exec_lo, s3
	v_cmp_gt_u32_e32 vcc_lo, 16, v3
	s_mov_b32 s3, exec_lo
	s_waitcnt lgkmcnt(0)
	v_cndmask_b32_e64 v6, 0, 1, vcc_lo
	s_delay_alu instid0(VALU_DEP_1) | instskip(NEXT) | instid1(VALU_DEP_1)
	v_lshlrev_b32_e32 v6, 4, v6
	v_add_lshl_u32 v7, v6, v3, 2
	ds_bpermute_b32 v6, v7, v5
	ds_bpermute_b32 v5, v7, v2
	v_add_nc_u32_e32 v7, 16, v3
	s_delay_alu instid0(VALU_DEP_1)
	v_cmpx_lt_u32_e64 v7, v4
	s_cbranch_execz .LBB115_595
; %bb.594:
	s_waitcnt lgkmcnt(1)
	v_add_co_u32 v1, vcc_lo, v1, v6
	v_add_co_ci_u32_e32 v2, vcc_lo, 0, v2, vcc_lo
	s_delay_alu instid0(VALU_DEP_2) | instskip(SKIP_1) | instid1(VALU_DEP_2)
	v_add_co_u32 v1, vcc_lo, v1, 0
	s_waitcnt lgkmcnt(0)
	v_add_co_ci_u32_e32 v2, vcc_lo, v2, v5, vcc_lo
.LBB115_595:
	s_or_b32 exec_lo, exec_lo, s3
	s_delay_alu instid0(SALU_CYCLE_1)
	s_mov_b32 s3, exec_lo
	v_cmpx_eq_u32_e32 0, v3
	s_cbranch_execz .LBB115_597
; %bb.596:
	v_lshrrev_b32_e32 v4, 2, v0
	s_delay_alu instid0(VALU_DEP_1)
	v_and_b32_e32 v4, 24, v4
	ds_store_b64 v4, v[1:2] offset:256
.LBB115_597:
	s_or_b32 exec_lo, exec_lo, s3
	s_delay_alu instid0(SALU_CYCLE_1)
	s_mov_b32 s3, exec_lo
	s_waitcnt lgkmcnt(0)
	s_barrier
	buffer_gl0_inv
	v_cmpx_gt_u32_e32 4, v0
	s_cbranch_execz .LBB115_603
; %bb.598:
	v_lshlrev_b32_e32 v1, 3, v3
	s_add_i32 s2, s2, 31
	s_delay_alu instid0(SALU_CYCLE_1) | instskip(SKIP_2) | instid1(VALU_DEP_1)
	s_lshr_b32 s2, s2, 5
	ds_load_b64 v[1:2], v1 offset:256
	v_and_b32_e32 v4, 3, v3
	v_cmp_ne_u32_e32 vcc_lo, 3, v4
	v_add_co_ci_u32_e32 v5, vcc_lo, 0, v3, vcc_lo
	s_delay_alu instid0(VALU_DEP_1) | instskip(SKIP_4) | instid1(VALU_DEP_1)
	v_lshlrev_b32_e32 v5, 2, v5
	s_waitcnt lgkmcnt(0)
	ds_bpermute_b32 v7, v5, v1
	ds_bpermute_b32 v6, v5, v2
	v_add_nc_u32_e32 v5, 1, v4
	v_cmp_gt_u32_e32 vcc_lo, s2, v5
	v_mov_b32_e32 v5, v1
	s_and_saveexec_b32 s4, vcc_lo
	s_cbranch_execz .LBB115_600
; %bb.599:
	s_waitcnt lgkmcnt(1)
	v_add_co_u32 v5, vcc_lo, v1, v7
	v_add_co_ci_u32_e32 v2, vcc_lo, 0, v2, vcc_lo
	s_delay_alu instid0(VALU_DEP_2) | instskip(SKIP_1) | instid1(VALU_DEP_2)
	v_add_co_u32 v1, vcc_lo, 0, v5
	s_waitcnt lgkmcnt(0)
	v_add_co_ci_u32_e32 v2, vcc_lo, v6, v2, vcc_lo
.LBB115_600:
	s_or_b32 exec_lo, exec_lo, s4
	v_cmp_gt_u32_e32 vcc_lo, 2, v4
	v_add_nc_u32_e32 v4, 2, v4
	s_waitcnt lgkmcnt(0)
	v_cndmask_b32_e64 v6, 0, 1, vcc_lo
	s_delay_alu instid0(VALU_DEP_2) | instskip(NEXT) | instid1(VALU_DEP_2)
	v_cmp_gt_u32_e32 vcc_lo, s2, v4
	v_lshlrev_b32_e32 v6, 1, v6
	s_delay_alu instid0(VALU_DEP_1)
	v_add_lshl_u32 v3, v6, v3, 2
	ds_bpermute_b32 v5, v3, v5
	ds_bpermute_b32 v3, v3, v2
	s_and_saveexec_b32 s2, vcc_lo
	s_cbranch_execz .LBB115_602
; %bb.601:
	s_waitcnt lgkmcnt(1)
	v_add_co_u32 v1, vcc_lo, v1, v5
	v_add_co_ci_u32_e32 v2, vcc_lo, 0, v2, vcc_lo
	s_delay_alu instid0(VALU_DEP_2) | instskip(SKIP_1) | instid1(VALU_DEP_2)
	v_add_co_u32 v1, vcc_lo, v1, 0
	s_waitcnt lgkmcnt(0)
	v_add_co_ci_u32_e32 v2, vcc_lo, v2, v3, vcc_lo
.LBB115_602:
	s_or_b32 exec_lo, exec_lo, s2
.LBB115_603:
	s_delay_alu instid0(SALU_CYCLE_1)
	s_or_b32 exec_lo, exec_lo, s3
.LBB115_604:
	v_cmp_eq_u32_e64 s2, 0, v0
.LBB115_605:
	s_branch .LBB115_758
.LBB115_606:
	s_cmp_gt_i32 s26, 3
	s_cbranch_scc0 .LBB115_616
; %bb.607:
	s_cmp_gt_i32 s26, 7
	s_cbranch_scc0 .LBB115_617
; %bb.608:
	s_cmp_eq_u32 s26, 8
                                        ; implicit-def: $vgpr1_vgpr2
	s_cbranch_scc0 .LBB115_618
; %bb.609:
	s_mov_b32 s19, 0
	s_lshl_b32 s4, s18, 10
	s_mov_b32 s5, s19
	s_lshr_b64 s[6:7], s[20:21], 10
	s_lshl_b64 s[2:3], s[4:5], 1
	s_delay_alu instid0(SALU_CYCLE_1)
	s_add_u32 s8, s24, s2
	s_addc_u32 s9, s25, s3
	s_cmp_lg_u64 s[6:7], s[18:19]
	s_cbranch_scc0 .LBB115_619
; %bb.610:
	v_lshlrev_b32_e32 v1, 1, v0
	global_load_u16 v2, v1, s[8:9]
	s_waitcnt lgkmcnt(0)
	s_clause 0x6
	global_load_u16 v3, v1, s[8:9] offset:256
	global_load_u16 v4, v1, s[8:9] offset:512
	;; [unrolled: 1-line block ×7, first 2 shown]
	s_waitcnt vmcnt(7)
	v_cmp_ne_u16_e32 vcc_lo, 0, v2
	v_cndmask_b32_e64 v2, 0, 1, vcc_lo
	s_waitcnt vmcnt(6)
	v_cmp_ne_u16_e32 vcc_lo, 0, v3
	v_cndmask_b32_e64 v3, 0, 1, vcc_lo
	s_waitcnt vmcnt(5)
	v_cmp_ne_u16_e32 vcc_lo, 0, v4
	s_delay_alu instid0(VALU_DEP_2)
	v_add_co_u32 v2, s2, v3, v2
	v_cndmask_b32_e64 v4, 0, 1, vcc_lo
	s_waitcnt vmcnt(4)
	v_cmp_ne_u16_e32 vcc_lo, 0, v5
	v_add_co_ci_u32_e64 v5, null, 0, 0, s2
	s_waitcnt vmcnt(3)
	v_cmp_ne_u16_e64 s2, 0, v6
	v_cndmask_b32_e64 v3, 0, 1, vcc_lo
	v_add_co_u32 v2, vcc_lo, v2, v4
	v_add_co_ci_u32_e32 v5, vcc_lo, 0, v5, vcc_lo
	s_delay_alu instid0(VALU_DEP_4) | instskip(NEXT) | instid1(VALU_DEP_3)
	v_cndmask_b32_e64 v4, 0, 1, s2
	v_add_co_u32 v2, vcc_lo, v2, v3
	s_waitcnt vmcnt(2)
	v_cmp_ne_u16_e64 s2, 0, v7
	v_add_co_ci_u32_e32 v5, vcc_lo, 0, v5, vcc_lo
	s_delay_alu instid0(VALU_DEP_3) | instskip(NEXT) | instid1(VALU_DEP_3)
	v_add_co_u32 v2, vcc_lo, v2, v4
	v_cndmask_b32_e64 v3, 0, 1, s2
	s_waitcnt vmcnt(1)
	v_cmp_ne_u16_e64 s2, 0, v8
	v_add_co_ci_u32_e32 v5, vcc_lo, 0, v5, vcc_lo
	s_delay_alu instid0(VALU_DEP_3) | instskip(NEXT) | instid1(VALU_DEP_3)
	v_add_co_u32 v2, vcc_lo, v2, v3
	v_cndmask_b32_e64 v4, 0, 1, s2
	s_waitcnt vmcnt(0)
	v_cmp_ne_u16_e64 s2, 0, v1
	v_add_co_ci_u32_e32 v3, vcc_lo, 0, v5, vcc_lo
	s_delay_alu instid0(VALU_DEP_3) | instskip(SKIP_1) | instid1(VALU_DEP_4)
	v_add_co_u32 v2, vcc_lo, v2, v4
	v_mov_b32_e32 v4, 0
	v_cndmask_b32_e64 v1, 0, 1, s2
	s_delay_alu instid0(VALU_DEP_4) | instskip(SKIP_1) | instid1(VALU_DEP_2)
	v_add_co_ci_u32_e32 v3, vcc_lo, 0, v3, vcc_lo
	s_mov_b32 s2, exec_lo
	v_add_co_u32 v1, vcc_lo, v2, v1
	s_delay_alu instid0(VALU_DEP_2) | instskip(NEXT) | instid1(VALU_DEP_2)
	v_add_co_ci_u32_e32 v2, vcc_lo, 0, v3, vcc_lo
	v_mov_b32_dpp v3, v1 quad_perm:[1,0,3,2] row_mask:0xf bank_mask:0xf
	s_delay_alu instid0(VALU_DEP_1) | instskip(SKIP_1) | instid1(VALU_DEP_4)
	v_add_co_u32 v1, vcc_lo, v1, v3
	v_mov_b32_dpp v3, v4 quad_perm:[1,0,3,2] row_mask:0xf bank_mask:0xf
	v_add_co_ci_u32_e32 v2, vcc_lo, 0, v2, vcc_lo
	s_delay_alu instid0(VALU_DEP_3) | instskip(SKIP_1) | instid1(VALU_DEP_3)
	v_mov_b32_dpp v5, v1 quad_perm:[2,3,0,1] row_mask:0xf bank_mask:0xf
	v_add_co_u32 v1, vcc_lo, 0, v1
	v_add_co_ci_u32_e32 v2, vcc_lo, v3, v2, vcc_lo
	s_delay_alu instid0(VALU_DEP_2) | instskip(NEXT) | instid1(VALU_DEP_2)
	v_add_co_u32 v1, vcc_lo, v1, v5
	v_mov_b32_dpp v3, v2 quad_perm:[2,3,0,1] row_mask:0xf bank_mask:0xf
	v_add_co_ci_u32_e32 v2, vcc_lo, 0, v2, vcc_lo
	s_delay_alu instid0(VALU_DEP_3) | instskip(SKIP_1) | instid1(VALU_DEP_3)
	v_mov_b32_dpp v5, v1 row_ror:4 row_mask:0xf bank_mask:0xf
	v_add_co_u32 v1, vcc_lo, v1, 0
	v_add_co_ci_u32_e32 v2, vcc_lo, v2, v3, vcc_lo
	s_delay_alu instid0(VALU_DEP_2) | instskip(NEXT) | instid1(VALU_DEP_2)
	v_add_co_u32 v1, vcc_lo, v1, v5
	v_mov_b32_dpp v3, v2 row_ror:4 row_mask:0xf bank_mask:0xf
	v_add_co_ci_u32_e32 v2, vcc_lo, 0, v2, vcc_lo
	s_delay_alu instid0(VALU_DEP_3) | instskip(SKIP_1) | instid1(VALU_DEP_3)
	v_mov_b32_dpp v5, v1 row_ror:8 row_mask:0xf bank_mask:0xf
	v_add_co_u32 v1, vcc_lo, v1, 0
	v_add_co_ci_u32_e32 v2, vcc_lo, v2, v3, vcc_lo
	s_delay_alu instid0(VALU_DEP_2) | instskip(NEXT) | instid1(VALU_DEP_2)
	v_add_co_u32 v1, vcc_lo, v1, v5
	v_mov_b32_dpp v3, v2 row_ror:8 row_mask:0xf bank_mask:0xf
	v_add_co_ci_u32_e32 v2, vcc_lo, 0, v2, vcc_lo
	ds_swizzle_b32 v5, v1 offset:swizzle(BROADCAST,32,15)
	v_add_co_u32 v1, vcc_lo, v1, 0
	v_add_co_ci_u32_e32 v2, vcc_lo, v2, v3, vcc_lo
	ds_swizzle_b32 v3, v2 offset:swizzle(BROADCAST,32,15)
	s_waitcnt lgkmcnt(1)
	v_add_co_u32 v1, vcc_lo, v1, v5
	v_add_co_ci_u32_e32 v2, vcc_lo, 0, v2, vcc_lo
	ds_bpermute_b32 v1, v4, v1 offset:124
	s_waitcnt lgkmcnt(1)
	v_add_nc_u32_e32 v2, v3, v2
	v_mbcnt_lo_u32_b32 v3, -1, 0
	ds_bpermute_b32 v2, v4, v2 offset:124
	v_cmpx_eq_u32_e32 0, v3
	s_cbranch_execz .LBB115_612
; %bb.611:
	v_lshrrev_b32_e32 v4, 2, v0
	s_delay_alu instid0(VALU_DEP_1)
	v_and_b32_e32 v4, 24, v4
	s_waitcnt lgkmcnt(0)
	ds_store_b64 v4, v[1:2] offset:224
.LBB115_612:
	s_or_b32 exec_lo, exec_lo, s2
	s_delay_alu instid0(SALU_CYCLE_1)
	s_mov_b32 s2, exec_lo
	s_waitcnt lgkmcnt(0)
	s_barrier
	buffer_gl0_inv
	v_cmpx_gt_u32_e32 32, v0
	s_cbranch_execz .LBB115_614
; %bb.613:
	v_lshl_or_b32 v1, v3, 3, 0xe0
	v_and_b32_e32 v4, 3, v3
	ds_load_b64 v[1:2], v1
	v_cmp_ne_u32_e32 vcc_lo, 3, v4
	v_add_co_ci_u32_e32 v5, vcc_lo, 0, v3, vcc_lo
	v_cmp_gt_u32_e32 vcc_lo, 2, v4
	s_delay_alu instid0(VALU_DEP_2) | instskip(SKIP_1) | instid1(VALU_DEP_1)
	v_lshlrev_b32_e32 v5, 2, v5
	v_cndmask_b32_e64 v4, 0, 1, vcc_lo
	v_lshlrev_b32_e32 v4, 1, v4
	s_waitcnt lgkmcnt(0)
	ds_bpermute_b32 v6, v5, v1
	ds_bpermute_b32 v5, v5, v2
	v_add_lshl_u32 v3, v4, v3, 2
	s_waitcnt lgkmcnt(1)
	v_add_co_u32 v1, vcc_lo, v1, v6
	v_add_co_ci_u32_e32 v2, vcc_lo, 0, v2, vcc_lo
	ds_bpermute_b32 v4, v3, v1
	v_add_co_u32 v1, vcc_lo, 0, v1
	s_waitcnt lgkmcnt(1)
	v_add_co_ci_u32_e32 v2, vcc_lo, v5, v2, vcc_lo
	ds_bpermute_b32 v3, v3, v2
	s_waitcnt lgkmcnt(1)
	v_add_co_u32 v1, vcc_lo, v1, v4
	v_add_co_ci_u32_e32 v2, vcc_lo, 0, v2, vcc_lo
	s_delay_alu instid0(VALU_DEP_2) | instskip(SKIP_1) | instid1(VALU_DEP_2)
	v_add_co_u32 v1, vcc_lo, v1, 0
	s_waitcnt lgkmcnt(0)
	v_add_co_ci_u32_e32 v2, vcc_lo, v2, v3, vcc_lo
.LBB115_614:
	s_or_b32 exec_lo, exec_lo, s2
.LBB115_615:
	v_cmp_eq_u32_e64 s2, 0, v0
	s_branch .LBB115_692
.LBB115_616:
                                        ; implicit-def: $vgpr1_vgpr2
	s_cbranch_execnz .LBB115_693
	s_branch .LBB115_758
.LBB115_617:
                                        ; implicit-def: $vgpr1_vgpr2
	s_cbranch_execnz .LBB115_655
	s_branch .LBB115_692
.LBB115_618:
	s_branch .LBB115_692
.LBB115_619:
                                        ; implicit-def: $vgpr1_vgpr2
	s_cbranch_execz .LBB115_615
; %bb.620:
	s_sub_i32 s10, s20, s4
	s_mov_b32 s2, exec_lo
                                        ; implicit-def: $vgpr1_vgpr2_vgpr3_vgpr4_vgpr5_vgpr6_vgpr7_vgpr8_vgpr9_vgpr10_vgpr11_vgpr12_vgpr13_vgpr14_vgpr15_vgpr16
	v_cmpx_gt_u32_e64 s10, v0
	s_cbranch_execz .LBB115_622
; %bb.621:
	v_dual_mov_b32 v2, 0 :: v_dual_lshlrev_b32 v1, 1, v0
	global_load_u16 v1, v1, s[8:9]
	s_waitcnt vmcnt(0)
	v_cmp_ne_u16_e32 vcc_lo, 0, v1
	v_cndmask_b32_e64 v1, 0, 1, vcc_lo
.LBB115_622:
	s_or_b32 exec_lo, exec_lo, s2
	v_or_b32_e32 v17, 0x80, v0
	s_delay_alu instid0(VALU_DEP_1)
	v_cmp_gt_u32_e32 vcc_lo, s10, v17
	s_and_saveexec_b32 s3, vcc_lo
	s_cbranch_execz .LBB115_624
; %bb.623:
	s_waitcnt lgkmcnt(0)
	v_dual_mov_b32 v4, 0 :: v_dual_lshlrev_b32 v3, 1, v0
	global_load_u16 v3, v3, s[8:9] offset:256
	s_waitcnt vmcnt(0)
	v_cmp_ne_u16_e64 s2, 0, v3
	s_delay_alu instid0(VALU_DEP_1)
	v_cndmask_b32_e64 v3, 0, 1, s2
.LBB115_624:
	s_or_b32 exec_lo, exec_lo, s3
	v_or_b32_e32 v17, 0x100, v0
	s_delay_alu instid0(VALU_DEP_1) | instskip(NEXT) | instid1(VALU_DEP_1)
	v_cmp_gt_u32_e64 s2, s10, v17
	s_and_saveexec_b32 s4, s2
	s_cbranch_execz .LBB115_626
; %bb.625:
	s_waitcnt lgkmcnt(1)
	v_dual_mov_b32 v6, 0 :: v_dual_lshlrev_b32 v5, 1, v0
	global_load_u16 v5, v5, s[8:9] offset:512
	s_waitcnt vmcnt(0)
	v_cmp_ne_u16_e64 s3, 0, v5
	s_delay_alu instid0(VALU_DEP_1)
	v_cndmask_b32_e64 v5, 0, 1, s3
.LBB115_626:
	s_or_b32 exec_lo, exec_lo, s4
	v_or_b32_e32 v17, 0x180, v0
	s_delay_alu instid0(VALU_DEP_1) | instskip(NEXT) | instid1(VALU_DEP_1)
	v_cmp_gt_u32_e64 s3, s10, v17
	s_and_saveexec_b32 s5, s3
	s_cbranch_execz .LBB115_628
; %bb.627:
	v_dual_mov_b32 v8, 0 :: v_dual_lshlrev_b32 v7, 1, v0
	global_load_u16 v7, v7, s[8:9] offset:768
	s_waitcnt vmcnt(0)
	v_cmp_ne_u16_e64 s4, 0, v7
	s_delay_alu instid0(VALU_DEP_1)
	v_cndmask_b32_e64 v7, 0, 1, s4
.LBB115_628:
	s_or_b32 exec_lo, exec_lo, s5
	v_or_b32_e32 v17, 0x200, v0
	s_delay_alu instid0(VALU_DEP_1) | instskip(NEXT) | instid1(VALU_DEP_1)
	v_cmp_gt_u32_e64 s4, s10, v17
	s_and_saveexec_b32 s6, s4
	s_cbranch_execz .LBB115_630
; %bb.629:
	v_dual_mov_b32 v10, 0 :: v_dual_lshlrev_b32 v9, 1, v0
	global_load_u16 v9, v9, s[8:9] offset:1024
	s_waitcnt vmcnt(0)
	v_cmp_ne_u16_e64 s5, 0, v9
	s_delay_alu instid0(VALU_DEP_1)
	v_cndmask_b32_e64 v9, 0, 1, s5
.LBB115_630:
	;; [unrolled: 14-line block ×5, first 2 shown]
	s_or_b32 exec_lo, exec_lo, s11
	s_waitcnt lgkmcnt(0)
	v_dual_cndmask_b32 v3, 0, v3 :: v_dual_cndmask_b32 v4, 0, v4
	v_cndmask_b32_e64 v5, 0, v5, s2
	v_cndmask_b32_e64 v6, 0, v6, s2
	s_min_u32 s2, s10, 0x80
	s_delay_alu instid0(VALU_DEP_3) | instskip(SKIP_2) | instid1(VALU_DEP_3)
	v_add_co_u32 v1, vcc_lo, v3, v1
	v_add_co_ci_u32_e32 v2, vcc_lo, v4, v2, vcc_lo
	v_cndmask_b32_e64 v3, 0, v7, s3
	v_add_co_u32 v1, vcc_lo, v1, v5
	s_delay_alu instid0(VALU_DEP_3) | instskip(SKIP_2) | instid1(VALU_DEP_4)
	v_add_co_ci_u32_e32 v2, vcc_lo, v2, v6, vcc_lo
	v_cndmask_b32_e64 v4, 0, v8, s3
	v_cndmask_b32_e64 v5, 0, v9, s4
	v_add_co_u32 v1, vcc_lo, v1, v3
	v_cndmask_b32_e64 v3, 0, v10, s4
	s_delay_alu instid0(VALU_DEP_4) | instskip(SKIP_1) | instid1(VALU_DEP_4)
	v_add_co_ci_u32_e32 v2, vcc_lo, v2, v4, vcc_lo
	v_cndmask_b32_e64 v4, 0, v11, s5
	v_add_co_u32 v1, vcc_lo, v1, v5
	s_delay_alu instid0(VALU_DEP_3) | instskip(SKIP_2) | instid1(VALU_DEP_4)
	v_add_co_ci_u32_e32 v2, vcc_lo, v2, v3, vcc_lo
	v_cndmask_b32_e64 v5, 0, v12, s5
	v_mbcnt_lo_u32_b32 v3, -1, 0
	v_add_co_u32 v1, vcc_lo, v1, v4
	v_cndmask_b32_e64 v4, 0, v14, s6
	s_delay_alu instid0(VALU_DEP_4) | instskip(NEXT) | instid1(VALU_DEP_4)
	v_add_co_ci_u32_e32 v2, vcc_lo, v2, v5, vcc_lo
	v_cmp_ne_u32_e32 vcc_lo, 31, v3
	v_cndmask_b32_e64 v5, 0, v13, s6
	v_cndmask_b32_e64 v6, 0, v15, s7
	v_add_co_ci_u32_e32 v7, vcc_lo, 0, v3, vcc_lo
	s_delay_alu instid0(VALU_DEP_3) | instskip(SKIP_2) | instid1(VALU_DEP_3)
	v_add_co_u32 v1, vcc_lo, v1, v5
	v_add_co_ci_u32_e32 v2, vcc_lo, v2, v4, vcc_lo
	v_cndmask_b32_e64 v4, 0, v16, s7
	v_add_co_u32 v1, vcc_lo, v1, v6
	v_lshlrev_b32_e32 v5, 2, v7
	s_delay_alu instid0(VALU_DEP_3)
	v_add_co_ci_u32_e32 v2, vcc_lo, v2, v4, vcc_lo
	v_and_b32_e32 v4, 0x60, v0
	ds_bpermute_b32 v7, v5, v1
	ds_bpermute_b32 v6, v5, v2
	v_add_nc_u32_e32 v5, 1, v3
	v_sub_nc_u32_e64 v4, s2, v4 clamp
	s_delay_alu instid0(VALU_DEP_1)
	v_cmp_lt_u32_e32 vcc_lo, v5, v4
	v_mov_b32_e32 v5, v1
	s_and_saveexec_b32 s3, vcc_lo
	s_cbranch_execz .LBB115_638
; %bb.637:
	s_waitcnt lgkmcnt(1)
	v_add_co_u32 v5, vcc_lo, v1, v7
	v_add_co_ci_u32_e32 v2, vcc_lo, 0, v2, vcc_lo
	s_delay_alu instid0(VALU_DEP_2) | instskip(SKIP_1) | instid1(VALU_DEP_2)
	v_add_co_u32 v1, vcc_lo, v5, 0
	s_waitcnt lgkmcnt(0)
	v_add_co_ci_u32_e32 v2, vcc_lo, v2, v6, vcc_lo
.LBB115_638:
	s_or_b32 exec_lo, exec_lo, s3
	v_cmp_gt_u32_e32 vcc_lo, 30, v3
	v_add_nc_u32_e32 v8, 2, v3
	s_mov_b32 s3, exec_lo
	s_waitcnt lgkmcnt(0)
	v_cndmask_b32_e64 v6, 0, 1, vcc_lo
	s_delay_alu instid0(VALU_DEP_1) | instskip(NEXT) | instid1(VALU_DEP_1)
	v_lshlrev_b32_e32 v6, 1, v6
	v_add_lshl_u32 v6, v6, v3, 2
	ds_bpermute_b32 v7, v6, v5
	ds_bpermute_b32 v6, v6, v2
	v_cmpx_lt_u32_e64 v8, v4
	s_cbranch_execz .LBB115_640
; %bb.639:
	s_waitcnt lgkmcnt(1)
	v_add_co_u32 v5, vcc_lo, v1, v7
	v_add_co_ci_u32_e32 v2, vcc_lo, 0, v2, vcc_lo
	s_delay_alu instid0(VALU_DEP_2) | instskip(SKIP_1) | instid1(VALU_DEP_2)
	v_add_co_u32 v1, vcc_lo, 0, v5
	s_waitcnt lgkmcnt(0)
	v_add_co_ci_u32_e32 v2, vcc_lo, v6, v2, vcc_lo
.LBB115_640:
	s_or_b32 exec_lo, exec_lo, s3
	v_cmp_gt_u32_e32 vcc_lo, 28, v3
	v_add_nc_u32_e32 v8, 4, v3
	s_mov_b32 s3, exec_lo
	s_waitcnt lgkmcnt(0)
	v_cndmask_b32_e64 v6, 0, 1, vcc_lo
	s_delay_alu instid0(VALU_DEP_1) | instskip(NEXT) | instid1(VALU_DEP_1)
	v_lshlrev_b32_e32 v6, 2, v6
	v_add_lshl_u32 v6, v6, v3, 2
	ds_bpermute_b32 v7, v6, v5
	ds_bpermute_b32 v6, v6, v2
	v_cmpx_lt_u32_e64 v8, v4
	;; [unrolled: 22-line block ×3, first 2 shown]
	s_cbranch_execz .LBB115_644
; %bb.643:
	s_waitcnt lgkmcnt(1)
	v_add_co_u32 v5, vcc_lo, v1, v7
	v_add_co_ci_u32_e32 v2, vcc_lo, 0, v2, vcc_lo
	s_delay_alu instid0(VALU_DEP_2) | instskip(SKIP_1) | instid1(VALU_DEP_2)
	v_add_co_u32 v1, vcc_lo, 0, v5
	s_waitcnt lgkmcnt(0)
	v_add_co_ci_u32_e32 v2, vcc_lo, v6, v2, vcc_lo
.LBB115_644:
	s_or_b32 exec_lo, exec_lo, s3
	v_cmp_gt_u32_e32 vcc_lo, 16, v3
	s_mov_b32 s3, exec_lo
	s_waitcnt lgkmcnt(0)
	v_cndmask_b32_e64 v6, 0, 1, vcc_lo
	s_delay_alu instid0(VALU_DEP_1) | instskip(NEXT) | instid1(VALU_DEP_1)
	v_lshlrev_b32_e32 v6, 4, v6
	v_add_lshl_u32 v7, v6, v3, 2
	ds_bpermute_b32 v6, v7, v5
	ds_bpermute_b32 v5, v7, v2
	v_add_nc_u32_e32 v7, 16, v3
	s_delay_alu instid0(VALU_DEP_1)
	v_cmpx_lt_u32_e64 v7, v4
	s_cbranch_execz .LBB115_646
; %bb.645:
	s_waitcnt lgkmcnt(1)
	v_add_co_u32 v1, vcc_lo, v1, v6
	v_add_co_ci_u32_e32 v2, vcc_lo, 0, v2, vcc_lo
	s_delay_alu instid0(VALU_DEP_2) | instskip(SKIP_1) | instid1(VALU_DEP_2)
	v_add_co_u32 v1, vcc_lo, v1, 0
	s_waitcnt lgkmcnt(0)
	v_add_co_ci_u32_e32 v2, vcc_lo, v2, v5, vcc_lo
.LBB115_646:
	s_or_b32 exec_lo, exec_lo, s3
	s_delay_alu instid0(SALU_CYCLE_1)
	s_mov_b32 s3, exec_lo
	v_cmpx_eq_u32_e32 0, v3
	s_cbranch_execz .LBB115_648
; %bb.647:
	v_lshrrev_b32_e32 v4, 2, v0
	s_delay_alu instid0(VALU_DEP_1)
	v_and_b32_e32 v4, 24, v4
	ds_store_b64 v4, v[1:2] offset:256
.LBB115_648:
	s_or_b32 exec_lo, exec_lo, s3
	s_delay_alu instid0(SALU_CYCLE_1)
	s_mov_b32 s3, exec_lo
	s_waitcnt lgkmcnt(0)
	s_barrier
	buffer_gl0_inv
	v_cmpx_gt_u32_e32 4, v0
	s_cbranch_execz .LBB115_654
; %bb.649:
	v_lshlrev_b32_e32 v1, 3, v3
	s_add_i32 s2, s2, 31
	s_delay_alu instid0(SALU_CYCLE_1) | instskip(SKIP_2) | instid1(VALU_DEP_1)
	s_lshr_b32 s2, s2, 5
	ds_load_b64 v[1:2], v1 offset:256
	v_and_b32_e32 v4, 3, v3
	v_cmp_ne_u32_e32 vcc_lo, 3, v4
	v_add_co_ci_u32_e32 v5, vcc_lo, 0, v3, vcc_lo
	s_delay_alu instid0(VALU_DEP_1) | instskip(SKIP_4) | instid1(VALU_DEP_1)
	v_lshlrev_b32_e32 v5, 2, v5
	s_waitcnt lgkmcnt(0)
	ds_bpermute_b32 v7, v5, v1
	ds_bpermute_b32 v6, v5, v2
	v_add_nc_u32_e32 v5, 1, v4
	v_cmp_gt_u32_e32 vcc_lo, s2, v5
	v_mov_b32_e32 v5, v1
	s_and_saveexec_b32 s4, vcc_lo
	s_cbranch_execz .LBB115_651
; %bb.650:
	s_waitcnt lgkmcnt(1)
	v_add_co_u32 v5, vcc_lo, v1, v7
	v_add_co_ci_u32_e32 v2, vcc_lo, 0, v2, vcc_lo
	s_delay_alu instid0(VALU_DEP_2) | instskip(SKIP_1) | instid1(VALU_DEP_2)
	v_add_co_u32 v1, vcc_lo, 0, v5
	s_waitcnt lgkmcnt(0)
	v_add_co_ci_u32_e32 v2, vcc_lo, v6, v2, vcc_lo
.LBB115_651:
	s_or_b32 exec_lo, exec_lo, s4
	v_cmp_gt_u32_e32 vcc_lo, 2, v4
	v_add_nc_u32_e32 v4, 2, v4
	s_waitcnt lgkmcnt(0)
	v_cndmask_b32_e64 v6, 0, 1, vcc_lo
	s_delay_alu instid0(VALU_DEP_2) | instskip(NEXT) | instid1(VALU_DEP_2)
	v_cmp_gt_u32_e32 vcc_lo, s2, v4
	v_lshlrev_b32_e32 v6, 1, v6
	s_delay_alu instid0(VALU_DEP_1)
	v_add_lshl_u32 v3, v6, v3, 2
	ds_bpermute_b32 v5, v3, v5
	ds_bpermute_b32 v3, v3, v2
	s_and_saveexec_b32 s2, vcc_lo
	s_cbranch_execz .LBB115_653
; %bb.652:
	s_waitcnt lgkmcnt(1)
	v_add_co_u32 v1, vcc_lo, v1, v5
	v_add_co_ci_u32_e32 v2, vcc_lo, 0, v2, vcc_lo
	s_delay_alu instid0(VALU_DEP_2) | instskip(SKIP_1) | instid1(VALU_DEP_2)
	v_add_co_u32 v1, vcc_lo, v1, 0
	s_waitcnt lgkmcnt(0)
	v_add_co_ci_u32_e32 v2, vcc_lo, v2, v3, vcc_lo
.LBB115_653:
	s_or_b32 exec_lo, exec_lo, s2
.LBB115_654:
	s_delay_alu instid0(SALU_CYCLE_1)
	s_or_b32 exec_lo, exec_lo, s3
	v_cmp_eq_u32_e64 s2, 0, v0
	s_branch .LBB115_692
.LBB115_655:
	s_cmp_eq_u32 s26, 4
                                        ; implicit-def: $vgpr1_vgpr2
	s_cbranch_scc0 .LBB115_692
; %bb.656:
	s_mov_b32 s19, 0
	s_lshl_b32 s2, s18, 9
	s_mov_b32 s3, s19
	s_lshr_b64 s[6:7], s[20:21], 9
	s_lshl_b64 s[4:5], s[2:3], 1
	s_delay_alu instid0(SALU_CYCLE_1)
	s_add_u32 s4, s24, s4
	s_addc_u32 s5, s25, s5
	s_cmp_lg_u64 s[6:7], s[18:19]
	s_cbranch_scc0 .LBB115_662
; %bb.657:
	v_lshlrev_b32_e32 v1, 1, v0
	global_load_u16 v2, v1, s[4:5]
	s_waitcnt lgkmcnt(0)
	s_clause 0x2
	global_load_u16 v3, v1, s[4:5] offset:256
	global_load_u16 v4, v1, s[4:5] offset:512
	;; [unrolled: 1-line block ×3, first 2 shown]
	s_waitcnt vmcnt(3)
	v_cmp_ne_u16_e32 vcc_lo, 0, v2
	v_cndmask_b32_e64 v2, 0, 1, vcc_lo
	s_waitcnt vmcnt(2)
	v_cmp_ne_u16_e32 vcc_lo, 0, v3
	v_cndmask_b32_e64 v3, 0, 1, vcc_lo
	s_waitcnt vmcnt(1)
	v_cmp_ne_u16_e32 vcc_lo, 0, v4
	s_delay_alu instid0(VALU_DEP_2)
	v_add_co_u32 v2, s3, v3, v2
	v_cndmask_b32_e64 v4, 0, 1, vcc_lo
	s_waitcnt vmcnt(0)
	v_cmp_ne_u16_e32 vcc_lo, 0, v1
	v_add_co_ci_u32_e64 v3, null, 0, 0, s3
	s_mov_b32 s3, exec_lo
	v_cndmask_b32_e64 v1, 0, 1, vcc_lo
	v_add_co_u32 v2, vcc_lo, v2, v4
	v_mov_b32_e32 v4, 0
	v_add_co_ci_u32_e32 v3, vcc_lo, 0, v3, vcc_lo
	s_delay_alu instid0(VALU_DEP_3) | instskip(NEXT) | instid1(VALU_DEP_2)
	v_add_co_u32 v1, vcc_lo, v2, v1
	v_add_co_ci_u32_e32 v2, vcc_lo, 0, v3, vcc_lo
	s_delay_alu instid0(VALU_DEP_2) | instskip(NEXT) | instid1(VALU_DEP_1)
	v_mov_b32_dpp v3, v1 quad_perm:[1,0,3,2] row_mask:0xf bank_mask:0xf
	v_add_co_u32 v1, vcc_lo, v1, v3
	v_mov_b32_dpp v3, v4 quad_perm:[1,0,3,2] row_mask:0xf bank_mask:0xf
	s_delay_alu instid0(VALU_DEP_4) | instskip(NEXT) | instid1(VALU_DEP_3)
	v_add_co_ci_u32_e32 v2, vcc_lo, 0, v2, vcc_lo
	v_mov_b32_dpp v5, v1 quad_perm:[2,3,0,1] row_mask:0xf bank_mask:0xf
	v_add_co_u32 v1, vcc_lo, 0, v1
	s_delay_alu instid0(VALU_DEP_3) | instskip(NEXT) | instid1(VALU_DEP_2)
	v_add_co_ci_u32_e32 v2, vcc_lo, v3, v2, vcc_lo
	v_add_co_u32 v1, vcc_lo, v1, v5
	s_delay_alu instid0(VALU_DEP_2) | instskip(SKIP_1) | instid1(VALU_DEP_3)
	v_mov_b32_dpp v3, v2 quad_perm:[2,3,0,1] row_mask:0xf bank_mask:0xf
	v_add_co_ci_u32_e32 v2, vcc_lo, 0, v2, vcc_lo
	v_mov_b32_dpp v5, v1 row_ror:4 row_mask:0xf bank_mask:0xf
	v_add_co_u32 v1, vcc_lo, v1, 0
	s_delay_alu instid0(VALU_DEP_3) | instskip(NEXT) | instid1(VALU_DEP_2)
	v_add_co_ci_u32_e32 v2, vcc_lo, v2, v3, vcc_lo
	v_add_co_u32 v1, vcc_lo, v1, v5
	s_delay_alu instid0(VALU_DEP_2) | instskip(SKIP_1) | instid1(VALU_DEP_3)
	v_mov_b32_dpp v3, v2 row_ror:4 row_mask:0xf bank_mask:0xf
	v_add_co_ci_u32_e32 v2, vcc_lo, 0, v2, vcc_lo
	v_mov_b32_dpp v5, v1 row_ror:8 row_mask:0xf bank_mask:0xf
	v_add_co_u32 v1, vcc_lo, v1, 0
	s_delay_alu instid0(VALU_DEP_3) | instskip(NEXT) | instid1(VALU_DEP_2)
	v_add_co_ci_u32_e32 v2, vcc_lo, v2, v3, vcc_lo
	v_add_co_u32 v1, vcc_lo, v1, v5
	s_delay_alu instid0(VALU_DEP_2)
	v_mov_b32_dpp v3, v2 row_ror:8 row_mask:0xf bank_mask:0xf
	v_add_co_ci_u32_e32 v2, vcc_lo, 0, v2, vcc_lo
	ds_swizzle_b32 v5, v1 offset:swizzle(BROADCAST,32,15)
	v_add_co_u32 v1, vcc_lo, v1, 0
	v_add_co_ci_u32_e32 v2, vcc_lo, v2, v3, vcc_lo
	ds_swizzle_b32 v3, v2 offset:swizzle(BROADCAST,32,15)
	s_waitcnt lgkmcnt(1)
	v_add_co_u32 v1, vcc_lo, v1, v5
	v_add_co_ci_u32_e32 v2, vcc_lo, 0, v2, vcc_lo
	ds_bpermute_b32 v1, v4, v1 offset:124
	s_waitcnt lgkmcnt(1)
	v_add_nc_u32_e32 v2, v3, v2
	v_mbcnt_lo_u32_b32 v3, -1, 0
	ds_bpermute_b32 v2, v4, v2 offset:124
	v_cmpx_eq_u32_e32 0, v3
	s_cbranch_execz .LBB115_659
; %bb.658:
	v_lshrrev_b32_e32 v4, 2, v0
	s_delay_alu instid0(VALU_DEP_1)
	v_and_b32_e32 v4, 24, v4
	s_waitcnt lgkmcnt(0)
	ds_store_b64 v4, v[1:2] offset:160
.LBB115_659:
	s_or_b32 exec_lo, exec_lo, s3
	s_delay_alu instid0(SALU_CYCLE_1)
	s_mov_b32 s3, exec_lo
	s_waitcnt lgkmcnt(0)
	s_barrier
	buffer_gl0_inv
	v_cmpx_gt_u32_e32 32, v0
	s_cbranch_execz .LBB115_661
; %bb.660:
	v_and_b32_e32 v4, 3, v3
	s_delay_alu instid0(VALU_DEP_1) | instskip(SKIP_4) | instid1(VALU_DEP_2)
	v_lshlrev_b32_e32 v1, 3, v4
	v_cmp_ne_u32_e32 vcc_lo, 3, v4
	ds_load_b64 v[1:2], v1 offset:160
	v_add_co_ci_u32_e32 v5, vcc_lo, 0, v3, vcc_lo
	v_cmp_gt_u32_e32 vcc_lo, 2, v4
	v_lshlrev_b32_e32 v5, 2, v5
	v_cndmask_b32_e64 v4, 0, 1, vcc_lo
	s_delay_alu instid0(VALU_DEP_1) | instskip(NEXT) | instid1(VALU_DEP_1)
	v_lshlrev_b32_e32 v4, 1, v4
	v_add_lshl_u32 v3, v4, v3, 2
	s_waitcnt lgkmcnt(0)
	ds_bpermute_b32 v6, v5, v1
	ds_bpermute_b32 v5, v5, v2
	s_waitcnt lgkmcnt(1)
	v_add_co_u32 v1, vcc_lo, v1, v6
	v_add_co_ci_u32_e32 v2, vcc_lo, 0, v2, vcc_lo
	ds_bpermute_b32 v4, v3, v1
	v_add_co_u32 v1, vcc_lo, 0, v1
	s_waitcnt lgkmcnt(1)
	v_add_co_ci_u32_e32 v2, vcc_lo, v5, v2, vcc_lo
	ds_bpermute_b32 v3, v3, v2
	s_waitcnt lgkmcnt(1)
	v_add_co_u32 v1, vcc_lo, v1, v4
	v_add_co_ci_u32_e32 v2, vcc_lo, 0, v2, vcc_lo
	s_delay_alu instid0(VALU_DEP_2) | instskip(SKIP_1) | instid1(VALU_DEP_2)
	v_add_co_u32 v1, vcc_lo, v1, 0
	s_waitcnt lgkmcnt(0)
	v_add_co_ci_u32_e32 v2, vcc_lo, v2, v3, vcc_lo
.LBB115_661:
	s_or_b32 exec_lo, exec_lo, s3
	s_mov_b32 s3, 0
	s_branch .LBB115_663
.LBB115_662:
	s_mov_b32 s3, -1
                                        ; implicit-def: $vgpr1_vgpr2
.LBB115_663:
	s_delay_alu instid0(SALU_CYCLE_1)
	s_and_b32 vcc_lo, exec_lo, s3
	s_cbranch_vccz .LBB115_691
; %bb.664:
	s_sub_i32 s6, s20, s2
	s_mov_b32 s2, exec_lo
                                        ; implicit-def: $vgpr1_vgpr2_vgpr3_vgpr4_vgpr5_vgpr6_vgpr7_vgpr8
	v_cmpx_gt_u32_e64 s6, v0
	s_cbranch_execz .LBB115_666
; %bb.665:
	v_dual_mov_b32 v2, 0 :: v_dual_lshlrev_b32 v1, 1, v0
	global_load_u16 v1, v1, s[4:5]
	s_waitcnt vmcnt(0)
	v_cmp_ne_u16_e32 vcc_lo, 0, v1
	v_cndmask_b32_e64 v1, 0, 1, vcc_lo
.LBB115_666:
	s_or_b32 exec_lo, exec_lo, s2
	v_or_b32_e32 v9, 0x80, v0
	s_delay_alu instid0(VALU_DEP_1)
	v_cmp_gt_u32_e32 vcc_lo, s6, v9
	s_and_saveexec_b32 s3, vcc_lo
	s_cbranch_execz .LBB115_668
; %bb.667:
	s_waitcnt lgkmcnt(0)
	v_dual_mov_b32 v4, 0 :: v_dual_lshlrev_b32 v3, 1, v0
	global_load_u16 v3, v3, s[4:5] offset:256
	s_waitcnt vmcnt(0)
	v_cmp_ne_u16_e64 s2, 0, v3
	s_delay_alu instid0(VALU_DEP_1)
	v_cndmask_b32_e64 v3, 0, 1, s2
.LBB115_668:
	s_or_b32 exec_lo, exec_lo, s3
	v_or_b32_e32 v9, 0x100, v0
	s_delay_alu instid0(VALU_DEP_1) | instskip(NEXT) | instid1(VALU_DEP_1)
	v_cmp_gt_u32_e64 s2, s6, v9
	s_and_saveexec_b32 s7, s2
	s_cbranch_execz .LBB115_670
; %bb.669:
	s_waitcnt lgkmcnt(1)
	v_dual_mov_b32 v6, 0 :: v_dual_lshlrev_b32 v5, 1, v0
	global_load_u16 v5, v5, s[4:5] offset:512
	s_waitcnt vmcnt(0)
	v_cmp_ne_u16_e64 s3, 0, v5
	s_delay_alu instid0(VALU_DEP_1)
	v_cndmask_b32_e64 v5, 0, 1, s3
.LBB115_670:
	s_or_b32 exec_lo, exec_lo, s7
	v_or_b32_e32 v9, 0x180, v0
	s_delay_alu instid0(VALU_DEP_1) | instskip(NEXT) | instid1(VALU_DEP_1)
	v_cmp_gt_u32_e64 s3, s6, v9
	s_and_saveexec_b32 s7, s3
	s_cbranch_execz .LBB115_672
; %bb.671:
	v_dual_mov_b32 v8, 0 :: v_dual_lshlrev_b32 v7, 1, v0
	global_load_u16 v7, v7, s[4:5] offset:768
	s_waitcnt vmcnt(0)
	v_cmp_ne_u16_e64 s4, 0, v7
	s_delay_alu instid0(VALU_DEP_1)
	v_cndmask_b32_e64 v7, 0, 1, s4
.LBB115_672:
	s_or_b32 exec_lo, exec_lo, s7
	s_waitcnt lgkmcnt(0)
	v_dual_cndmask_b32 v9, 0, v3 :: v_dual_cndmask_b32 v4, 0, v4
	v_mbcnt_lo_u32_b32 v3, -1, 0
	v_cndmask_b32_e64 v5, 0, v5, s2
	s_delay_alu instid0(VALU_DEP_3) | instskip(NEXT) | instid1(VALU_DEP_4)
	v_add_co_u32 v1, vcc_lo, v9, v1
	v_add_co_ci_u32_e32 v2, vcc_lo, v4, v2, vcc_lo
	s_delay_alu instid0(VALU_DEP_4)
	v_cmp_ne_u32_e32 vcc_lo, 31, v3
	v_cndmask_b32_e64 v4, 0, v6, s2
	v_cndmask_b32_e64 v6, 0, v7, s3
	s_min_u32 s2, s6, 0x80
	v_add_co_ci_u32_e32 v7, vcc_lo, 0, v3, vcc_lo
	v_add_co_u32 v1, vcc_lo, v1, v5
	v_add_co_ci_u32_e32 v2, vcc_lo, v2, v4, vcc_lo
	v_cndmask_b32_e64 v4, 0, v8, s3
	s_delay_alu instid0(VALU_DEP_3) | instskip(SKIP_1) | instid1(VALU_DEP_3)
	v_add_co_u32 v1, vcc_lo, v1, v6
	v_lshlrev_b32_e32 v5, 2, v7
	v_add_co_ci_u32_e32 v2, vcc_lo, v2, v4, vcc_lo
	v_and_b32_e32 v4, 0x60, v0
	ds_bpermute_b32 v7, v5, v1
	ds_bpermute_b32 v6, v5, v2
	v_add_nc_u32_e32 v5, 1, v3
	v_sub_nc_u32_e64 v4, s2, v4 clamp
	s_delay_alu instid0(VALU_DEP_1)
	v_cmp_lt_u32_e32 vcc_lo, v5, v4
	v_mov_b32_e32 v5, v1
	s_and_saveexec_b32 s3, vcc_lo
	s_cbranch_execz .LBB115_674
; %bb.673:
	s_waitcnt lgkmcnt(1)
	v_add_co_u32 v5, vcc_lo, v1, v7
	v_add_co_ci_u32_e32 v2, vcc_lo, 0, v2, vcc_lo
	s_delay_alu instid0(VALU_DEP_2) | instskip(SKIP_1) | instid1(VALU_DEP_2)
	v_add_co_u32 v1, vcc_lo, v5, 0
	s_waitcnt lgkmcnt(0)
	v_add_co_ci_u32_e32 v2, vcc_lo, v2, v6, vcc_lo
.LBB115_674:
	s_or_b32 exec_lo, exec_lo, s3
	v_cmp_gt_u32_e32 vcc_lo, 30, v3
	v_add_nc_u32_e32 v8, 2, v3
	s_mov_b32 s3, exec_lo
	s_waitcnt lgkmcnt(0)
	v_cndmask_b32_e64 v6, 0, 1, vcc_lo
	s_delay_alu instid0(VALU_DEP_1) | instskip(NEXT) | instid1(VALU_DEP_1)
	v_lshlrev_b32_e32 v6, 1, v6
	v_add_lshl_u32 v6, v6, v3, 2
	ds_bpermute_b32 v7, v6, v5
	ds_bpermute_b32 v6, v6, v2
	v_cmpx_lt_u32_e64 v8, v4
	s_cbranch_execz .LBB115_676
; %bb.675:
	s_waitcnt lgkmcnt(1)
	v_add_co_u32 v5, vcc_lo, v1, v7
	v_add_co_ci_u32_e32 v2, vcc_lo, 0, v2, vcc_lo
	s_delay_alu instid0(VALU_DEP_2) | instskip(SKIP_1) | instid1(VALU_DEP_2)
	v_add_co_u32 v1, vcc_lo, 0, v5
	s_waitcnt lgkmcnt(0)
	v_add_co_ci_u32_e32 v2, vcc_lo, v6, v2, vcc_lo
.LBB115_676:
	s_or_b32 exec_lo, exec_lo, s3
	v_cmp_gt_u32_e32 vcc_lo, 28, v3
	v_add_nc_u32_e32 v8, 4, v3
	s_mov_b32 s3, exec_lo
	s_waitcnt lgkmcnt(0)
	v_cndmask_b32_e64 v6, 0, 1, vcc_lo
	s_delay_alu instid0(VALU_DEP_1) | instskip(NEXT) | instid1(VALU_DEP_1)
	v_lshlrev_b32_e32 v6, 2, v6
	v_add_lshl_u32 v6, v6, v3, 2
	ds_bpermute_b32 v7, v6, v5
	ds_bpermute_b32 v6, v6, v2
	v_cmpx_lt_u32_e64 v8, v4
	;; [unrolled: 22-line block ×3, first 2 shown]
	s_cbranch_execz .LBB115_680
; %bb.679:
	s_waitcnt lgkmcnt(1)
	v_add_co_u32 v5, vcc_lo, v1, v7
	v_add_co_ci_u32_e32 v2, vcc_lo, 0, v2, vcc_lo
	s_delay_alu instid0(VALU_DEP_2) | instskip(SKIP_1) | instid1(VALU_DEP_2)
	v_add_co_u32 v1, vcc_lo, 0, v5
	s_waitcnt lgkmcnt(0)
	v_add_co_ci_u32_e32 v2, vcc_lo, v6, v2, vcc_lo
.LBB115_680:
	s_or_b32 exec_lo, exec_lo, s3
	v_cmp_gt_u32_e32 vcc_lo, 16, v3
	s_mov_b32 s3, exec_lo
	s_waitcnt lgkmcnt(0)
	v_cndmask_b32_e64 v6, 0, 1, vcc_lo
	s_delay_alu instid0(VALU_DEP_1) | instskip(NEXT) | instid1(VALU_DEP_1)
	v_lshlrev_b32_e32 v6, 4, v6
	v_add_lshl_u32 v7, v6, v3, 2
	ds_bpermute_b32 v6, v7, v5
	ds_bpermute_b32 v5, v7, v2
	v_add_nc_u32_e32 v7, 16, v3
	s_delay_alu instid0(VALU_DEP_1)
	v_cmpx_lt_u32_e64 v7, v4
	s_cbranch_execz .LBB115_682
; %bb.681:
	s_waitcnt lgkmcnt(1)
	v_add_co_u32 v1, vcc_lo, v1, v6
	v_add_co_ci_u32_e32 v2, vcc_lo, 0, v2, vcc_lo
	s_delay_alu instid0(VALU_DEP_2) | instskip(SKIP_1) | instid1(VALU_DEP_2)
	v_add_co_u32 v1, vcc_lo, v1, 0
	s_waitcnt lgkmcnt(0)
	v_add_co_ci_u32_e32 v2, vcc_lo, v2, v5, vcc_lo
.LBB115_682:
	s_or_b32 exec_lo, exec_lo, s3
	s_delay_alu instid0(SALU_CYCLE_1)
	s_mov_b32 s3, exec_lo
	v_cmpx_eq_u32_e32 0, v3
	s_cbranch_execz .LBB115_684
; %bb.683:
	v_lshrrev_b32_e32 v4, 2, v0
	s_delay_alu instid0(VALU_DEP_1)
	v_and_b32_e32 v4, 24, v4
	ds_store_b64 v4, v[1:2] offset:256
.LBB115_684:
	s_or_b32 exec_lo, exec_lo, s3
	s_delay_alu instid0(SALU_CYCLE_1)
	s_mov_b32 s3, exec_lo
	s_waitcnt lgkmcnt(0)
	s_barrier
	buffer_gl0_inv
	v_cmpx_gt_u32_e32 4, v0
	s_cbranch_execz .LBB115_690
; %bb.685:
	v_lshlrev_b32_e32 v1, 3, v3
	s_add_i32 s2, s2, 31
	s_delay_alu instid0(SALU_CYCLE_1) | instskip(SKIP_2) | instid1(VALU_DEP_1)
	s_lshr_b32 s2, s2, 5
	ds_load_b64 v[1:2], v1 offset:256
	v_and_b32_e32 v4, 3, v3
	v_cmp_ne_u32_e32 vcc_lo, 3, v4
	v_add_co_ci_u32_e32 v5, vcc_lo, 0, v3, vcc_lo
	s_delay_alu instid0(VALU_DEP_1) | instskip(SKIP_4) | instid1(VALU_DEP_1)
	v_lshlrev_b32_e32 v5, 2, v5
	s_waitcnt lgkmcnt(0)
	ds_bpermute_b32 v7, v5, v1
	ds_bpermute_b32 v6, v5, v2
	v_add_nc_u32_e32 v5, 1, v4
	v_cmp_gt_u32_e32 vcc_lo, s2, v5
	v_mov_b32_e32 v5, v1
	s_and_saveexec_b32 s4, vcc_lo
	s_cbranch_execz .LBB115_687
; %bb.686:
	s_waitcnt lgkmcnt(1)
	v_add_co_u32 v5, vcc_lo, v1, v7
	v_add_co_ci_u32_e32 v2, vcc_lo, 0, v2, vcc_lo
	s_delay_alu instid0(VALU_DEP_2) | instskip(SKIP_1) | instid1(VALU_DEP_2)
	v_add_co_u32 v1, vcc_lo, 0, v5
	s_waitcnt lgkmcnt(0)
	v_add_co_ci_u32_e32 v2, vcc_lo, v6, v2, vcc_lo
.LBB115_687:
	s_or_b32 exec_lo, exec_lo, s4
	v_cmp_gt_u32_e32 vcc_lo, 2, v4
	v_add_nc_u32_e32 v4, 2, v4
	s_waitcnt lgkmcnt(0)
	v_cndmask_b32_e64 v6, 0, 1, vcc_lo
	s_delay_alu instid0(VALU_DEP_2) | instskip(NEXT) | instid1(VALU_DEP_2)
	v_cmp_gt_u32_e32 vcc_lo, s2, v4
	v_lshlrev_b32_e32 v6, 1, v6
	s_delay_alu instid0(VALU_DEP_1)
	v_add_lshl_u32 v3, v6, v3, 2
	ds_bpermute_b32 v5, v3, v5
	ds_bpermute_b32 v3, v3, v2
	s_and_saveexec_b32 s2, vcc_lo
	s_cbranch_execz .LBB115_689
; %bb.688:
	s_waitcnt lgkmcnt(1)
	v_add_co_u32 v1, vcc_lo, v1, v5
	v_add_co_ci_u32_e32 v2, vcc_lo, 0, v2, vcc_lo
	s_delay_alu instid0(VALU_DEP_2) | instskip(SKIP_1) | instid1(VALU_DEP_2)
	v_add_co_u32 v1, vcc_lo, v1, 0
	s_waitcnt lgkmcnt(0)
	v_add_co_ci_u32_e32 v2, vcc_lo, v2, v3, vcc_lo
.LBB115_689:
	s_or_b32 exec_lo, exec_lo, s2
.LBB115_690:
	s_delay_alu instid0(SALU_CYCLE_1)
	s_or_b32 exec_lo, exec_lo, s3
.LBB115_691:
	v_cmp_eq_u32_e64 s2, 0, v0
.LBB115_692:
	s_branch .LBB115_758
.LBB115_693:
	s_cmp_gt_i32 s26, 1
	s_cbranch_scc0 .LBB115_702
; %bb.694:
	s_cmp_eq_u32 s26, 2
                                        ; implicit-def: $vgpr1_vgpr2
	s_cbranch_scc0 .LBB115_703
; %bb.695:
	s_mov_b32 s19, 0
	s_lshl_b32 s4, s18, 8
	s_mov_b32 s5, s19
	s_lshr_b64 s[6:7], s[20:21], 8
	s_lshl_b64 s[2:3], s[4:5], 1
	s_delay_alu instid0(SALU_CYCLE_1)
	s_add_u32 s2, s24, s2
	s_addc_u32 s3, s25, s3
	s_cmp_lg_u64 s[6:7], s[18:19]
	s_cbranch_scc0 .LBB115_704
; %bb.696:
	v_dual_mov_b32 v4, 0 :: v_dual_lshlrev_b32 v1, 1, v0
	s_clause 0x1
	global_load_u16 v2, v1, s[2:3]
	global_load_u16 v1, v1, s[2:3] offset:256
	s_waitcnt vmcnt(1)
	v_cmp_ne_u16_e32 vcc_lo, 0, v2
	v_cndmask_b32_e64 v2, 0, 1, vcc_lo
	s_waitcnt vmcnt(0)
	v_cmp_ne_u16_e32 vcc_lo, 0, v1
	v_cndmask_b32_e64 v1, 0, 1, vcc_lo
	s_delay_alu instid0(VALU_DEP_1) | instskip(NEXT) | instid1(VALU_DEP_1)
	v_add_co_u32 v1, s5, v1, v2
	v_add_co_ci_u32_e64 v2, null, 0, 0, s5
	s_mov_b32 s5, exec_lo
	s_waitcnt lgkmcnt(0)
	s_delay_alu instid0(VALU_DEP_2) | instskip(NEXT) | instid1(VALU_DEP_1)
	v_mov_b32_dpp v3, v1 quad_perm:[1,0,3,2] row_mask:0xf bank_mask:0xf
	v_add_co_u32 v1, vcc_lo, v1, v3
	v_mov_b32_dpp v3, v4 quad_perm:[1,0,3,2] row_mask:0xf bank_mask:0xf
	v_add_co_ci_u32_e32 v2, vcc_lo, 0, v2, vcc_lo
	s_delay_alu instid0(VALU_DEP_3) | instskip(SKIP_1) | instid1(VALU_DEP_3)
	v_mov_b32_dpp v5, v1 quad_perm:[2,3,0,1] row_mask:0xf bank_mask:0xf
	v_add_co_u32 v1, vcc_lo, 0, v1
	v_add_co_ci_u32_e32 v2, vcc_lo, v3, v2, vcc_lo
	s_delay_alu instid0(VALU_DEP_2) | instskip(NEXT) | instid1(VALU_DEP_2)
	v_add_co_u32 v1, vcc_lo, v1, v5
	v_mov_b32_dpp v3, v2 quad_perm:[2,3,0,1] row_mask:0xf bank_mask:0xf
	v_add_co_ci_u32_e32 v2, vcc_lo, 0, v2, vcc_lo
	s_delay_alu instid0(VALU_DEP_3) | instskip(SKIP_1) | instid1(VALU_DEP_3)
	v_mov_b32_dpp v5, v1 row_ror:4 row_mask:0xf bank_mask:0xf
	v_add_co_u32 v1, vcc_lo, v1, 0
	v_add_co_ci_u32_e32 v2, vcc_lo, v2, v3, vcc_lo
	s_delay_alu instid0(VALU_DEP_2) | instskip(NEXT) | instid1(VALU_DEP_2)
	v_add_co_u32 v1, vcc_lo, v1, v5
	v_mov_b32_dpp v3, v2 row_ror:4 row_mask:0xf bank_mask:0xf
	v_add_co_ci_u32_e32 v2, vcc_lo, 0, v2, vcc_lo
	s_delay_alu instid0(VALU_DEP_3) | instskip(SKIP_1) | instid1(VALU_DEP_3)
	v_mov_b32_dpp v5, v1 row_ror:8 row_mask:0xf bank_mask:0xf
	v_add_co_u32 v1, vcc_lo, v1, 0
	v_add_co_ci_u32_e32 v2, vcc_lo, v2, v3, vcc_lo
	s_delay_alu instid0(VALU_DEP_2) | instskip(NEXT) | instid1(VALU_DEP_2)
	v_add_co_u32 v1, vcc_lo, v1, v5
	v_mov_b32_dpp v3, v2 row_ror:8 row_mask:0xf bank_mask:0xf
	v_add_co_ci_u32_e32 v2, vcc_lo, 0, v2, vcc_lo
	ds_swizzle_b32 v5, v1 offset:swizzle(BROADCAST,32,15)
	v_add_co_u32 v1, vcc_lo, v1, 0
	v_add_co_ci_u32_e32 v2, vcc_lo, v2, v3, vcc_lo
	ds_swizzle_b32 v3, v2 offset:swizzle(BROADCAST,32,15)
	s_waitcnt lgkmcnt(1)
	v_add_co_u32 v1, vcc_lo, v1, v5
	v_add_co_ci_u32_e32 v2, vcc_lo, 0, v2, vcc_lo
	ds_bpermute_b32 v1, v4, v1 offset:124
	s_waitcnt lgkmcnt(1)
	v_add_nc_u32_e32 v2, v3, v2
	v_mbcnt_lo_u32_b32 v3, -1, 0
	ds_bpermute_b32 v2, v4, v2 offset:124
	v_cmpx_eq_u32_e32 0, v3
	s_cbranch_execz .LBB115_698
; %bb.697:
	v_lshrrev_b32_e32 v4, 2, v0
	s_delay_alu instid0(VALU_DEP_1)
	v_and_b32_e32 v4, 24, v4
	s_waitcnt lgkmcnt(0)
	ds_store_b64 v4, v[1:2] offset:96
.LBB115_698:
	s_or_b32 exec_lo, exec_lo, s5
	s_delay_alu instid0(SALU_CYCLE_1)
	s_mov_b32 s5, exec_lo
	s_waitcnt lgkmcnt(0)
	s_barrier
	buffer_gl0_inv
	v_cmpx_gt_u32_e32 32, v0
	s_cbranch_execz .LBB115_700
; %bb.699:
	v_and_b32_e32 v4, 3, v3
	s_delay_alu instid0(VALU_DEP_1) | instskip(SKIP_4) | instid1(VALU_DEP_2)
	v_lshlrev_b32_e32 v1, 3, v4
	v_cmp_ne_u32_e32 vcc_lo, 3, v4
	ds_load_b64 v[1:2], v1 offset:96
	v_add_co_ci_u32_e32 v5, vcc_lo, 0, v3, vcc_lo
	v_cmp_gt_u32_e32 vcc_lo, 2, v4
	v_lshlrev_b32_e32 v5, 2, v5
	v_cndmask_b32_e64 v4, 0, 1, vcc_lo
	s_delay_alu instid0(VALU_DEP_1) | instskip(NEXT) | instid1(VALU_DEP_1)
	v_lshlrev_b32_e32 v4, 1, v4
	v_add_lshl_u32 v3, v4, v3, 2
	s_waitcnt lgkmcnt(0)
	ds_bpermute_b32 v6, v5, v1
	ds_bpermute_b32 v5, v5, v2
	s_waitcnt lgkmcnt(1)
	v_add_co_u32 v1, vcc_lo, v1, v6
	v_add_co_ci_u32_e32 v2, vcc_lo, 0, v2, vcc_lo
	ds_bpermute_b32 v4, v3, v1
	v_add_co_u32 v1, vcc_lo, 0, v1
	s_waitcnt lgkmcnt(1)
	v_add_co_ci_u32_e32 v2, vcc_lo, v5, v2, vcc_lo
	ds_bpermute_b32 v3, v3, v2
	s_waitcnt lgkmcnt(1)
	v_add_co_u32 v1, vcc_lo, v1, v4
	v_add_co_ci_u32_e32 v2, vcc_lo, 0, v2, vcc_lo
	s_delay_alu instid0(VALU_DEP_2) | instskip(SKIP_1) | instid1(VALU_DEP_2)
	v_add_co_u32 v1, vcc_lo, v1, 0
	s_waitcnt lgkmcnt(0)
	v_add_co_ci_u32_e32 v2, vcc_lo, v2, v3, vcc_lo
.LBB115_700:
	s_or_b32 exec_lo, exec_lo, s5
.LBB115_701:
	v_cmp_eq_u32_e64 s2, 0, v0
	s_branch .LBB115_758
.LBB115_702:
                                        ; implicit-def: $vgpr1_vgpr2
	s_cbranch_execnz .LBB115_728
	s_branch .LBB115_758
.LBB115_703:
	s_branch .LBB115_758
.LBB115_704:
                                        ; implicit-def: $vgpr1_vgpr2
	s_cbranch_execz .LBB115_701
; %bb.705:
	s_sub_i32 s4, s20, s4
	s_mov_b32 s5, exec_lo
                                        ; implicit-def: $vgpr1_vgpr2_vgpr3_vgpr4
	v_cmpx_gt_u32_e64 s4, v0
	s_cbranch_execz .LBB115_707
; %bb.706:
	v_dual_mov_b32 v2, 0 :: v_dual_lshlrev_b32 v1, 1, v0
	global_load_u16 v1, v1, s[2:3]
	s_waitcnt vmcnt(0)
	v_cmp_ne_u16_e32 vcc_lo, 0, v1
	v_cndmask_b32_e64 v1, 0, 1, vcc_lo
.LBB115_707:
	s_or_b32 exec_lo, exec_lo, s5
	s_waitcnt lgkmcnt(1)
	v_or_b32_e32 v5, 0x80, v0
	s_delay_alu instid0(VALU_DEP_1)
	v_cmp_gt_u32_e32 vcc_lo, s4, v5
	s_and_saveexec_b32 s5, vcc_lo
	s_cbranch_execz .LBB115_709
; %bb.708:
	s_waitcnt lgkmcnt(0)
	v_dual_mov_b32 v4, 0 :: v_dual_lshlrev_b32 v3, 1, v0
	global_load_u16 v3, v3, s[2:3] offset:256
	s_waitcnt vmcnt(0)
	v_cmp_ne_u16_e64 s2, 0, v3
	s_delay_alu instid0(VALU_DEP_1)
	v_cndmask_b32_e64 v3, 0, 1, s2
.LBB115_709:
	s_or_b32 exec_lo, exec_lo, s5
	v_mbcnt_lo_u32_b32 v5, -1, 0
	s_waitcnt lgkmcnt(0)
	s_delay_alu instid0(VALU_DEP_2) | instskip(NEXT) | instid1(VALU_DEP_2)
	v_dual_cndmask_b32 v3, 0, v3 :: v_dual_cndmask_b32 v4, 0, v4
	v_cmp_ne_u32_e64 s2, 31, v5
	s_delay_alu instid0(VALU_DEP_2) | instskip(NEXT) | instid1(VALU_DEP_3)
	v_add_co_u32 v1, vcc_lo, v3, v1
	v_add_co_ci_u32_e32 v2, vcc_lo, v4, v2, vcc_lo
	s_delay_alu instid0(VALU_DEP_3) | instskip(SKIP_3) | instid1(VALU_DEP_3)
	v_add_co_ci_u32_e64 v6, s2, 0, v5, s2
	v_and_b32_e32 v3, 0x60, v0
	s_min_u32 s2, s4, 0x80
	v_add_nc_u32_e32 v4, 1, v5
	v_lshlrev_b32_e32 v6, 2, v6
	s_delay_alu instid0(VALU_DEP_3)
	v_sub_nc_u32_e64 v3, s2, v3 clamp
	ds_bpermute_b32 v7, v6, v1
	ds_bpermute_b32 v6, v6, v2
	v_cmp_lt_u32_e32 vcc_lo, v4, v3
	v_mov_b32_e32 v4, v1
	s_and_saveexec_b32 s3, vcc_lo
	s_cbranch_execz .LBB115_711
; %bb.710:
	s_waitcnt lgkmcnt(1)
	v_add_co_u32 v4, vcc_lo, v1, v7
	v_add_co_ci_u32_e32 v2, vcc_lo, 0, v2, vcc_lo
	s_delay_alu instid0(VALU_DEP_2) | instskip(SKIP_1) | instid1(VALU_DEP_2)
	v_add_co_u32 v1, vcc_lo, 0, v4
	s_waitcnt lgkmcnt(0)
	v_add_co_ci_u32_e32 v2, vcc_lo, v6, v2, vcc_lo
.LBB115_711:
	s_or_b32 exec_lo, exec_lo, s3
	v_cmp_gt_u32_e32 vcc_lo, 30, v5
	v_add_nc_u32_e32 v8, 2, v5
	s_mov_b32 s3, exec_lo
	s_waitcnt lgkmcnt(0)
	v_cndmask_b32_e64 v6, 0, 1, vcc_lo
	s_delay_alu instid0(VALU_DEP_1) | instskip(NEXT) | instid1(VALU_DEP_1)
	v_lshlrev_b32_e32 v6, 1, v6
	v_add_lshl_u32 v6, v6, v5, 2
	ds_bpermute_b32 v7, v6, v4
	ds_bpermute_b32 v6, v6, v2
	v_cmpx_lt_u32_e64 v8, v3
	s_cbranch_execz .LBB115_713
; %bb.712:
	s_waitcnt lgkmcnt(1)
	v_add_co_u32 v4, vcc_lo, v1, v7
	v_add_co_ci_u32_e32 v2, vcc_lo, 0, v2, vcc_lo
	s_delay_alu instid0(VALU_DEP_2) | instskip(SKIP_1) | instid1(VALU_DEP_2)
	v_add_co_u32 v1, vcc_lo, 0, v4
	s_waitcnt lgkmcnt(0)
	v_add_co_ci_u32_e32 v2, vcc_lo, v6, v2, vcc_lo
.LBB115_713:
	s_or_b32 exec_lo, exec_lo, s3
	v_cmp_gt_u32_e32 vcc_lo, 28, v5
	v_add_nc_u32_e32 v8, 4, v5
	s_mov_b32 s3, exec_lo
	s_waitcnt lgkmcnt(0)
	v_cndmask_b32_e64 v6, 0, 1, vcc_lo
	s_delay_alu instid0(VALU_DEP_1) | instskip(NEXT) | instid1(VALU_DEP_1)
	v_lshlrev_b32_e32 v6, 2, v6
	v_add_lshl_u32 v6, v6, v5, 2
	ds_bpermute_b32 v7, v6, v4
	ds_bpermute_b32 v6, v6, v2
	v_cmpx_lt_u32_e64 v8, v3
	s_cbranch_execz .LBB115_715
; %bb.714:
	s_waitcnt lgkmcnt(1)
	v_add_co_u32 v4, vcc_lo, v1, v7
	v_add_co_ci_u32_e32 v2, vcc_lo, 0, v2, vcc_lo
	s_delay_alu instid0(VALU_DEP_2) | instskip(SKIP_1) | instid1(VALU_DEP_2)
	v_add_co_u32 v1, vcc_lo, 0, v4
	s_waitcnt lgkmcnt(0)
	v_add_co_ci_u32_e32 v2, vcc_lo, v6, v2, vcc_lo
.LBB115_715:
	s_or_b32 exec_lo, exec_lo, s3
	v_cmp_gt_u32_e32 vcc_lo, 24, v5
	v_add_nc_u32_e32 v8, 8, v5
	s_mov_b32 s3, exec_lo
	s_waitcnt lgkmcnt(0)
	v_cndmask_b32_e64 v6, 0, 1, vcc_lo
	s_delay_alu instid0(VALU_DEP_1) | instskip(NEXT) | instid1(VALU_DEP_1)
	v_lshlrev_b32_e32 v6, 3, v6
	v_add_lshl_u32 v6, v6, v5, 2
	ds_bpermute_b32 v7, v6, v4
	ds_bpermute_b32 v6, v6, v2
	v_cmpx_lt_u32_e64 v8, v3
	s_cbranch_execz .LBB115_717
; %bb.716:
	s_waitcnt lgkmcnt(1)
	v_add_co_u32 v4, vcc_lo, v1, v7
	v_add_co_ci_u32_e32 v2, vcc_lo, 0, v2, vcc_lo
	s_delay_alu instid0(VALU_DEP_2) | instskip(SKIP_1) | instid1(VALU_DEP_2)
	v_add_co_u32 v1, vcc_lo, 0, v4
	s_waitcnt lgkmcnt(0)
	v_add_co_ci_u32_e32 v2, vcc_lo, v6, v2, vcc_lo
.LBB115_717:
	s_or_b32 exec_lo, exec_lo, s3
	v_cmp_gt_u32_e32 vcc_lo, 16, v5
	s_mov_b32 s3, exec_lo
	s_waitcnt lgkmcnt(0)
	v_cndmask_b32_e64 v6, 0, 1, vcc_lo
	s_delay_alu instid0(VALU_DEP_1) | instskip(NEXT) | instid1(VALU_DEP_1)
	v_lshlrev_b32_e32 v6, 4, v6
	v_add_lshl_u32 v7, v6, v5, 2
	ds_bpermute_b32 v6, v7, v4
	ds_bpermute_b32 v4, v7, v2
	v_add_nc_u32_e32 v7, 16, v5
	s_delay_alu instid0(VALU_DEP_1)
	v_cmpx_lt_u32_e64 v7, v3
	s_cbranch_execz .LBB115_719
; %bb.718:
	s_waitcnt lgkmcnt(1)
	v_add_co_u32 v1, vcc_lo, v1, v6
	v_add_co_ci_u32_e32 v2, vcc_lo, 0, v2, vcc_lo
	s_delay_alu instid0(VALU_DEP_2) | instskip(SKIP_1) | instid1(VALU_DEP_2)
	v_add_co_u32 v1, vcc_lo, v1, 0
	s_waitcnt lgkmcnt(0)
	v_add_co_ci_u32_e32 v2, vcc_lo, v2, v4, vcc_lo
.LBB115_719:
	s_or_b32 exec_lo, exec_lo, s3
	s_delay_alu instid0(SALU_CYCLE_1)
	s_mov_b32 s3, exec_lo
	v_cmpx_eq_u32_e32 0, v5
	s_cbranch_execz .LBB115_721
; %bb.720:
	v_lshrrev_b32_e32 v3, 2, v0
	s_delay_alu instid0(VALU_DEP_1)
	v_and_b32_e32 v3, 24, v3
	ds_store_b64 v3, v[1:2] offset:256
.LBB115_721:
	s_or_b32 exec_lo, exec_lo, s3
	s_delay_alu instid0(SALU_CYCLE_1)
	s_mov_b32 s3, exec_lo
	s_waitcnt lgkmcnt(0)
	s_barrier
	buffer_gl0_inv
	v_cmpx_gt_u32_e32 4, v0
	s_cbranch_execz .LBB115_727
; %bb.722:
	v_lshlrev_b32_e32 v1, 3, v5
	s_add_i32 s2, s2, 31
	s_delay_alu instid0(SALU_CYCLE_1) | instskip(SKIP_2) | instid1(VALU_DEP_1)
	s_lshr_b32 s2, s2, 5
	ds_load_b64 v[1:2], v1 offset:256
	v_and_b32_e32 v3, 3, v5
	v_cmp_ne_u32_e32 vcc_lo, 3, v3
	v_add_co_ci_u32_e32 v4, vcc_lo, 0, v5, vcc_lo
	s_delay_alu instid0(VALU_DEP_1) | instskip(SKIP_4) | instid1(VALU_DEP_1)
	v_lshlrev_b32_e32 v4, 2, v4
	s_waitcnt lgkmcnt(0)
	ds_bpermute_b32 v7, v4, v1
	ds_bpermute_b32 v6, v4, v2
	v_add_nc_u32_e32 v4, 1, v3
	v_cmp_gt_u32_e32 vcc_lo, s2, v4
	v_mov_b32_e32 v4, v1
	s_and_saveexec_b32 s4, vcc_lo
	s_cbranch_execz .LBB115_724
; %bb.723:
	s_waitcnt lgkmcnt(1)
	v_add_co_u32 v4, vcc_lo, v1, v7
	v_add_co_ci_u32_e32 v2, vcc_lo, 0, v2, vcc_lo
	s_delay_alu instid0(VALU_DEP_2) | instskip(SKIP_1) | instid1(VALU_DEP_2)
	v_add_co_u32 v1, vcc_lo, 0, v4
	s_waitcnt lgkmcnt(0)
	v_add_co_ci_u32_e32 v2, vcc_lo, v6, v2, vcc_lo
.LBB115_724:
	s_or_b32 exec_lo, exec_lo, s4
	v_cmp_gt_u32_e32 vcc_lo, 2, v3
	v_add_nc_u32_e32 v3, 2, v3
	s_waitcnt lgkmcnt(0)
	v_cndmask_b32_e64 v6, 0, 1, vcc_lo
	s_delay_alu instid0(VALU_DEP_2) | instskip(NEXT) | instid1(VALU_DEP_2)
	v_cmp_gt_u32_e32 vcc_lo, s2, v3
	v_lshlrev_b32_e32 v6, 1, v6
	s_delay_alu instid0(VALU_DEP_1)
	v_add_lshl_u32 v6, v6, v5, 2
	ds_bpermute_b32 v5, v6, v4
	ds_bpermute_b32 v4, v6, v2
	s_and_saveexec_b32 s2, vcc_lo
	s_cbranch_execz .LBB115_726
; %bb.725:
	s_waitcnt lgkmcnt(1)
	v_add_co_u32 v1, vcc_lo, v1, v5
	v_add_co_ci_u32_e32 v2, vcc_lo, 0, v2, vcc_lo
	s_delay_alu instid0(VALU_DEP_2) | instskip(SKIP_1) | instid1(VALU_DEP_2)
	v_add_co_u32 v1, vcc_lo, v1, 0
	s_waitcnt lgkmcnt(0)
	v_add_co_ci_u32_e32 v2, vcc_lo, v2, v4, vcc_lo
.LBB115_726:
	s_or_b32 exec_lo, exec_lo, s2
.LBB115_727:
	s_delay_alu instid0(SALU_CYCLE_1)
	s_or_b32 exec_lo, exec_lo, s3
	v_cmp_eq_u32_e64 s2, 0, v0
	s_branch .LBB115_758
.LBB115_728:
	s_cmp_eq_u32 s26, 1
                                        ; implicit-def: $vgpr1_vgpr2
	s_cbranch_scc0 .LBB115_758
; %bb.729:
	s_mov_b32 s3, 0
	s_waitcnt lgkmcnt(0)
	v_mbcnt_lo_u32_b32 v3, -1, 0
	s_lshr_b64 s[4:5], s[20:21], 7
	s_mov_b32 s19, s3
	s_lshl_b32 s2, s18, 7
	s_cmp_lg_u64 s[4:5], s[18:19]
	s_cbranch_scc0 .LBB115_735
; %bb.730:
	s_lshl_b64 s[4:5], s[2:3], 1
	v_dual_mov_b32 v4, 0 :: v_dual_lshlrev_b32 v1, 1, v0
	s_add_u32 s4, s24, s4
	s_addc_u32 s5, s25, s5
	global_load_u16 v1, v1, s[4:5]
	s_waitcnt vmcnt(0)
	v_cmp_ne_u16_e32 vcc_lo, 0, v1
	v_cndmask_b32_e64 v1, 0, 1, vcc_lo
	s_delay_alu instid0(VALU_DEP_1) | instskip(NEXT) | instid1(VALU_DEP_1)
	v_mov_b32_dpp v2, v1 quad_perm:[1,0,3,2] row_mask:0xf bank_mask:0xf
	v_add_co_u32 v1, s4, v2, v1
	v_mov_b32_dpp v2, v4 quad_perm:[1,0,3,2] row_mask:0xf bank_mask:0xf
	v_add_co_ci_u32_e64 v5, null, 0, 0, s4
	s_delay_alu instid0(VALU_DEP_3) | instskip(SKIP_1) | instid1(VALU_DEP_3)
	v_mov_b32_dpp v6, v1 quad_perm:[2,3,0,1] row_mask:0xf bank_mask:0xf
	v_add_co_u32 v1, vcc_lo, 0, v1
	v_add_co_ci_u32_e32 v2, vcc_lo, v2, v5, vcc_lo
	s_mov_b32 s4, exec_lo
	s_delay_alu instid0(VALU_DEP_2) | instskip(NEXT) | instid1(VALU_DEP_2)
	v_add_co_u32 v1, vcc_lo, v1, v6
	v_mov_b32_dpp v5, v2 quad_perm:[2,3,0,1] row_mask:0xf bank_mask:0xf
	v_add_co_ci_u32_e32 v2, vcc_lo, 0, v2, vcc_lo
	s_delay_alu instid0(VALU_DEP_3) | instskip(SKIP_1) | instid1(VALU_DEP_3)
	v_mov_b32_dpp v6, v1 row_ror:4 row_mask:0xf bank_mask:0xf
	v_add_co_u32 v1, vcc_lo, v1, 0
	v_add_co_ci_u32_e32 v2, vcc_lo, v2, v5, vcc_lo
	s_delay_alu instid0(VALU_DEP_2) | instskip(NEXT) | instid1(VALU_DEP_2)
	v_add_co_u32 v1, vcc_lo, v1, v6
	v_mov_b32_dpp v5, v2 row_ror:4 row_mask:0xf bank_mask:0xf
	v_add_co_ci_u32_e32 v2, vcc_lo, 0, v2, vcc_lo
	s_delay_alu instid0(VALU_DEP_3) | instskip(SKIP_1) | instid1(VALU_DEP_3)
	v_mov_b32_dpp v6, v1 row_ror:8 row_mask:0xf bank_mask:0xf
	v_add_co_u32 v1, vcc_lo, v1, 0
	v_add_co_ci_u32_e32 v2, vcc_lo, v2, v5, vcc_lo
	s_delay_alu instid0(VALU_DEP_2) | instskip(NEXT) | instid1(VALU_DEP_2)
	v_add_co_u32 v1, vcc_lo, v1, v6
	v_mov_b32_dpp v5, v2 row_ror:8 row_mask:0xf bank_mask:0xf
	v_add_co_ci_u32_e32 v2, vcc_lo, 0, v2, vcc_lo
	ds_swizzle_b32 v6, v1 offset:swizzle(BROADCAST,32,15)
	v_add_co_u32 v1, vcc_lo, v1, 0
	v_add_co_ci_u32_e32 v2, vcc_lo, v2, v5, vcc_lo
	ds_swizzle_b32 v5, v2 offset:swizzle(BROADCAST,32,15)
	s_waitcnt lgkmcnt(1)
	v_add_co_u32 v1, vcc_lo, v1, v6
	v_add_co_ci_u32_e32 v2, vcc_lo, 0, v2, vcc_lo
	ds_bpermute_b32 v1, v4, v1 offset:124
	s_waitcnt lgkmcnt(1)
	v_add_nc_u32_e32 v2, v5, v2
	ds_bpermute_b32 v2, v4, v2 offset:124
	v_cmpx_eq_u32_e32 0, v3
	s_cbranch_execz .LBB115_732
; %bb.731:
	v_lshrrev_b32_e32 v4, 2, v0
	s_delay_alu instid0(VALU_DEP_1)
	v_and_b32_e32 v4, 24, v4
	s_waitcnt lgkmcnt(0)
	ds_store_b64 v4, v[1:2] offset:64
.LBB115_732:
	s_or_b32 exec_lo, exec_lo, s4
	s_delay_alu instid0(SALU_CYCLE_1)
	s_mov_b32 s4, exec_lo
	s_waitcnt lgkmcnt(0)
	s_barrier
	buffer_gl0_inv
	v_cmpx_gt_u32_e32 32, v0
	s_cbranch_execz .LBB115_734
; %bb.733:
	v_and_b32_e32 v4, 3, v3
	s_delay_alu instid0(VALU_DEP_1) | instskip(SKIP_4) | instid1(VALU_DEP_2)
	v_lshlrev_b32_e32 v1, 3, v4
	v_cmp_ne_u32_e32 vcc_lo, 3, v4
	ds_load_b64 v[1:2], v1 offset:64
	v_add_co_ci_u32_e32 v5, vcc_lo, 0, v3, vcc_lo
	v_cmp_gt_u32_e32 vcc_lo, 2, v4
	v_lshlrev_b32_e32 v5, 2, v5
	v_cndmask_b32_e64 v4, 0, 1, vcc_lo
	s_delay_alu instid0(VALU_DEP_1) | instskip(NEXT) | instid1(VALU_DEP_1)
	v_lshlrev_b32_e32 v4, 1, v4
	v_add_lshl_u32 v4, v4, v3, 2
	s_waitcnt lgkmcnt(0)
	ds_bpermute_b32 v6, v5, v1
	ds_bpermute_b32 v5, v5, v2
	s_waitcnt lgkmcnt(1)
	v_add_co_u32 v1, vcc_lo, v1, v6
	v_add_co_ci_u32_e32 v2, vcc_lo, 0, v2, vcc_lo
	ds_bpermute_b32 v6, v4, v1
	v_add_co_u32 v1, vcc_lo, 0, v1
	s_waitcnt lgkmcnt(1)
	v_add_co_ci_u32_e32 v2, vcc_lo, v5, v2, vcc_lo
	ds_bpermute_b32 v4, v4, v2
	s_waitcnt lgkmcnt(1)
	v_add_co_u32 v1, vcc_lo, v1, v6
	v_add_co_ci_u32_e32 v2, vcc_lo, 0, v2, vcc_lo
	s_delay_alu instid0(VALU_DEP_2) | instskip(SKIP_1) | instid1(VALU_DEP_2)
	v_add_co_u32 v1, vcc_lo, v1, 0
	s_waitcnt lgkmcnt(0)
	v_add_co_ci_u32_e32 v2, vcc_lo, v2, v4, vcc_lo
.LBB115_734:
	s_or_b32 exec_lo, exec_lo, s4
	s_branch .LBB115_757
.LBB115_735:
                                        ; implicit-def: $vgpr1_vgpr2
	s_cbranch_execz .LBB115_757
; %bb.736:
	s_sub_i32 s4, s20, s2
	s_mov_b32 s5, exec_lo
                                        ; implicit-def: $vgpr1_vgpr2
	v_cmpx_gt_u32_e64 s4, v0
	s_cbranch_execz .LBB115_738
; %bb.737:
	s_lshl_b64 s[2:3], s[2:3], 1
	v_lshlrev_b32_e32 v1, 1, v0
	s_add_u32 s2, s24, s2
	s_addc_u32 s3, s25, s3
	global_load_u16 v1, v1, s[2:3]
	s_mov_b32 s2, 0
	s_delay_alu instid0(SALU_CYCLE_1)
	v_mov_b32_e32 v2, s2
	s_waitcnt vmcnt(0)
	v_cmp_ne_u16_e32 vcc_lo, 0, v1
	v_cndmask_b32_e64 v1, 0, 1, vcc_lo
.LBB115_738:
	s_or_b32 exec_lo, exec_lo, s5
	v_cmp_ne_u32_e32 vcc_lo, 31, v3
	s_min_u32 s2, s4, 0x80
	v_add_nc_u32_e32 v5, 1, v3
	v_add_co_ci_u32_e32 v4, vcc_lo, 0, v3, vcc_lo
	s_delay_alu instid0(VALU_DEP_1) | instskip(SKIP_3) | instid1(VALU_DEP_1)
	v_lshlrev_b32_e32 v4, 2, v4
	ds_bpermute_b32 v7, v4, v1
	ds_bpermute_b32 v6, v4, v2
	v_and_b32_e32 v4, 0x60, v0
	v_sub_nc_u32_e64 v4, s2, v4 clamp
	s_delay_alu instid0(VALU_DEP_1)
	v_cmp_lt_u32_e32 vcc_lo, v5, v4
	v_mov_b32_e32 v5, v1
	s_and_saveexec_b32 s3, vcc_lo
	s_cbranch_execz .LBB115_740
; %bb.739:
	s_waitcnt lgkmcnt(1)
	v_add_co_u32 v5, vcc_lo, v1, v7
	v_add_co_ci_u32_e32 v2, vcc_lo, 0, v2, vcc_lo
	s_delay_alu instid0(VALU_DEP_2) | instskip(SKIP_1) | instid1(VALU_DEP_2)
	v_add_co_u32 v1, vcc_lo, 0, v5
	s_waitcnt lgkmcnt(0)
	v_add_co_ci_u32_e32 v2, vcc_lo, v6, v2, vcc_lo
.LBB115_740:
	s_or_b32 exec_lo, exec_lo, s3
	v_cmp_gt_u32_e32 vcc_lo, 30, v3
	v_add_nc_u32_e32 v8, 2, v3
	s_mov_b32 s3, exec_lo
	s_waitcnt lgkmcnt(0)
	v_cndmask_b32_e64 v6, 0, 1, vcc_lo
	s_delay_alu instid0(VALU_DEP_1) | instskip(NEXT) | instid1(VALU_DEP_1)
	v_lshlrev_b32_e32 v6, 1, v6
	v_add_lshl_u32 v6, v6, v3, 2
	ds_bpermute_b32 v7, v6, v5
	ds_bpermute_b32 v6, v6, v2
	v_cmpx_lt_u32_e64 v8, v4
	s_cbranch_execz .LBB115_742
; %bb.741:
	s_waitcnt lgkmcnt(1)
	v_add_co_u32 v5, vcc_lo, v1, v7
	v_add_co_ci_u32_e32 v2, vcc_lo, 0, v2, vcc_lo
	s_delay_alu instid0(VALU_DEP_2) | instskip(SKIP_1) | instid1(VALU_DEP_2)
	v_add_co_u32 v1, vcc_lo, 0, v5
	s_waitcnt lgkmcnt(0)
	v_add_co_ci_u32_e32 v2, vcc_lo, v6, v2, vcc_lo
.LBB115_742:
	s_or_b32 exec_lo, exec_lo, s3
	v_cmp_gt_u32_e32 vcc_lo, 28, v3
	v_add_nc_u32_e32 v8, 4, v3
	s_mov_b32 s3, exec_lo
	s_waitcnt lgkmcnt(0)
	v_cndmask_b32_e64 v6, 0, 1, vcc_lo
	s_delay_alu instid0(VALU_DEP_1) | instskip(NEXT) | instid1(VALU_DEP_1)
	v_lshlrev_b32_e32 v6, 2, v6
	v_add_lshl_u32 v6, v6, v3, 2
	ds_bpermute_b32 v7, v6, v5
	ds_bpermute_b32 v6, v6, v2
	v_cmpx_lt_u32_e64 v8, v4
	;; [unrolled: 22-line block ×3, first 2 shown]
	s_cbranch_execz .LBB115_746
; %bb.745:
	s_waitcnt lgkmcnt(1)
	v_add_co_u32 v5, vcc_lo, v1, v7
	v_add_co_ci_u32_e32 v2, vcc_lo, 0, v2, vcc_lo
	s_delay_alu instid0(VALU_DEP_2) | instskip(SKIP_1) | instid1(VALU_DEP_2)
	v_add_co_u32 v1, vcc_lo, 0, v5
	s_waitcnt lgkmcnt(0)
	v_add_co_ci_u32_e32 v2, vcc_lo, v6, v2, vcc_lo
.LBB115_746:
	s_or_b32 exec_lo, exec_lo, s3
	v_cmp_gt_u32_e32 vcc_lo, 16, v3
	s_mov_b32 s3, exec_lo
	s_waitcnt lgkmcnt(0)
	v_cndmask_b32_e64 v6, 0, 1, vcc_lo
	s_delay_alu instid0(VALU_DEP_1) | instskip(NEXT) | instid1(VALU_DEP_1)
	v_lshlrev_b32_e32 v6, 4, v6
	v_add_lshl_u32 v7, v6, v3, 2
	ds_bpermute_b32 v6, v7, v5
	ds_bpermute_b32 v5, v7, v2
	v_add_nc_u32_e32 v7, 16, v3
	s_delay_alu instid0(VALU_DEP_1)
	v_cmpx_lt_u32_e64 v7, v4
	s_cbranch_execz .LBB115_748
; %bb.747:
	s_waitcnt lgkmcnt(1)
	v_add_co_u32 v1, vcc_lo, v1, v6
	v_add_co_ci_u32_e32 v2, vcc_lo, 0, v2, vcc_lo
	s_delay_alu instid0(VALU_DEP_2) | instskip(SKIP_1) | instid1(VALU_DEP_2)
	v_add_co_u32 v1, vcc_lo, v1, 0
	s_waitcnt lgkmcnt(0)
	v_add_co_ci_u32_e32 v2, vcc_lo, v2, v5, vcc_lo
.LBB115_748:
	s_or_b32 exec_lo, exec_lo, s3
	s_delay_alu instid0(SALU_CYCLE_1)
	s_mov_b32 s3, exec_lo
	v_cmpx_eq_u32_e32 0, v3
	s_cbranch_execz .LBB115_750
; %bb.749:
	v_lshrrev_b32_e32 v4, 2, v0
	s_delay_alu instid0(VALU_DEP_1)
	v_and_b32_e32 v4, 24, v4
	ds_store_b64 v4, v[1:2] offset:256
.LBB115_750:
	s_or_b32 exec_lo, exec_lo, s3
	s_delay_alu instid0(SALU_CYCLE_1)
	s_mov_b32 s3, exec_lo
	s_waitcnt lgkmcnt(0)
	s_barrier
	buffer_gl0_inv
	v_cmpx_gt_u32_e32 4, v0
	s_cbranch_execz .LBB115_756
; %bb.751:
	v_lshlrev_b32_e32 v1, 3, v3
	s_add_i32 s2, s2, 31
	s_delay_alu instid0(SALU_CYCLE_1) | instskip(SKIP_2) | instid1(VALU_DEP_1)
	s_lshr_b32 s2, s2, 5
	ds_load_b64 v[1:2], v1 offset:256
	v_and_b32_e32 v4, 3, v3
	v_cmp_ne_u32_e32 vcc_lo, 3, v4
	v_add_co_ci_u32_e32 v5, vcc_lo, 0, v3, vcc_lo
	s_delay_alu instid0(VALU_DEP_1) | instskip(SKIP_4) | instid1(VALU_DEP_1)
	v_lshlrev_b32_e32 v5, 2, v5
	s_waitcnt lgkmcnt(0)
	ds_bpermute_b32 v7, v5, v1
	ds_bpermute_b32 v6, v5, v2
	v_add_nc_u32_e32 v5, 1, v4
	v_cmp_gt_u32_e32 vcc_lo, s2, v5
	v_mov_b32_e32 v5, v1
	s_and_saveexec_b32 s4, vcc_lo
	s_cbranch_execz .LBB115_753
; %bb.752:
	s_waitcnt lgkmcnt(1)
	v_add_co_u32 v5, vcc_lo, v1, v7
	v_add_co_ci_u32_e32 v2, vcc_lo, 0, v2, vcc_lo
	s_delay_alu instid0(VALU_DEP_2) | instskip(SKIP_1) | instid1(VALU_DEP_2)
	v_add_co_u32 v1, vcc_lo, 0, v5
	s_waitcnt lgkmcnt(0)
	v_add_co_ci_u32_e32 v2, vcc_lo, v6, v2, vcc_lo
.LBB115_753:
	s_or_b32 exec_lo, exec_lo, s4
	v_cmp_gt_u32_e32 vcc_lo, 2, v4
	v_add_nc_u32_e32 v4, 2, v4
	s_waitcnt lgkmcnt(0)
	v_cndmask_b32_e64 v6, 0, 1, vcc_lo
	s_delay_alu instid0(VALU_DEP_2) | instskip(NEXT) | instid1(VALU_DEP_2)
	v_cmp_gt_u32_e32 vcc_lo, s2, v4
	v_lshlrev_b32_e32 v6, 1, v6
	s_delay_alu instid0(VALU_DEP_1)
	v_add_lshl_u32 v3, v6, v3, 2
	ds_bpermute_b32 v5, v3, v5
	ds_bpermute_b32 v3, v3, v2
	s_and_saveexec_b32 s2, vcc_lo
	s_cbranch_execz .LBB115_755
; %bb.754:
	s_waitcnt lgkmcnt(1)
	v_add_co_u32 v1, vcc_lo, v1, v5
	v_add_co_ci_u32_e32 v2, vcc_lo, 0, v2, vcc_lo
	s_delay_alu instid0(VALU_DEP_2) | instskip(SKIP_1) | instid1(VALU_DEP_2)
	v_add_co_u32 v1, vcc_lo, v1, 0
	s_waitcnt lgkmcnt(0)
	v_add_co_ci_u32_e32 v2, vcc_lo, v2, v3, vcc_lo
.LBB115_755:
	s_or_b32 exec_lo, exec_lo, s2
.LBB115_756:
	s_delay_alu instid0(SALU_CYCLE_1)
	s_or_b32 exec_lo, exec_lo, s3
.LBB115_757:
	v_cmp_eq_u32_e64 s2, 0, v0
.LBB115_758:
	s_delay_alu instid0(VALU_DEP_1)
	s_and_saveexec_b32 s3, s2
	s_cbranch_execz .LBB115_760
; %bb.759:
	s_load_b64 s[0:1], s[0:1], 0x28
	s_cmp_lg_u64 s[20:21], 0
	s_cselect_b32 vcc_lo, -1, 0
	s_lshl_b64 s[2:3], s[18:19], 3
	v_cndmask_b32_e32 v0, 0, v1, vcc_lo
	v_cndmask_b32_e32 v2, 0, v2, vcc_lo
	s_waitcnt lgkmcnt(0)
	s_delay_alu instid0(VALU_DEP_2) | instskip(NEXT) | instid1(VALU_DEP_2)
	v_add_co_u32 v0, vcc_lo, v0, s0
	v_add_co_ci_u32_e32 v1, vcc_lo, s1, v2, vcc_lo
	v_mov_b32_e32 v2, 0
	s_add_u32 s0, s22, s2
	s_addc_u32 s1, s23, s3
	global_store_b64 v2, v[0:1], s[0:1]
.LBB115_760:
	s_nop 0
	s_sendmsg sendmsg(MSG_DEALLOC_VGPRS)
	s_endpgm
	.section	.rodata,"a",@progbits
	.p2align	6, 0x0
	.amdhsa_kernel _ZN7rocprim17ROCPRIM_400000_NS6detail17trampoline_kernelINS0_14default_configENS1_22reduce_config_selectorIbEEZNS1_11reduce_implILb1ES3_N6hipcub16HIPCUB_304000_NS22TransformInputIteratorIb7NonZeroIsEPslEEPllNS8_6detail34convert_binary_result_type_wrapperINS8_3SumESD_lEEEE10hipError_tPvRmT1_T2_T3_mT4_P12ihipStream_tbEUlT_E1_NS1_11comp_targetILNS1_3genE9ELNS1_11target_archE1100ELNS1_3gpuE3ELNS1_3repE0EEENS1_30default_config_static_selectorELNS0_4arch9wavefront6targetE0EEEvSM_
		.amdhsa_group_segment_fixed_size 288
		.amdhsa_private_segment_fixed_size 20
		.amdhsa_kernarg_size 56
		.amdhsa_user_sgpr_count 15
		.amdhsa_user_sgpr_dispatch_ptr 0
		.amdhsa_user_sgpr_queue_ptr 0
		.amdhsa_user_sgpr_kernarg_segment_ptr 1
		.amdhsa_user_sgpr_dispatch_id 0
		.amdhsa_user_sgpr_private_segment_size 0
		.amdhsa_wavefront_size32 1
		.amdhsa_uses_dynamic_stack 0
		.amdhsa_enable_private_segment 1
		.amdhsa_system_sgpr_workgroup_id_x 1
		.amdhsa_system_sgpr_workgroup_id_y 0
		.amdhsa_system_sgpr_workgroup_id_z 0
		.amdhsa_system_sgpr_workgroup_info 0
		.amdhsa_system_vgpr_workitem_id 0
		.amdhsa_next_free_vgpr 256
		.amdhsa_next_free_sgpr 29
		.amdhsa_reserve_vcc 1
		.amdhsa_float_round_mode_32 0
		.amdhsa_float_round_mode_16_64 0
		.amdhsa_float_denorm_mode_32 3
		.amdhsa_float_denorm_mode_16_64 3
		.amdhsa_dx10_clamp 1
		.amdhsa_ieee_mode 1
		.amdhsa_fp16_overflow 0
		.amdhsa_workgroup_processor_mode 1
		.amdhsa_memory_ordered 1
		.amdhsa_forward_progress 0
		.amdhsa_shared_vgpr_count 0
		.amdhsa_exception_fp_ieee_invalid_op 0
		.amdhsa_exception_fp_denorm_src 0
		.amdhsa_exception_fp_ieee_div_zero 0
		.amdhsa_exception_fp_ieee_overflow 0
		.amdhsa_exception_fp_ieee_underflow 0
		.amdhsa_exception_fp_ieee_inexact 0
		.amdhsa_exception_int_div_zero 0
	.end_amdhsa_kernel
	.section	.text._ZN7rocprim17ROCPRIM_400000_NS6detail17trampoline_kernelINS0_14default_configENS1_22reduce_config_selectorIbEEZNS1_11reduce_implILb1ES3_N6hipcub16HIPCUB_304000_NS22TransformInputIteratorIb7NonZeroIsEPslEEPllNS8_6detail34convert_binary_result_type_wrapperINS8_3SumESD_lEEEE10hipError_tPvRmT1_T2_T3_mT4_P12ihipStream_tbEUlT_E1_NS1_11comp_targetILNS1_3genE9ELNS1_11target_archE1100ELNS1_3gpuE3ELNS1_3repE0EEENS1_30default_config_static_selectorELNS0_4arch9wavefront6targetE0EEEvSM_,"axG",@progbits,_ZN7rocprim17ROCPRIM_400000_NS6detail17trampoline_kernelINS0_14default_configENS1_22reduce_config_selectorIbEEZNS1_11reduce_implILb1ES3_N6hipcub16HIPCUB_304000_NS22TransformInputIteratorIb7NonZeroIsEPslEEPllNS8_6detail34convert_binary_result_type_wrapperINS8_3SumESD_lEEEE10hipError_tPvRmT1_T2_T3_mT4_P12ihipStream_tbEUlT_E1_NS1_11comp_targetILNS1_3genE9ELNS1_11target_archE1100ELNS1_3gpuE3ELNS1_3repE0EEENS1_30default_config_static_selectorELNS0_4arch9wavefront6targetE0EEEvSM_,comdat
.Lfunc_end115:
	.size	_ZN7rocprim17ROCPRIM_400000_NS6detail17trampoline_kernelINS0_14default_configENS1_22reduce_config_selectorIbEEZNS1_11reduce_implILb1ES3_N6hipcub16HIPCUB_304000_NS22TransformInputIteratorIb7NonZeroIsEPslEEPllNS8_6detail34convert_binary_result_type_wrapperINS8_3SumESD_lEEEE10hipError_tPvRmT1_T2_T3_mT4_P12ihipStream_tbEUlT_E1_NS1_11comp_targetILNS1_3genE9ELNS1_11target_archE1100ELNS1_3gpuE3ELNS1_3repE0EEENS1_30default_config_static_selectorELNS0_4arch9wavefront6targetE0EEEvSM_, .Lfunc_end115-_ZN7rocprim17ROCPRIM_400000_NS6detail17trampoline_kernelINS0_14default_configENS1_22reduce_config_selectorIbEEZNS1_11reduce_implILb1ES3_N6hipcub16HIPCUB_304000_NS22TransformInputIteratorIb7NonZeroIsEPslEEPllNS8_6detail34convert_binary_result_type_wrapperINS8_3SumESD_lEEEE10hipError_tPvRmT1_T2_T3_mT4_P12ihipStream_tbEUlT_E1_NS1_11comp_targetILNS1_3genE9ELNS1_11target_archE1100ELNS1_3gpuE3ELNS1_3repE0EEENS1_30default_config_static_selectorELNS0_4arch9wavefront6targetE0EEEvSM_
                                        ; -- End function
	.section	.AMDGPU.csdata,"",@progbits
; Kernel info:
; codeLenInByte = 47516
; NumSgprs: 31
; NumVgprs: 256
; ScratchSize: 20
; MemoryBound: 0
; FloatMode: 240
; IeeeMode: 1
; LDSByteSize: 288 bytes/workgroup (compile time only)
; SGPRBlocks: 3
; VGPRBlocks: 31
; NumSGPRsForWavesPerEU: 31
; NumVGPRsForWavesPerEU: 256
; Occupancy: 5
; WaveLimiterHint : 1
; COMPUTE_PGM_RSRC2:SCRATCH_EN: 1
; COMPUTE_PGM_RSRC2:USER_SGPR: 15
; COMPUTE_PGM_RSRC2:TRAP_HANDLER: 0
; COMPUTE_PGM_RSRC2:TGID_X_EN: 1
; COMPUTE_PGM_RSRC2:TGID_Y_EN: 0
; COMPUTE_PGM_RSRC2:TGID_Z_EN: 0
; COMPUTE_PGM_RSRC2:TIDIG_COMP_CNT: 0
	.section	.text._ZN7rocprim17ROCPRIM_400000_NS6detail17trampoline_kernelINS0_14default_configENS1_22reduce_config_selectorIbEEZNS1_11reduce_implILb1ES3_N6hipcub16HIPCUB_304000_NS22TransformInputIteratorIb7NonZeroIsEPslEEPllNS8_6detail34convert_binary_result_type_wrapperINS8_3SumESD_lEEEE10hipError_tPvRmT1_T2_T3_mT4_P12ihipStream_tbEUlT_E1_NS1_11comp_targetILNS1_3genE8ELNS1_11target_archE1030ELNS1_3gpuE2ELNS1_3repE0EEENS1_30default_config_static_selectorELNS0_4arch9wavefront6targetE0EEEvSM_,"axG",@progbits,_ZN7rocprim17ROCPRIM_400000_NS6detail17trampoline_kernelINS0_14default_configENS1_22reduce_config_selectorIbEEZNS1_11reduce_implILb1ES3_N6hipcub16HIPCUB_304000_NS22TransformInputIteratorIb7NonZeroIsEPslEEPllNS8_6detail34convert_binary_result_type_wrapperINS8_3SumESD_lEEEE10hipError_tPvRmT1_T2_T3_mT4_P12ihipStream_tbEUlT_E1_NS1_11comp_targetILNS1_3genE8ELNS1_11target_archE1030ELNS1_3gpuE2ELNS1_3repE0EEENS1_30default_config_static_selectorELNS0_4arch9wavefront6targetE0EEEvSM_,comdat
	.protected	_ZN7rocprim17ROCPRIM_400000_NS6detail17trampoline_kernelINS0_14default_configENS1_22reduce_config_selectorIbEEZNS1_11reduce_implILb1ES3_N6hipcub16HIPCUB_304000_NS22TransformInputIteratorIb7NonZeroIsEPslEEPllNS8_6detail34convert_binary_result_type_wrapperINS8_3SumESD_lEEEE10hipError_tPvRmT1_T2_T3_mT4_P12ihipStream_tbEUlT_E1_NS1_11comp_targetILNS1_3genE8ELNS1_11target_archE1030ELNS1_3gpuE2ELNS1_3repE0EEENS1_30default_config_static_selectorELNS0_4arch9wavefront6targetE0EEEvSM_ ; -- Begin function _ZN7rocprim17ROCPRIM_400000_NS6detail17trampoline_kernelINS0_14default_configENS1_22reduce_config_selectorIbEEZNS1_11reduce_implILb1ES3_N6hipcub16HIPCUB_304000_NS22TransformInputIteratorIb7NonZeroIsEPslEEPllNS8_6detail34convert_binary_result_type_wrapperINS8_3SumESD_lEEEE10hipError_tPvRmT1_T2_T3_mT4_P12ihipStream_tbEUlT_E1_NS1_11comp_targetILNS1_3genE8ELNS1_11target_archE1030ELNS1_3gpuE2ELNS1_3repE0EEENS1_30default_config_static_selectorELNS0_4arch9wavefront6targetE0EEEvSM_
	.globl	_ZN7rocprim17ROCPRIM_400000_NS6detail17trampoline_kernelINS0_14default_configENS1_22reduce_config_selectorIbEEZNS1_11reduce_implILb1ES3_N6hipcub16HIPCUB_304000_NS22TransformInputIteratorIb7NonZeroIsEPslEEPllNS8_6detail34convert_binary_result_type_wrapperINS8_3SumESD_lEEEE10hipError_tPvRmT1_T2_T3_mT4_P12ihipStream_tbEUlT_E1_NS1_11comp_targetILNS1_3genE8ELNS1_11target_archE1030ELNS1_3gpuE2ELNS1_3repE0EEENS1_30default_config_static_selectorELNS0_4arch9wavefront6targetE0EEEvSM_
	.p2align	8
	.type	_ZN7rocprim17ROCPRIM_400000_NS6detail17trampoline_kernelINS0_14default_configENS1_22reduce_config_selectorIbEEZNS1_11reduce_implILb1ES3_N6hipcub16HIPCUB_304000_NS22TransformInputIteratorIb7NonZeroIsEPslEEPllNS8_6detail34convert_binary_result_type_wrapperINS8_3SumESD_lEEEE10hipError_tPvRmT1_T2_T3_mT4_P12ihipStream_tbEUlT_E1_NS1_11comp_targetILNS1_3genE8ELNS1_11target_archE1030ELNS1_3gpuE2ELNS1_3repE0EEENS1_30default_config_static_selectorELNS0_4arch9wavefront6targetE0EEEvSM_,@function
_ZN7rocprim17ROCPRIM_400000_NS6detail17trampoline_kernelINS0_14default_configENS1_22reduce_config_selectorIbEEZNS1_11reduce_implILb1ES3_N6hipcub16HIPCUB_304000_NS22TransformInputIteratorIb7NonZeroIsEPslEEPllNS8_6detail34convert_binary_result_type_wrapperINS8_3SumESD_lEEEE10hipError_tPvRmT1_T2_T3_mT4_P12ihipStream_tbEUlT_E1_NS1_11comp_targetILNS1_3genE8ELNS1_11target_archE1030ELNS1_3gpuE2ELNS1_3repE0EEENS1_30default_config_static_selectorELNS0_4arch9wavefront6targetE0EEEvSM_: ; @_ZN7rocprim17ROCPRIM_400000_NS6detail17trampoline_kernelINS0_14default_configENS1_22reduce_config_selectorIbEEZNS1_11reduce_implILb1ES3_N6hipcub16HIPCUB_304000_NS22TransformInputIteratorIb7NonZeroIsEPslEEPllNS8_6detail34convert_binary_result_type_wrapperINS8_3SumESD_lEEEE10hipError_tPvRmT1_T2_T3_mT4_P12ihipStream_tbEUlT_E1_NS1_11comp_targetILNS1_3genE8ELNS1_11target_archE1030ELNS1_3gpuE2ELNS1_3repE0EEENS1_30default_config_static_selectorELNS0_4arch9wavefront6targetE0EEEvSM_
; %bb.0:
	.section	.rodata,"a",@progbits
	.p2align	6, 0x0
	.amdhsa_kernel _ZN7rocprim17ROCPRIM_400000_NS6detail17trampoline_kernelINS0_14default_configENS1_22reduce_config_selectorIbEEZNS1_11reduce_implILb1ES3_N6hipcub16HIPCUB_304000_NS22TransformInputIteratorIb7NonZeroIsEPslEEPllNS8_6detail34convert_binary_result_type_wrapperINS8_3SumESD_lEEEE10hipError_tPvRmT1_T2_T3_mT4_P12ihipStream_tbEUlT_E1_NS1_11comp_targetILNS1_3genE8ELNS1_11target_archE1030ELNS1_3gpuE2ELNS1_3repE0EEENS1_30default_config_static_selectorELNS0_4arch9wavefront6targetE0EEEvSM_
		.amdhsa_group_segment_fixed_size 0
		.amdhsa_private_segment_fixed_size 0
		.amdhsa_kernarg_size 56
		.amdhsa_user_sgpr_count 15
		.amdhsa_user_sgpr_dispatch_ptr 0
		.amdhsa_user_sgpr_queue_ptr 0
		.amdhsa_user_sgpr_kernarg_segment_ptr 1
		.amdhsa_user_sgpr_dispatch_id 0
		.amdhsa_user_sgpr_private_segment_size 0
		.amdhsa_wavefront_size32 1
		.amdhsa_uses_dynamic_stack 0
		.amdhsa_enable_private_segment 0
		.amdhsa_system_sgpr_workgroup_id_x 1
		.amdhsa_system_sgpr_workgroup_id_y 0
		.amdhsa_system_sgpr_workgroup_id_z 0
		.amdhsa_system_sgpr_workgroup_info 0
		.amdhsa_system_vgpr_workitem_id 0
		.amdhsa_next_free_vgpr 1
		.amdhsa_next_free_sgpr 1
		.amdhsa_reserve_vcc 0
		.amdhsa_float_round_mode_32 0
		.amdhsa_float_round_mode_16_64 0
		.amdhsa_float_denorm_mode_32 3
		.amdhsa_float_denorm_mode_16_64 3
		.amdhsa_dx10_clamp 1
		.amdhsa_ieee_mode 1
		.amdhsa_fp16_overflow 0
		.amdhsa_workgroup_processor_mode 1
		.amdhsa_memory_ordered 1
		.amdhsa_forward_progress 0
		.amdhsa_shared_vgpr_count 0
		.amdhsa_exception_fp_ieee_invalid_op 0
		.amdhsa_exception_fp_denorm_src 0
		.amdhsa_exception_fp_ieee_div_zero 0
		.amdhsa_exception_fp_ieee_overflow 0
		.amdhsa_exception_fp_ieee_underflow 0
		.amdhsa_exception_fp_ieee_inexact 0
		.amdhsa_exception_int_div_zero 0
	.end_amdhsa_kernel
	.section	.text._ZN7rocprim17ROCPRIM_400000_NS6detail17trampoline_kernelINS0_14default_configENS1_22reduce_config_selectorIbEEZNS1_11reduce_implILb1ES3_N6hipcub16HIPCUB_304000_NS22TransformInputIteratorIb7NonZeroIsEPslEEPllNS8_6detail34convert_binary_result_type_wrapperINS8_3SumESD_lEEEE10hipError_tPvRmT1_T2_T3_mT4_P12ihipStream_tbEUlT_E1_NS1_11comp_targetILNS1_3genE8ELNS1_11target_archE1030ELNS1_3gpuE2ELNS1_3repE0EEENS1_30default_config_static_selectorELNS0_4arch9wavefront6targetE0EEEvSM_,"axG",@progbits,_ZN7rocprim17ROCPRIM_400000_NS6detail17trampoline_kernelINS0_14default_configENS1_22reduce_config_selectorIbEEZNS1_11reduce_implILb1ES3_N6hipcub16HIPCUB_304000_NS22TransformInputIteratorIb7NonZeroIsEPslEEPllNS8_6detail34convert_binary_result_type_wrapperINS8_3SumESD_lEEEE10hipError_tPvRmT1_T2_T3_mT4_P12ihipStream_tbEUlT_E1_NS1_11comp_targetILNS1_3genE8ELNS1_11target_archE1030ELNS1_3gpuE2ELNS1_3repE0EEENS1_30default_config_static_selectorELNS0_4arch9wavefront6targetE0EEEvSM_,comdat
.Lfunc_end116:
	.size	_ZN7rocprim17ROCPRIM_400000_NS6detail17trampoline_kernelINS0_14default_configENS1_22reduce_config_selectorIbEEZNS1_11reduce_implILb1ES3_N6hipcub16HIPCUB_304000_NS22TransformInputIteratorIb7NonZeroIsEPslEEPllNS8_6detail34convert_binary_result_type_wrapperINS8_3SumESD_lEEEE10hipError_tPvRmT1_T2_T3_mT4_P12ihipStream_tbEUlT_E1_NS1_11comp_targetILNS1_3genE8ELNS1_11target_archE1030ELNS1_3gpuE2ELNS1_3repE0EEENS1_30default_config_static_selectorELNS0_4arch9wavefront6targetE0EEEvSM_, .Lfunc_end116-_ZN7rocprim17ROCPRIM_400000_NS6detail17trampoline_kernelINS0_14default_configENS1_22reduce_config_selectorIbEEZNS1_11reduce_implILb1ES3_N6hipcub16HIPCUB_304000_NS22TransformInputIteratorIb7NonZeroIsEPslEEPllNS8_6detail34convert_binary_result_type_wrapperINS8_3SumESD_lEEEE10hipError_tPvRmT1_T2_T3_mT4_P12ihipStream_tbEUlT_E1_NS1_11comp_targetILNS1_3genE8ELNS1_11target_archE1030ELNS1_3gpuE2ELNS1_3repE0EEENS1_30default_config_static_selectorELNS0_4arch9wavefront6targetE0EEEvSM_
                                        ; -- End function
	.section	.AMDGPU.csdata,"",@progbits
; Kernel info:
; codeLenInByte = 0
; NumSgprs: 0
; NumVgprs: 0
; ScratchSize: 0
; MemoryBound: 0
; FloatMode: 240
; IeeeMode: 1
; LDSByteSize: 0 bytes/workgroup (compile time only)
; SGPRBlocks: 0
; VGPRBlocks: 0
; NumSGPRsForWavesPerEU: 1
; NumVGPRsForWavesPerEU: 1
; Occupancy: 16
; WaveLimiterHint : 0
; COMPUTE_PGM_RSRC2:SCRATCH_EN: 0
; COMPUTE_PGM_RSRC2:USER_SGPR: 15
; COMPUTE_PGM_RSRC2:TRAP_HANDLER: 0
; COMPUTE_PGM_RSRC2:TGID_X_EN: 1
; COMPUTE_PGM_RSRC2:TGID_Y_EN: 0
; COMPUTE_PGM_RSRC2:TGID_Z_EN: 0
; COMPUTE_PGM_RSRC2:TIDIG_COMP_CNT: 0
	.section	.text._ZN7rocprim17ROCPRIM_400000_NS6detail17trampoline_kernelINS0_14default_configENS1_25partition_config_selectorILNS1_17partition_subalgoE5ElNS0_10empty_typeEbEEZZNS1_14partition_implILS5_5ELb0ES3_mN6hipcub16HIPCUB_304000_NS21CountingInputIteratorIllEEPS6_NSA_22TransformInputIteratorIb7NonZeroIsEPslEENS0_5tupleIJPlS6_EEENSJ_IJSD_SD_EEES6_SK_JS6_EEE10hipError_tPvRmT3_T4_T5_T6_T7_T9_mT8_P12ihipStream_tbDpT10_ENKUlT_T0_E_clISt17integral_constantIbLb0EES16_EEDaS11_S12_EUlS11_E_NS1_11comp_targetILNS1_3genE0ELNS1_11target_archE4294967295ELNS1_3gpuE0ELNS1_3repE0EEENS1_30default_config_static_selectorELNS0_4arch9wavefront6targetE0EEEvT1_,"axG",@progbits,_ZN7rocprim17ROCPRIM_400000_NS6detail17trampoline_kernelINS0_14default_configENS1_25partition_config_selectorILNS1_17partition_subalgoE5ElNS0_10empty_typeEbEEZZNS1_14partition_implILS5_5ELb0ES3_mN6hipcub16HIPCUB_304000_NS21CountingInputIteratorIllEEPS6_NSA_22TransformInputIteratorIb7NonZeroIsEPslEENS0_5tupleIJPlS6_EEENSJ_IJSD_SD_EEES6_SK_JS6_EEE10hipError_tPvRmT3_T4_T5_T6_T7_T9_mT8_P12ihipStream_tbDpT10_ENKUlT_T0_E_clISt17integral_constantIbLb0EES16_EEDaS11_S12_EUlS11_E_NS1_11comp_targetILNS1_3genE0ELNS1_11target_archE4294967295ELNS1_3gpuE0ELNS1_3repE0EEENS1_30default_config_static_selectorELNS0_4arch9wavefront6targetE0EEEvT1_,comdat
	.protected	_ZN7rocprim17ROCPRIM_400000_NS6detail17trampoline_kernelINS0_14default_configENS1_25partition_config_selectorILNS1_17partition_subalgoE5ElNS0_10empty_typeEbEEZZNS1_14partition_implILS5_5ELb0ES3_mN6hipcub16HIPCUB_304000_NS21CountingInputIteratorIllEEPS6_NSA_22TransformInputIteratorIb7NonZeroIsEPslEENS0_5tupleIJPlS6_EEENSJ_IJSD_SD_EEES6_SK_JS6_EEE10hipError_tPvRmT3_T4_T5_T6_T7_T9_mT8_P12ihipStream_tbDpT10_ENKUlT_T0_E_clISt17integral_constantIbLb0EES16_EEDaS11_S12_EUlS11_E_NS1_11comp_targetILNS1_3genE0ELNS1_11target_archE4294967295ELNS1_3gpuE0ELNS1_3repE0EEENS1_30default_config_static_selectorELNS0_4arch9wavefront6targetE0EEEvT1_ ; -- Begin function _ZN7rocprim17ROCPRIM_400000_NS6detail17trampoline_kernelINS0_14default_configENS1_25partition_config_selectorILNS1_17partition_subalgoE5ElNS0_10empty_typeEbEEZZNS1_14partition_implILS5_5ELb0ES3_mN6hipcub16HIPCUB_304000_NS21CountingInputIteratorIllEEPS6_NSA_22TransformInputIteratorIb7NonZeroIsEPslEENS0_5tupleIJPlS6_EEENSJ_IJSD_SD_EEES6_SK_JS6_EEE10hipError_tPvRmT3_T4_T5_T6_T7_T9_mT8_P12ihipStream_tbDpT10_ENKUlT_T0_E_clISt17integral_constantIbLb0EES16_EEDaS11_S12_EUlS11_E_NS1_11comp_targetILNS1_3genE0ELNS1_11target_archE4294967295ELNS1_3gpuE0ELNS1_3repE0EEENS1_30default_config_static_selectorELNS0_4arch9wavefront6targetE0EEEvT1_
	.globl	_ZN7rocprim17ROCPRIM_400000_NS6detail17trampoline_kernelINS0_14default_configENS1_25partition_config_selectorILNS1_17partition_subalgoE5ElNS0_10empty_typeEbEEZZNS1_14partition_implILS5_5ELb0ES3_mN6hipcub16HIPCUB_304000_NS21CountingInputIteratorIllEEPS6_NSA_22TransformInputIteratorIb7NonZeroIsEPslEENS0_5tupleIJPlS6_EEENSJ_IJSD_SD_EEES6_SK_JS6_EEE10hipError_tPvRmT3_T4_T5_T6_T7_T9_mT8_P12ihipStream_tbDpT10_ENKUlT_T0_E_clISt17integral_constantIbLb0EES16_EEDaS11_S12_EUlS11_E_NS1_11comp_targetILNS1_3genE0ELNS1_11target_archE4294967295ELNS1_3gpuE0ELNS1_3repE0EEENS1_30default_config_static_selectorELNS0_4arch9wavefront6targetE0EEEvT1_
	.p2align	8
	.type	_ZN7rocprim17ROCPRIM_400000_NS6detail17trampoline_kernelINS0_14default_configENS1_25partition_config_selectorILNS1_17partition_subalgoE5ElNS0_10empty_typeEbEEZZNS1_14partition_implILS5_5ELb0ES3_mN6hipcub16HIPCUB_304000_NS21CountingInputIteratorIllEEPS6_NSA_22TransformInputIteratorIb7NonZeroIsEPslEENS0_5tupleIJPlS6_EEENSJ_IJSD_SD_EEES6_SK_JS6_EEE10hipError_tPvRmT3_T4_T5_T6_T7_T9_mT8_P12ihipStream_tbDpT10_ENKUlT_T0_E_clISt17integral_constantIbLb0EES16_EEDaS11_S12_EUlS11_E_NS1_11comp_targetILNS1_3genE0ELNS1_11target_archE4294967295ELNS1_3gpuE0ELNS1_3repE0EEENS1_30default_config_static_selectorELNS0_4arch9wavefront6targetE0EEEvT1_,@function
_ZN7rocprim17ROCPRIM_400000_NS6detail17trampoline_kernelINS0_14default_configENS1_25partition_config_selectorILNS1_17partition_subalgoE5ElNS0_10empty_typeEbEEZZNS1_14partition_implILS5_5ELb0ES3_mN6hipcub16HIPCUB_304000_NS21CountingInputIteratorIllEEPS6_NSA_22TransformInputIteratorIb7NonZeroIsEPslEENS0_5tupleIJPlS6_EEENSJ_IJSD_SD_EEES6_SK_JS6_EEE10hipError_tPvRmT3_T4_T5_T6_T7_T9_mT8_P12ihipStream_tbDpT10_ENKUlT_T0_E_clISt17integral_constantIbLb0EES16_EEDaS11_S12_EUlS11_E_NS1_11comp_targetILNS1_3genE0ELNS1_11target_archE4294967295ELNS1_3gpuE0ELNS1_3repE0EEENS1_30default_config_static_selectorELNS0_4arch9wavefront6targetE0EEEvT1_: ; @_ZN7rocprim17ROCPRIM_400000_NS6detail17trampoline_kernelINS0_14default_configENS1_25partition_config_selectorILNS1_17partition_subalgoE5ElNS0_10empty_typeEbEEZZNS1_14partition_implILS5_5ELb0ES3_mN6hipcub16HIPCUB_304000_NS21CountingInputIteratorIllEEPS6_NSA_22TransformInputIteratorIb7NonZeroIsEPslEENS0_5tupleIJPlS6_EEENSJ_IJSD_SD_EEES6_SK_JS6_EEE10hipError_tPvRmT3_T4_T5_T6_T7_T9_mT8_P12ihipStream_tbDpT10_ENKUlT_T0_E_clISt17integral_constantIbLb0EES16_EEDaS11_S12_EUlS11_E_NS1_11comp_targetILNS1_3genE0ELNS1_11target_archE4294967295ELNS1_3gpuE0ELNS1_3repE0EEENS1_30default_config_static_selectorELNS0_4arch9wavefront6targetE0EEEvT1_
; %bb.0:
	.section	.rodata,"a",@progbits
	.p2align	6, 0x0
	.amdhsa_kernel _ZN7rocprim17ROCPRIM_400000_NS6detail17trampoline_kernelINS0_14default_configENS1_25partition_config_selectorILNS1_17partition_subalgoE5ElNS0_10empty_typeEbEEZZNS1_14partition_implILS5_5ELb0ES3_mN6hipcub16HIPCUB_304000_NS21CountingInputIteratorIllEEPS6_NSA_22TransformInputIteratorIb7NonZeroIsEPslEENS0_5tupleIJPlS6_EEENSJ_IJSD_SD_EEES6_SK_JS6_EEE10hipError_tPvRmT3_T4_T5_T6_T7_T9_mT8_P12ihipStream_tbDpT10_ENKUlT_T0_E_clISt17integral_constantIbLb0EES16_EEDaS11_S12_EUlS11_E_NS1_11comp_targetILNS1_3genE0ELNS1_11target_archE4294967295ELNS1_3gpuE0ELNS1_3repE0EEENS1_30default_config_static_selectorELNS0_4arch9wavefront6targetE0EEEvT1_
		.amdhsa_group_segment_fixed_size 0
		.amdhsa_private_segment_fixed_size 0
		.amdhsa_kernarg_size 120
		.amdhsa_user_sgpr_count 15
		.amdhsa_user_sgpr_dispatch_ptr 0
		.amdhsa_user_sgpr_queue_ptr 0
		.amdhsa_user_sgpr_kernarg_segment_ptr 1
		.amdhsa_user_sgpr_dispatch_id 0
		.amdhsa_user_sgpr_private_segment_size 0
		.amdhsa_wavefront_size32 1
		.amdhsa_uses_dynamic_stack 0
		.amdhsa_enable_private_segment 0
		.amdhsa_system_sgpr_workgroup_id_x 1
		.amdhsa_system_sgpr_workgroup_id_y 0
		.amdhsa_system_sgpr_workgroup_id_z 0
		.amdhsa_system_sgpr_workgroup_info 0
		.amdhsa_system_vgpr_workitem_id 0
		.amdhsa_next_free_vgpr 1
		.amdhsa_next_free_sgpr 1
		.amdhsa_reserve_vcc 0
		.amdhsa_float_round_mode_32 0
		.amdhsa_float_round_mode_16_64 0
		.amdhsa_float_denorm_mode_32 3
		.amdhsa_float_denorm_mode_16_64 3
		.amdhsa_dx10_clamp 1
		.amdhsa_ieee_mode 1
		.amdhsa_fp16_overflow 0
		.amdhsa_workgroup_processor_mode 1
		.amdhsa_memory_ordered 1
		.amdhsa_forward_progress 0
		.amdhsa_shared_vgpr_count 0
		.amdhsa_exception_fp_ieee_invalid_op 0
		.amdhsa_exception_fp_denorm_src 0
		.amdhsa_exception_fp_ieee_div_zero 0
		.amdhsa_exception_fp_ieee_overflow 0
		.amdhsa_exception_fp_ieee_underflow 0
		.amdhsa_exception_fp_ieee_inexact 0
		.amdhsa_exception_int_div_zero 0
	.end_amdhsa_kernel
	.section	.text._ZN7rocprim17ROCPRIM_400000_NS6detail17trampoline_kernelINS0_14default_configENS1_25partition_config_selectorILNS1_17partition_subalgoE5ElNS0_10empty_typeEbEEZZNS1_14partition_implILS5_5ELb0ES3_mN6hipcub16HIPCUB_304000_NS21CountingInputIteratorIllEEPS6_NSA_22TransformInputIteratorIb7NonZeroIsEPslEENS0_5tupleIJPlS6_EEENSJ_IJSD_SD_EEES6_SK_JS6_EEE10hipError_tPvRmT3_T4_T5_T6_T7_T9_mT8_P12ihipStream_tbDpT10_ENKUlT_T0_E_clISt17integral_constantIbLb0EES16_EEDaS11_S12_EUlS11_E_NS1_11comp_targetILNS1_3genE0ELNS1_11target_archE4294967295ELNS1_3gpuE0ELNS1_3repE0EEENS1_30default_config_static_selectorELNS0_4arch9wavefront6targetE0EEEvT1_,"axG",@progbits,_ZN7rocprim17ROCPRIM_400000_NS6detail17trampoline_kernelINS0_14default_configENS1_25partition_config_selectorILNS1_17partition_subalgoE5ElNS0_10empty_typeEbEEZZNS1_14partition_implILS5_5ELb0ES3_mN6hipcub16HIPCUB_304000_NS21CountingInputIteratorIllEEPS6_NSA_22TransformInputIteratorIb7NonZeroIsEPslEENS0_5tupleIJPlS6_EEENSJ_IJSD_SD_EEES6_SK_JS6_EEE10hipError_tPvRmT3_T4_T5_T6_T7_T9_mT8_P12ihipStream_tbDpT10_ENKUlT_T0_E_clISt17integral_constantIbLb0EES16_EEDaS11_S12_EUlS11_E_NS1_11comp_targetILNS1_3genE0ELNS1_11target_archE4294967295ELNS1_3gpuE0ELNS1_3repE0EEENS1_30default_config_static_selectorELNS0_4arch9wavefront6targetE0EEEvT1_,comdat
.Lfunc_end117:
	.size	_ZN7rocprim17ROCPRIM_400000_NS6detail17trampoline_kernelINS0_14default_configENS1_25partition_config_selectorILNS1_17partition_subalgoE5ElNS0_10empty_typeEbEEZZNS1_14partition_implILS5_5ELb0ES3_mN6hipcub16HIPCUB_304000_NS21CountingInputIteratorIllEEPS6_NSA_22TransformInputIteratorIb7NonZeroIsEPslEENS0_5tupleIJPlS6_EEENSJ_IJSD_SD_EEES6_SK_JS6_EEE10hipError_tPvRmT3_T4_T5_T6_T7_T9_mT8_P12ihipStream_tbDpT10_ENKUlT_T0_E_clISt17integral_constantIbLb0EES16_EEDaS11_S12_EUlS11_E_NS1_11comp_targetILNS1_3genE0ELNS1_11target_archE4294967295ELNS1_3gpuE0ELNS1_3repE0EEENS1_30default_config_static_selectorELNS0_4arch9wavefront6targetE0EEEvT1_, .Lfunc_end117-_ZN7rocprim17ROCPRIM_400000_NS6detail17trampoline_kernelINS0_14default_configENS1_25partition_config_selectorILNS1_17partition_subalgoE5ElNS0_10empty_typeEbEEZZNS1_14partition_implILS5_5ELb0ES3_mN6hipcub16HIPCUB_304000_NS21CountingInputIteratorIllEEPS6_NSA_22TransformInputIteratorIb7NonZeroIsEPslEENS0_5tupleIJPlS6_EEENSJ_IJSD_SD_EEES6_SK_JS6_EEE10hipError_tPvRmT3_T4_T5_T6_T7_T9_mT8_P12ihipStream_tbDpT10_ENKUlT_T0_E_clISt17integral_constantIbLb0EES16_EEDaS11_S12_EUlS11_E_NS1_11comp_targetILNS1_3genE0ELNS1_11target_archE4294967295ELNS1_3gpuE0ELNS1_3repE0EEENS1_30default_config_static_selectorELNS0_4arch9wavefront6targetE0EEEvT1_
                                        ; -- End function
	.section	.AMDGPU.csdata,"",@progbits
; Kernel info:
; codeLenInByte = 0
; NumSgprs: 0
; NumVgprs: 0
; ScratchSize: 0
; MemoryBound: 0
; FloatMode: 240
; IeeeMode: 1
; LDSByteSize: 0 bytes/workgroup (compile time only)
; SGPRBlocks: 0
; VGPRBlocks: 0
; NumSGPRsForWavesPerEU: 1
; NumVGPRsForWavesPerEU: 1
; Occupancy: 16
; WaveLimiterHint : 0
; COMPUTE_PGM_RSRC2:SCRATCH_EN: 0
; COMPUTE_PGM_RSRC2:USER_SGPR: 15
; COMPUTE_PGM_RSRC2:TRAP_HANDLER: 0
; COMPUTE_PGM_RSRC2:TGID_X_EN: 1
; COMPUTE_PGM_RSRC2:TGID_Y_EN: 0
; COMPUTE_PGM_RSRC2:TGID_Z_EN: 0
; COMPUTE_PGM_RSRC2:TIDIG_COMP_CNT: 0
	.section	.text._ZN7rocprim17ROCPRIM_400000_NS6detail17trampoline_kernelINS0_14default_configENS1_25partition_config_selectorILNS1_17partition_subalgoE5ElNS0_10empty_typeEbEEZZNS1_14partition_implILS5_5ELb0ES3_mN6hipcub16HIPCUB_304000_NS21CountingInputIteratorIllEEPS6_NSA_22TransformInputIteratorIb7NonZeroIsEPslEENS0_5tupleIJPlS6_EEENSJ_IJSD_SD_EEES6_SK_JS6_EEE10hipError_tPvRmT3_T4_T5_T6_T7_T9_mT8_P12ihipStream_tbDpT10_ENKUlT_T0_E_clISt17integral_constantIbLb0EES16_EEDaS11_S12_EUlS11_E_NS1_11comp_targetILNS1_3genE5ELNS1_11target_archE942ELNS1_3gpuE9ELNS1_3repE0EEENS1_30default_config_static_selectorELNS0_4arch9wavefront6targetE0EEEvT1_,"axG",@progbits,_ZN7rocprim17ROCPRIM_400000_NS6detail17trampoline_kernelINS0_14default_configENS1_25partition_config_selectorILNS1_17partition_subalgoE5ElNS0_10empty_typeEbEEZZNS1_14partition_implILS5_5ELb0ES3_mN6hipcub16HIPCUB_304000_NS21CountingInputIteratorIllEEPS6_NSA_22TransformInputIteratorIb7NonZeroIsEPslEENS0_5tupleIJPlS6_EEENSJ_IJSD_SD_EEES6_SK_JS6_EEE10hipError_tPvRmT3_T4_T5_T6_T7_T9_mT8_P12ihipStream_tbDpT10_ENKUlT_T0_E_clISt17integral_constantIbLb0EES16_EEDaS11_S12_EUlS11_E_NS1_11comp_targetILNS1_3genE5ELNS1_11target_archE942ELNS1_3gpuE9ELNS1_3repE0EEENS1_30default_config_static_selectorELNS0_4arch9wavefront6targetE0EEEvT1_,comdat
	.protected	_ZN7rocprim17ROCPRIM_400000_NS6detail17trampoline_kernelINS0_14default_configENS1_25partition_config_selectorILNS1_17partition_subalgoE5ElNS0_10empty_typeEbEEZZNS1_14partition_implILS5_5ELb0ES3_mN6hipcub16HIPCUB_304000_NS21CountingInputIteratorIllEEPS6_NSA_22TransformInputIteratorIb7NonZeroIsEPslEENS0_5tupleIJPlS6_EEENSJ_IJSD_SD_EEES6_SK_JS6_EEE10hipError_tPvRmT3_T4_T5_T6_T7_T9_mT8_P12ihipStream_tbDpT10_ENKUlT_T0_E_clISt17integral_constantIbLb0EES16_EEDaS11_S12_EUlS11_E_NS1_11comp_targetILNS1_3genE5ELNS1_11target_archE942ELNS1_3gpuE9ELNS1_3repE0EEENS1_30default_config_static_selectorELNS0_4arch9wavefront6targetE0EEEvT1_ ; -- Begin function _ZN7rocprim17ROCPRIM_400000_NS6detail17trampoline_kernelINS0_14default_configENS1_25partition_config_selectorILNS1_17partition_subalgoE5ElNS0_10empty_typeEbEEZZNS1_14partition_implILS5_5ELb0ES3_mN6hipcub16HIPCUB_304000_NS21CountingInputIteratorIllEEPS6_NSA_22TransformInputIteratorIb7NonZeroIsEPslEENS0_5tupleIJPlS6_EEENSJ_IJSD_SD_EEES6_SK_JS6_EEE10hipError_tPvRmT3_T4_T5_T6_T7_T9_mT8_P12ihipStream_tbDpT10_ENKUlT_T0_E_clISt17integral_constantIbLb0EES16_EEDaS11_S12_EUlS11_E_NS1_11comp_targetILNS1_3genE5ELNS1_11target_archE942ELNS1_3gpuE9ELNS1_3repE0EEENS1_30default_config_static_selectorELNS0_4arch9wavefront6targetE0EEEvT1_
	.globl	_ZN7rocprim17ROCPRIM_400000_NS6detail17trampoline_kernelINS0_14default_configENS1_25partition_config_selectorILNS1_17partition_subalgoE5ElNS0_10empty_typeEbEEZZNS1_14partition_implILS5_5ELb0ES3_mN6hipcub16HIPCUB_304000_NS21CountingInputIteratorIllEEPS6_NSA_22TransformInputIteratorIb7NonZeroIsEPslEENS0_5tupleIJPlS6_EEENSJ_IJSD_SD_EEES6_SK_JS6_EEE10hipError_tPvRmT3_T4_T5_T6_T7_T9_mT8_P12ihipStream_tbDpT10_ENKUlT_T0_E_clISt17integral_constantIbLb0EES16_EEDaS11_S12_EUlS11_E_NS1_11comp_targetILNS1_3genE5ELNS1_11target_archE942ELNS1_3gpuE9ELNS1_3repE0EEENS1_30default_config_static_selectorELNS0_4arch9wavefront6targetE0EEEvT1_
	.p2align	8
	.type	_ZN7rocprim17ROCPRIM_400000_NS6detail17trampoline_kernelINS0_14default_configENS1_25partition_config_selectorILNS1_17partition_subalgoE5ElNS0_10empty_typeEbEEZZNS1_14partition_implILS5_5ELb0ES3_mN6hipcub16HIPCUB_304000_NS21CountingInputIteratorIllEEPS6_NSA_22TransformInputIteratorIb7NonZeroIsEPslEENS0_5tupleIJPlS6_EEENSJ_IJSD_SD_EEES6_SK_JS6_EEE10hipError_tPvRmT3_T4_T5_T6_T7_T9_mT8_P12ihipStream_tbDpT10_ENKUlT_T0_E_clISt17integral_constantIbLb0EES16_EEDaS11_S12_EUlS11_E_NS1_11comp_targetILNS1_3genE5ELNS1_11target_archE942ELNS1_3gpuE9ELNS1_3repE0EEENS1_30default_config_static_selectorELNS0_4arch9wavefront6targetE0EEEvT1_,@function
_ZN7rocprim17ROCPRIM_400000_NS6detail17trampoline_kernelINS0_14default_configENS1_25partition_config_selectorILNS1_17partition_subalgoE5ElNS0_10empty_typeEbEEZZNS1_14partition_implILS5_5ELb0ES3_mN6hipcub16HIPCUB_304000_NS21CountingInputIteratorIllEEPS6_NSA_22TransformInputIteratorIb7NonZeroIsEPslEENS0_5tupleIJPlS6_EEENSJ_IJSD_SD_EEES6_SK_JS6_EEE10hipError_tPvRmT3_T4_T5_T6_T7_T9_mT8_P12ihipStream_tbDpT10_ENKUlT_T0_E_clISt17integral_constantIbLb0EES16_EEDaS11_S12_EUlS11_E_NS1_11comp_targetILNS1_3genE5ELNS1_11target_archE942ELNS1_3gpuE9ELNS1_3repE0EEENS1_30default_config_static_selectorELNS0_4arch9wavefront6targetE0EEEvT1_: ; @_ZN7rocprim17ROCPRIM_400000_NS6detail17trampoline_kernelINS0_14default_configENS1_25partition_config_selectorILNS1_17partition_subalgoE5ElNS0_10empty_typeEbEEZZNS1_14partition_implILS5_5ELb0ES3_mN6hipcub16HIPCUB_304000_NS21CountingInputIteratorIllEEPS6_NSA_22TransformInputIteratorIb7NonZeroIsEPslEENS0_5tupleIJPlS6_EEENSJ_IJSD_SD_EEES6_SK_JS6_EEE10hipError_tPvRmT3_T4_T5_T6_T7_T9_mT8_P12ihipStream_tbDpT10_ENKUlT_T0_E_clISt17integral_constantIbLb0EES16_EEDaS11_S12_EUlS11_E_NS1_11comp_targetILNS1_3genE5ELNS1_11target_archE942ELNS1_3gpuE9ELNS1_3repE0EEENS1_30default_config_static_selectorELNS0_4arch9wavefront6targetE0EEEvT1_
; %bb.0:
	.section	.rodata,"a",@progbits
	.p2align	6, 0x0
	.amdhsa_kernel _ZN7rocprim17ROCPRIM_400000_NS6detail17trampoline_kernelINS0_14default_configENS1_25partition_config_selectorILNS1_17partition_subalgoE5ElNS0_10empty_typeEbEEZZNS1_14partition_implILS5_5ELb0ES3_mN6hipcub16HIPCUB_304000_NS21CountingInputIteratorIllEEPS6_NSA_22TransformInputIteratorIb7NonZeroIsEPslEENS0_5tupleIJPlS6_EEENSJ_IJSD_SD_EEES6_SK_JS6_EEE10hipError_tPvRmT3_T4_T5_T6_T7_T9_mT8_P12ihipStream_tbDpT10_ENKUlT_T0_E_clISt17integral_constantIbLb0EES16_EEDaS11_S12_EUlS11_E_NS1_11comp_targetILNS1_3genE5ELNS1_11target_archE942ELNS1_3gpuE9ELNS1_3repE0EEENS1_30default_config_static_selectorELNS0_4arch9wavefront6targetE0EEEvT1_
		.amdhsa_group_segment_fixed_size 0
		.amdhsa_private_segment_fixed_size 0
		.amdhsa_kernarg_size 120
		.amdhsa_user_sgpr_count 15
		.amdhsa_user_sgpr_dispatch_ptr 0
		.amdhsa_user_sgpr_queue_ptr 0
		.amdhsa_user_sgpr_kernarg_segment_ptr 1
		.amdhsa_user_sgpr_dispatch_id 0
		.amdhsa_user_sgpr_private_segment_size 0
		.amdhsa_wavefront_size32 1
		.amdhsa_uses_dynamic_stack 0
		.amdhsa_enable_private_segment 0
		.amdhsa_system_sgpr_workgroup_id_x 1
		.amdhsa_system_sgpr_workgroup_id_y 0
		.amdhsa_system_sgpr_workgroup_id_z 0
		.amdhsa_system_sgpr_workgroup_info 0
		.amdhsa_system_vgpr_workitem_id 0
		.amdhsa_next_free_vgpr 1
		.amdhsa_next_free_sgpr 1
		.amdhsa_reserve_vcc 0
		.amdhsa_float_round_mode_32 0
		.amdhsa_float_round_mode_16_64 0
		.amdhsa_float_denorm_mode_32 3
		.amdhsa_float_denorm_mode_16_64 3
		.amdhsa_dx10_clamp 1
		.amdhsa_ieee_mode 1
		.amdhsa_fp16_overflow 0
		.amdhsa_workgroup_processor_mode 1
		.amdhsa_memory_ordered 1
		.amdhsa_forward_progress 0
		.amdhsa_shared_vgpr_count 0
		.amdhsa_exception_fp_ieee_invalid_op 0
		.amdhsa_exception_fp_denorm_src 0
		.amdhsa_exception_fp_ieee_div_zero 0
		.amdhsa_exception_fp_ieee_overflow 0
		.amdhsa_exception_fp_ieee_underflow 0
		.amdhsa_exception_fp_ieee_inexact 0
		.amdhsa_exception_int_div_zero 0
	.end_amdhsa_kernel
	.section	.text._ZN7rocprim17ROCPRIM_400000_NS6detail17trampoline_kernelINS0_14default_configENS1_25partition_config_selectorILNS1_17partition_subalgoE5ElNS0_10empty_typeEbEEZZNS1_14partition_implILS5_5ELb0ES3_mN6hipcub16HIPCUB_304000_NS21CountingInputIteratorIllEEPS6_NSA_22TransformInputIteratorIb7NonZeroIsEPslEENS0_5tupleIJPlS6_EEENSJ_IJSD_SD_EEES6_SK_JS6_EEE10hipError_tPvRmT3_T4_T5_T6_T7_T9_mT8_P12ihipStream_tbDpT10_ENKUlT_T0_E_clISt17integral_constantIbLb0EES16_EEDaS11_S12_EUlS11_E_NS1_11comp_targetILNS1_3genE5ELNS1_11target_archE942ELNS1_3gpuE9ELNS1_3repE0EEENS1_30default_config_static_selectorELNS0_4arch9wavefront6targetE0EEEvT1_,"axG",@progbits,_ZN7rocprim17ROCPRIM_400000_NS6detail17trampoline_kernelINS0_14default_configENS1_25partition_config_selectorILNS1_17partition_subalgoE5ElNS0_10empty_typeEbEEZZNS1_14partition_implILS5_5ELb0ES3_mN6hipcub16HIPCUB_304000_NS21CountingInputIteratorIllEEPS6_NSA_22TransformInputIteratorIb7NonZeroIsEPslEENS0_5tupleIJPlS6_EEENSJ_IJSD_SD_EEES6_SK_JS6_EEE10hipError_tPvRmT3_T4_T5_T6_T7_T9_mT8_P12ihipStream_tbDpT10_ENKUlT_T0_E_clISt17integral_constantIbLb0EES16_EEDaS11_S12_EUlS11_E_NS1_11comp_targetILNS1_3genE5ELNS1_11target_archE942ELNS1_3gpuE9ELNS1_3repE0EEENS1_30default_config_static_selectorELNS0_4arch9wavefront6targetE0EEEvT1_,comdat
.Lfunc_end118:
	.size	_ZN7rocprim17ROCPRIM_400000_NS6detail17trampoline_kernelINS0_14default_configENS1_25partition_config_selectorILNS1_17partition_subalgoE5ElNS0_10empty_typeEbEEZZNS1_14partition_implILS5_5ELb0ES3_mN6hipcub16HIPCUB_304000_NS21CountingInputIteratorIllEEPS6_NSA_22TransformInputIteratorIb7NonZeroIsEPslEENS0_5tupleIJPlS6_EEENSJ_IJSD_SD_EEES6_SK_JS6_EEE10hipError_tPvRmT3_T4_T5_T6_T7_T9_mT8_P12ihipStream_tbDpT10_ENKUlT_T0_E_clISt17integral_constantIbLb0EES16_EEDaS11_S12_EUlS11_E_NS1_11comp_targetILNS1_3genE5ELNS1_11target_archE942ELNS1_3gpuE9ELNS1_3repE0EEENS1_30default_config_static_selectorELNS0_4arch9wavefront6targetE0EEEvT1_, .Lfunc_end118-_ZN7rocprim17ROCPRIM_400000_NS6detail17trampoline_kernelINS0_14default_configENS1_25partition_config_selectorILNS1_17partition_subalgoE5ElNS0_10empty_typeEbEEZZNS1_14partition_implILS5_5ELb0ES3_mN6hipcub16HIPCUB_304000_NS21CountingInputIteratorIllEEPS6_NSA_22TransformInputIteratorIb7NonZeroIsEPslEENS0_5tupleIJPlS6_EEENSJ_IJSD_SD_EEES6_SK_JS6_EEE10hipError_tPvRmT3_T4_T5_T6_T7_T9_mT8_P12ihipStream_tbDpT10_ENKUlT_T0_E_clISt17integral_constantIbLb0EES16_EEDaS11_S12_EUlS11_E_NS1_11comp_targetILNS1_3genE5ELNS1_11target_archE942ELNS1_3gpuE9ELNS1_3repE0EEENS1_30default_config_static_selectorELNS0_4arch9wavefront6targetE0EEEvT1_
                                        ; -- End function
	.section	.AMDGPU.csdata,"",@progbits
; Kernel info:
; codeLenInByte = 0
; NumSgprs: 0
; NumVgprs: 0
; ScratchSize: 0
; MemoryBound: 0
; FloatMode: 240
; IeeeMode: 1
; LDSByteSize: 0 bytes/workgroup (compile time only)
; SGPRBlocks: 0
; VGPRBlocks: 0
; NumSGPRsForWavesPerEU: 1
; NumVGPRsForWavesPerEU: 1
; Occupancy: 16
; WaveLimiterHint : 0
; COMPUTE_PGM_RSRC2:SCRATCH_EN: 0
; COMPUTE_PGM_RSRC2:USER_SGPR: 15
; COMPUTE_PGM_RSRC2:TRAP_HANDLER: 0
; COMPUTE_PGM_RSRC2:TGID_X_EN: 1
; COMPUTE_PGM_RSRC2:TGID_Y_EN: 0
; COMPUTE_PGM_RSRC2:TGID_Z_EN: 0
; COMPUTE_PGM_RSRC2:TIDIG_COMP_CNT: 0
	.section	.text._ZN7rocprim17ROCPRIM_400000_NS6detail17trampoline_kernelINS0_14default_configENS1_25partition_config_selectorILNS1_17partition_subalgoE5ElNS0_10empty_typeEbEEZZNS1_14partition_implILS5_5ELb0ES3_mN6hipcub16HIPCUB_304000_NS21CountingInputIteratorIllEEPS6_NSA_22TransformInputIteratorIb7NonZeroIsEPslEENS0_5tupleIJPlS6_EEENSJ_IJSD_SD_EEES6_SK_JS6_EEE10hipError_tPvRmT3_T4_T5_T6_T7_T9_mT8_P12ihipStream_tbDpT10_ENKUlT_T0_E_clISt17integral_constantIbLb0EES16_EEDaS11_S12_EUlS11_E_NS1_11comp_targetILNS1_3genE4ELNS1_11target_archE910ELNS1_3gpuE8ELNS1_3repE0EEENS1_30default_config_static_selectorELNS0_4arch9wavefront6targetE0EEEvT1_,"axG",@progbits,_ZN7rocprim17ROCPRIM_400000_NS6detail17trampoline_kernelINS0_14default_configENS1_25partition_config_selectorILNS1_17partition_subalgoE5ElNS0_10empty_typeEbEEZZNS1_14partition_implILS5_5ELb0ES3_mN6hipcub16HIPCUB_304000_NS21CountingInputIteratorIllEEPS6_NSA_22TransformInputIteratorIb7NonZeroIsEPslEENS0_5tupleIJPlS6_EEENSJ_IJSD_SD_EEES6_SK_JS6_EEE10hipError_tPvRmT3_T4_T5_T6_T7_T9_mT8_P12ihipStream_tbDpT10_ENKUlT_T0_E_clISt17integral_constantIbLb0EES16_EEDaS11_S12_EUlS11_E_NS1_11comp_targetILNS1_3genE4ELNS1_11target_archE910ELNS1_3gpuE8ELNS1_3repE0EEENS1_30default_config_static_selectorELNS0_4arch9wavefront6targetE0EEEvT1_,comdat
	.protected	_ZN7rocprim17ROCPRIM_400000_NS6detail17trampoline_kernelINS0_14default_configENS1_25partition_config_selectorILNS1_17partition_subalgoE5ElNS0_10empty_typeEbEEZZNS1_14partition_implILS5_5ELb0ES3_mN6hipcub16HIPCUB_304000_NS21CountingInputIteratorIllEEPS6_NSA_22TransformInputIteratorIb7NonZeroIsEPslEENS0_5tupleIJPlS6_EEENSJ_IJSD_SD_EEES6_SK_JS6_EEE10hipError_tPvRmT3_T4_T5_T6_T7_T9_mT8_P12ihipStream_tbDpT10_ENKUlT_T0_E_clISt17integral_constantIbLb0EES16_EEDaS11_S12_EUlS11_E_NS1_11comp_targetILNS1_3genE4ELNS1_11target_archE910ELNS1_3gpuE8ELNS1_3repE0EEENS1_30default_config_static_selectorELNS0_4arch9wavefront6targetE0EEEvT1_ ; -- Begin function _ZN7rocprim17ROCPRIM_400000_NS6detail17trampoline_kernelINS0_14default_configENS1_25partition_config_selectorILNS1_17partition_subalgoE5ElNS0_10empty_typeEbEEZZNS1_14partition_implILS5_5ELb0ES3_mN6hipcub16HIPCUB_304000_NS21CountingInputIteratorIllEEPS6_NSA_22TransformInputIteratorIb7NonZeroIsEPslEENS0_5tupleIJPlS6_EEENSJ_IJSD_SD_EEES6_SK_JS6_EEE10hipError_tPvRmT3_T4_T5_T6_T7_T9_mT8_P12ihipStream_tbDpT10_ENKUlT_T0_E_clISt17integral_constantIbLb0EES16_EEDaS11_S12_EUlS11_E_NS1_11comp_targetILNS1_3genE4ELNS1_11target_archE910ELNS1_3gpuE8ELNS1_3repE0EEENS1_30default_config_static_selectorELNS0_4arch9wavefront6targetE0EEEvT1_
	.globl	_ZN7rocprim17ROCPRIM_400000_NS6detail17trampoline_kernelINS0_14default_configENS1_25partition_config_selectorILNS1_17partition_subalgoE5ElNS0_10empty_typeEbEEZZNS1_14partition_implILS5_5ELb0ES3_mN6hipcub16HIPCUB_304000_NS21CountingInputIteratorIllEEPS6_NSA_22TransformInputIteratorIb7NonZeroIsEPslEENS0_5tupleIJPlS6_EEENSJ_IJSD_SD_EEES6_SK_JS6_EEE10hipError_tPvRmT3_T4_T5_T6_T7_T9_mT8_P12ihipStream_tbDpT10_ENKUlT_T0_E_clISt17integral_constantIbLb0EES16_EEDaS11_S12_EUlS11_E_NS1_11comp_targetILNS1_3genE4ELNS1_11target_archE910ELNS1_3gpuE8ELNS1_3repE0EEENS1_30default_config_static_selectorELNS0_4arch9wavefront6targetE0EEEvT1_
	.p2align	8
	.type	_ZN7rocprim17ROCPRIM_400000_NS6detail17trampoline_kernelINS0_14default_configENS1_25partition_config_selectorILNS1_17partition_subalgoE5ElNS0_10empty_typeEbEEZZNS1_14partition_implILS5_5ELb0ES3_mN6hipcub16HIPCUB_304000_NS21CountingInputIteratorIllEEPS6_NSA_22TransformInputIteratorIb7NonZeroIsEPslEENS0_5tupleIJPlS6_EEENSJ_IJSD_SD_EEES6_SK_JS6_EEE10hipError_tPvRmT3_T4_T5_T6_T7_T9_mT8_P12ihipStream_tbDpT10_ENKUlT_T0_E_clISt17integral_constantIbLb0EES16_EEDaS11_S12_EUlS11_E_NS1_11comp_targetILNS1_3genE4ELNS1_11target_archE910ELNS1_3gpuE8ELNS1_3repE0EEENS1_30default_config_static_selectorELNS0_4arch9wavefront6targetE0EEEvT1_,@function
_ZN7rocprim17ROCPRIM_400000_NS6detail17trampoline_kernelINS0_14default_configENS1_25partition_config_selectorILNS1_17partition_subalgoE5ElNS0_10empty_typeEbEEZZNS1_14partition_implILS5_5ELb0ES3_mN6hipcub16HIPCUB_304000_NS21CountingInputIteratorIllEEPS6_NSA_22TransformInputIteratorIb7NonZeroIsEPslEENS0_5tupleIJPlS6_EEENSJ_IJSD_SD_EEES6_SK_JS6_EEE10hipError_tPvRmT3_T4_T5_T6_T7_T9_mT8_P12ihipStream_tbDpT10_ENKUlT_T0_E_clISt17integral_constantIbLb0EES16_EEDaS11_S12_EUlS11_E_NS1_11comp_targetILNS1_3genE4ELNS1_11target_archE910ELNS1_3gpuE8ELNS1_3repE0EEENS1_30default_config_static_selectorELNS0_4arch9wavefront6targetE0EEEvT1_: ; @_ZN7rocprim17ROCPRIM_400000_NS6detail17trampoline_kernelINS0_14default_configENS1_25partition_config_selectorILNS1_17partition_subalgoE5ElNS0_10empty_typeEbEEZZNS1_14partition_implILS5_5ELb0ES3_mN6hipcub16HIPCUB_304000_NS21CountingInputIteratorIllEEPS6_NSA_22TransformInputIteratorIb7NonZeroIsEPslEENS0_5tupleIJPlS6_EEENSJ_IJSD_SD_EEES6_SK_JS6_EEE10hipError_tPvRmT3_T4_T5_T6_T7_T9_mT8_P12ihipStream_tbDpT10_ENKUlT_T0_E_clISt17integral_constantIbLb0EES16_EEDaS11_S12_EUlS11_E_NS1_11comp_targetILNS1_3genE4ELNS1_11target_archE910ELNS1_3gpuE8ELNS1_3repE0EEENS1_30default_config_static_selectorELNS0_4arch9wavefront6targetE0EEEvT1_
; %bb.0:
	.section	.rodata,"a",@progbits
	.p2align	6, 0x0
	.amdhsa_kernel _ZN7rocprim17ROCPRIM_400000_NS6detail17trampoline_kernelINS0_14default_configENS1_25partition_config_selectorILNS1_17partition_subalgoE5ElNS0_10empty_typeEbEEZZNS1_14partition_implILS5_5ELb0ES3_mN6hipcub16HIPCUB_304000_NS21CountingInputIteratorIllEEPS6_NSA_22TransformInputIteratorIb7NonZeroIsEPslEENS0_5tupleIJPlS6_EEENSJ_IJSD_SD_EEES6_SK_JS6_EEE10hipError_tPvRmT3_T4_T5_T6_T7_T9_mT8_P12ihipStream_tbDpT10_ENKUlT_T0_E_clISt17integral_constantIbLb0EES16_EEDaS11_S12_EUlS11_E_NS1_11comp_targetILNS1_3genE4ELNS1_11target_archE910ELNS1_3gpuE8ELNS1_3repE0EEENS1_30default_config_static_selectorELNS0_4arch9wavefront6targetE0EEEvT1_
		.amdhsa_group_segment_fixed_size 0
		.amdhsa_private_segment_fixed_size 0
		.amdhsa_kernarg_size 120
		.amdhsa_user_sgpr_count 15
		.amdhsa_user_sgpr_dispatch_ptr 0
		.amdhsa_user_sgpr_queue_ptr 0
		.amdhsa_user_sgpr_kernarg_segment_ptr 1
		.amdhsa_user_sgpr_dispatch_id 0
		.amdhsa_user_sgpr_private_segment_size 0
		.amdhsa_wavefront_size32 1
		.amdhsa_uses_dynamic_stack 0
		.amdhsa_enable_private_segment 0
		.amdhsa_system_sgpr_workgroup_id_x 1
		.amdhsa_system_sgpr_workgroup_id_y 0
		.amdhsa_system_sgpr_workgroup_id_z 0
		.amdhsa_system_sgpr_workgroup_info 0
		.amdhsa_system_vgpr_workitem_id 0
		.amdhsa_next_free_vgpr 1
		.amdhsa_next_free_sgpr 1
		.amdhsa_reserve_vcc 0
		.amdhsa_float_round_mode_32 0
		.amdhsa_float_round_mode_16_64 0
		.amdhsa_float_denorm_mode_32 3
		.amdhsa_float_denorm_mode_16_64 3
		.amdhsa_dx10_clamp 1
		.amdhsa_ieee_mode 1
		.amdhsa_fp16_overflow 0
		.amdhsa_workgroup_processor_mode 1
		.amdhsa_memory_ordered 1
		.amdhsa_forward_progress 0
		.amdhsa_shared_vgpr_count 0
		.amdhsa_exception_fp_ieee_invalid_op 0
		.amdhsa_exception_fp_denorm_src 0
		.amdhsa_exception_fp_ieee_div_zero 0
		.amdhsa_exception_fp_ieee_overflow 0
		.amdhsa_exception_fp_ieee_underflow 0
		.amdhsa_exception_fp_ieee_inexact 0
		.amdhsa_exception_int_div_zero 0
	.end_amdhsa_kernel
	.section	.text._ZN7rocprim17ROCPRIM_400000_NS6detail17trampoline_kernelINS0_14default_configENS1_25partition_config_selectorILNS1_17partition_subalgoE5ElNS0_10empty_typeEbEEZZNS1_14partition_implILS5_5ELb0ES3_mN6hipcub16HIPCUB_304000_NS21CountingInputIteratorIllEEPS6_NSA_22TransformInputIteratorIb7NonZeroIsEPslEENS0_5tupleIJPlS6_EEENSJ_IJSD_SD_EEES6_SK_JS6_EEE10hipError_tPvRmT3_T4_T5_T6_T7_T9_mT8_P12ihipStream_tbDpT10_ENKUlT_T0_E_clISt17integral_constantIbLb0EES16_EEDaS11_S12_EUlS11_E_NS1_11comp_targetILNS1_3genE4ELNS1_11target_archE910ELNS1_3gpuE8ELNS1_3repE0EEENS1_30default_config_static_selectorELNS0_4arch9wavefront6targetE0EEEvT1_,"axG",@progbits,_ZN7rocprim17ROCPRIM_400000_NS6detail17trampoline_kernelINS0_14default_configENS1_25partition_config_selectorILNS1_17partition_subalgoE5ElNS0_10empty_typeEbEEZZNS1_14partition_implILS5_5ELb0ES3_mN6hipcub16HIPCUB_304000_NS21CountingInputIteratorIllEEPS6_NSA_22TransformInputIteratorIb7NonZeroIsEPslEENS0_5tupleIJPlS6_EEENSJ_IJSD_SD_EEES6_SK_JS6_EEE10hipError_tPvRmT3_T4_T5_T6_T7_T9_mT8_P12ihipStream_tbDpT10_ENKUlT_T0_E_clISt17integral_constantIbLb0EES16_EEDaS11_S12_EUlS11_E_NS1_11comp_targetILNS1_3genE4ELNS1_11target_archE910ELNS1_3gpuE8ELNS1_3repE0EEENS1_30default_config_static_selectorELNS0_4arch9wavefront6targetE0EEEvT1_,comdat
.Lfunc_end119:
	.size	_ZN7rocprim17ROCPRIM_400000_NS6detail17trampoline_kernelINS0_14default_configENS1_25partition_config_selectorILNS1_17partition_subalgoE5ElNS0_10empty_typeEbEEZZNS1_14partition_implILS5_5ELb0ES3_mN6hipcub16HIPCUB_304000_NS21CountingInputIteratorIllEEPS6_NSA_22TransformInputIteratorIb7NonZeroIsEPslEENS0_5tupleIJPlS6_EEENSJ_IJSD_SD_EEES6_SK_JS6_EEE10hipError_tPvRmT3_T4_T5_T6_T7_T9_mT8_P12ihipStream_tbDpT10_ENKUlT_T0_E_clISt17integral_constantIbLb0EES16_EEDaS11_S12_EUlS11_E_NS1_11comp_targetILNS1_3genE4ELNS1_11target_archE910ELNS1_3gpuE8ELNS1_3repE0EEENS1_30default_config_static_selectorELNS0_4arch9wavefront6targetE0EEEvT1_, .Lfunc_end119-_ZN7rocprim17ROCPRIM_400000_NS6detail17trampoline_kernelINS0_14default_configENS1_25partition_config_selectorILNS1_17partition_subalgoE5ElNS0_10empty_typeEbEEZZNS1_14partition_implILS5_5ELb0ES3_mN6hipcub16HIPCUB_304000_NS21CountingInputIteratorIllEEPS6_NSA_22TransformInputIteratorIb7NonZeroIsEPslEENS0_5tupleIJPlS6_EEENSJ_IJSD_SD_EEES6_SK_JS6_EEE10hipError_tPvRmT3_T4_T5_T6_T7_T9_mT8_P12ihipStream_tbDpT10_ENKUlT_T0_E_clISt17integral_constantIbLb0EES16_EEDaS11_S12_EUlS11_E_NS1_11comp_targetILNS1_3genE4ELNS1_11target_archE910ELNS1_3gpuE8ELNS1_3repE0EEENS1_30default_config_static_selectorELNS0_4arch9wavefront6targetE0EEEvT1_
                                        ; -- End function
	.section	.AMDGPU.csdata,"",@progbits
; Kernel info:
; codeLenInByte = 0
; NumSgprs: 0
; NumVgprs: 0
; ScratchSize: 0
; MemoryBound: 0
; FloatMode: 240
; IeeeMode: 1
; LDSByteSize: 0 bytes/workgroup (compile time only)
; SGPRBlocks: 0
; VGPRBlocks: 0
; NumSGPRsForWavesPerEU: 1
; NumVGPRsForWavesPerEU: 1
; Occupancy: 15
; WaveLimiterHint : 0
; COMPUTE_PGM_RSRC2:SCRATCH_EN: 0
; COMPUTE_PGM_RSRC2:USER_SGPR: 15
; COMPUTE_PGM_RSRC2:TRAP_HANDLER: 0
; COMPUTE_PGM_RSRC2:TGID_X_EN: 1
; COMPUTE_PGM_RSRC2:TGID_Y_EN: 0
; COMPUTE_PGM_RSRC2:TGID_Z_EN: 0
; COMPUTE_PGM_RSRC2:TIDIG_COMP_CNT: 0
	.section	.text._ZN7rocprim17ROCPRIM_400000_NS6detail17trampoline_kernelINS0_14default_configENS1_25partition_config_selectorILNS1_17partition_subalgoE5ElNS0_10empty_typeEbEEZZNS1_14partition_implILS5_5ELb0ES3_mN6hipcub16HIPCUB_304000_NS21CountingInputIteratorIllEEPS6_NSA_22TransformInputIteratorIb7NonZeroIsEPslEENS0_5tupleIJPlS6_EEENSJ_IJSD_SD_EEES6_SK_JS6_EEE10hipError_tPvRmT3_T4_T5_T6_T7_T9_mT8_P12ihipStream_tbDpT10_ENKUlT_T0_E_clISt17integral_constantIbLb0EES16_EEDaS11_S12_EUlS11_E_NS1_11comp_targetILNS1_3genE3ELNS1_11target_archE908ELNS1_3gpuE7ELNS1_3repE0EEENS1_30default_config_static_selectorELNS0_4arch9wavefront6targetE0EEEvT1_,"axG",@progbits,_ZN7rocprim17ROCPRIM_400000_NS6detail17trampoline_kernelINS0_14default_configENS1_25partition_config_selectorILNS1_17partition_subalgoE5ElNS0_10empty_typeEbEEZZNS1_14partition_implILS5_5ELb0ES3_mN6hipcub16HIPCUB_304000_NS21CountingInputIteratorIllEEPS6_NSA_22TransformInputIteratorIb7NonZeroIsEPslEENS0_5tupleIJPlS6_EEENSJ_IJSD_SD_EEES6_SK_JS6_EEE10hipError_tPvRmT3_T4_T5_T6_T7_T9_mT8_P12ihipStream_tbDpT10_ENKUlT_T0_E_clISt17integral_constantIbLb0EES16_EEDaS11_S12_EUlS11_E_NS1_11comp_targetILNS1_3genE3ELNS1_11target_archE908ELNS1_3gpuE7ELNS1_3repE0EEENS1_30default_config_static_selectorELNS0_4arch9wavefront6targetE0EEEvT1_,comdat
	.protected	_ZN7rocprim17ROCPRIM_400000_NS6detail17trampoline_kernelINS0_14default_configENS1_25partition_config_selectorILNS1_17partition_subalgoE5ElNS0_10empty_typeEbEEZZNS1_14partition_implILS5_5ELb0ES3_mN6hipcub16HIPCUB_304000_NS21CountingInputIteratorIllEEPS6_NSA_22TransformInputIteratorIb7NonZeroIsEPslEENS0_5tupleIJPlS6_EEENSJ_IJSD_SD_EEES6_SK_JS6_EEE10hipError_tPvRmT3_T4_T5_T6_T7_T9_mT8_P12ihipStream_tbDpT10_ENKUlT_T0_E_clISt17integral_constantIbLb0EES16_EEDaS11_S12_EUlS11_E_NS1_11comp_targetILNS1_3genE3ELNS1_11target_archE908ELNS1_3gpuE7ELNS1_3repE0EEENS1_30default_config_static_selectorELNS0_4arch9wavefront6targetE0EEEvT1_ ; -- Begin function _ZN7rocprim17ROCPRIM_400000_NS6detail17trampoline_kernelINS0_14default_configENS1_25partition_config_selectorILNS1_17partition_subalgoE5ElNS0_10empty_typeEbEEZZNS1_14partition_implILS5_5ELb0ES3_mN6hipcub16HIPCUB_304000_NS21CountingInputIteratorIllEEPS6_NSA_22TransformInputIteratorIb7NonZeroIsEPslEENS0_5tupleIJPlS6_EEENSJ_IJSD_SD_EEES6_SK_JS6_EEE10hipError_tPvRmT3_T4_T5_T6_T7_T9_mT8_P12ihipStream_tbDpT10_ENKUlT_T0_E_clISt17integral_constantIbLb0EES16_EEDaS11_S12_EUlS11_E_NS1_11comp_targetILNS1_3genE3ELNS1_11target_archE908ELNS1_3gpuE7ELNS1_3repE0EEENS1_30default_config_static_selectorELNS0_4arch9wavefront6targetE0EEEvT1_
	.globl	_ZN7rocprim17ROCPRIM_400000_NS6detail17trampoline_kernelINS0_14default_configENS1_25partition_config_selectorILNS1_17partition_subalgoE5ElNS0_10empty_typeEbEEZZNS1_14partition_implILS5_5ELb0ES3_mN6hipcub16HIPCUB_304000_NS21CountingInputIteratorIllEEPS6_NSA_22TransformInputIteratorIb7NonZeroIsEPslEENS0_5tupleIJPlS6_EEENSJ_IJSD_SD_EEES6_SK_JS6_EEE10hipError_tPvRmT3_T4_T5_T6_T7_T9_mT8_P12ihipStream_tbDpT10_ENKUlT_T0_E_clISt17integral_constantIbLb0EES16_EEDaS11_S12_EUlS11_E_NS1_11comp_targetILNS1_3genE3ELNS1_11target_archE908ELNS1_3gpuE7ELNS1_3repE0EEENS1_30default_config_static_selectorELNS0_4arch9wavefront6targetE0EEEvT1_
	.p2align	8
	.type	_ZN7rocprim17ROCPRIM_400000_NS6detail17trampoline_kernelINS0_14default_configENS1_25partition_config_selectorILNS1_17partition_subalgoE5ElNS0_10empty_typeEbEEZZNS1_14partition_implILS5_5ELb0ES3_mN6hipcub16HIPCUB_304000_NS21CountingInputIteratorIllEEPS6_NSA_22TransformInputIteratorIb7NonZeroIsEPslEENS0_5tupleIJPlS6_EEENSJ_IJSD_SD_EEES6_SK_JS6_EEE10hipError_tPvRmT3_T4_T5_T6_T7_T9_mT8_P12ihipStream_tbDpT10_ENKUlT_T0_E_clISt17integral_constantIbLb0EES16_EEDaS11_S12_EUlS11_E_NS1_11comp_targetILNS1_3genE3ELNS1_11target_archE908ELNS1_3gpuE7ELNS1_3repE0EEENS1_30default_config_static_selectorELNS0_4arch9wavefront6targetE0EEEvT1_,@function
_ZN7rocprim17ROCPRIM_400000_NS6detail17trampoline_kernelINS0_14default_configENS1_25partition_config_selectorILNS1_17partition_subalgoE5ElNS0_10empty_typeEbEEZZNS1_14partition_implILS5_5ELb0ES3_mN6hipcub16HIPCUB_304000_NS21CountingInputIteratorIllEEPS6_NSA_22TransformInputIteratorIb7NonZeroIsEPslEENS0_5tupleIJPlS6_EEENSJ_IJSD_SD_EEES6_SK_JS6_EEE10hipError_tPvRmT3_T4_T5_T6_T7_T9_mT8_P12ihipStream_tbDpT10_ENKUlT_T0_E_clISt17integral_constantIbLb0EES16_EEDaS11_S12_EUlS11_E_NS1_11comp_targetILNS1_3genE3ELNS1_11target_archE908ELNS1_3gpuE7ELNS1_3repE0EEENS1_30default_config_static_selectorELNS0_4arch9wavefront6targetE0EEEvT1_: ; @_ZN7rocprim17ROCPRIM_400000_NS6detail17trampoline_kernelINS0_14default_configENS1_25partition_config_selectorILNS1_17partition_subalgoE5ElNS0_10empty_typeEbEEZZNS1_14partition_implILS5_5ELb0ES3_mN6hipcub16HIPCUB_304000_NS21CountingInputIteratorIllEEPS6_NSA_22TransformInputIteratorIb7NonZeroIsEPslEENS0_5tupleIJPlS6_EEENSJ_IJSD_SD_EEES6_SK_JS6_EEE10hipError_tPvRmT3_T4_T5_T6_T7_T9_mT8_P12ihipStream_tbDpT10_ENKUlT_T0_E_clISt17integral_constantIbLb0EES16_EEDaS11_S12_EUlS11_E_NS1_11comp_targetILNS1_3genE3ELNS1_11target_archE908ELNS1_3gpuE7ELNS1_3repE0EEENS1_30default_config_static_selectorELNS0_4arch9wavefront6targetE0EEEvT1_
; %bb.0:
	.section	.rodata,"a",@progbits
	.p2align	6, 0x0
	.amdhsa_kernel _ZN7rocprim17ROCPRIM_400000_NS6detail17trampoline_kernelINS0_14default_configENS1_25partition_config_selectorILNS1_17partition_subalgoE5ElNS0_10empty_typeEbEEZZNS1_14partition_implILS5_5ELb0ES3_mN6hipcub16HIPCUB_304000_NS21CountingInputIteratorIllEEPS6_NSA_22TransformInputIteratorIb7NonZeroIsEPslEENS0_5tupleIJPlS6_EEENSJ_IJSD_SD_EEES6_SK_JS6_EEE10hipError_tPvRmT3_T4_T5_T6_T7_T9_mT8_P12ihipStream_tbDpT10_ENKUlT_T0_E_clISt17integral_constantIbLb0EES16_EEDaS11_S12_EUlS11_E_NS1_11comp_targetILNS1_3genE3ELNS1_11target_archE908ELNS1_3gpuE7ELNS1_3repE0EEENS1_30default_config_static_selectorELNS0_4arch9wavefront6targetE0EEEvT1_
		.amdhsa_group_segment_fixed_size 0
		.amdhsa_private_segment_fixed_size 0
		.amdhsa_kernarg_size 120
		.amdhsa_user_sgpr_count 15
		.amdhsa_user_sgpr_dispatch_ptr 0
		.amdhsa_user_sgpr_queue_ptr 0
		.amdhsa_user_sgpr_kernarg_segment_ptr 1
		.amdhsa_user_sgpr_dispatch_id 0
		.amdhsa_user_sgpr_private_segment_size 0
		.amdhsa_wavefront_size32 1
		.amdhsa_uses_dynamic_stack 0
		.amdhsa_enable_private_segment 0
		.amdhsa_system_sgpr_workgroup_id_x 1
		.amdhsa_system_sgpr_workgroup_id_y 0
		.amdhsa_system_sgpr_workgroup_id_z 0
		.amdhsa_system_sgpr_workgroup_info 0
		.amdhsa_system_vgpr_workitem_id 0
		.amdhsa_next_free_vgpr 1
		.amdhsa_next_free_sgpr 1
		.amdhsa_reserve_vcc 0
		.amdhsa_float_round_mode_32 0
		.amdhsa_float_round_mode_16_64 0
		.amdhsa_float_denorm_mode_32 3
		.amdhsa_float_denorm_mode_16_64 3
		.amdhsa_dx10_clamp 1
		.amdhsa_ieee_mode 1
		.amdhsa_fp16_overflow 0
		.amdhsa_workgroup_processor_mode 1
		.amdhsa_memory_ordered 1
		.amdhsa_forward_progress 0
		.amdhsa_shared_vgpr_count 0
		.amdhsa_exception_fp_ieee_invalid_op 0
		.amdhsa_exception_fp_denorm_src 0
		.amdhsa_exception_fp_ieee_div_zero 0
		.amdhsa_exception_fp_ieee_overflow 0
		.amdhsa_exception_fp_ieee_underflow 0
		.amdhsa_exception_fp_ieee_inexact 0
		.amdhsa_exception_int_div_zero 0
	.end_amdhsa_kernel
	.section	.text._ZN7rocprim17ROCPRIM_400000_NS6detail17trampoline_kernelINS0_14default_configENS1_25partition_config_selectorILNS1_17partition_subalgoE5ElNS0_10empty_typeEbEEZZNS1_14partition_implILS5_5ELb0ES3_mN6hipcub16HIPCUB_304000_NS21CountingInputIteratorIllEEPS6_NSA_22TransformInputIteratorIb7NonZeroIsEPslEENS0_5tupleIJPlS6_EEENSJ_IJSD_SD_EEES6_SK_JS6_EEE10hipError_tPvRmT3_T4_T5_T6_T7_T9_mT8_P12ihipStream_tbDpT10_ENKUlT_T0_E_clISt17integral_constantIbLb0EES16_EEDaS11_S12_EUlS11_E_NS1_11comp_targetILNS1_3genE3ELNS1_11target_archE908ELNS1_3gpuE7ELNS1_3repE0EEENS1_30default_config_static_selectorELNS0_4arch9wavefront6targetE0EEEvT1_,"axG",@progbits,_ZN7rocprim17ROCPRIM_400000_NS6detail17trampoline_kernelINS0_14default_configENS1_25partition_config_selectorILNS1_17partition_subalgoE5ElNS0_10empty_typeEbEEZZNS1_14partition_implILS5_5ELb0ES3_mN6hipcub16HIPCUB_304000_NS21CountingInputIteratorIllEEPS6_NSA_22TransformInputIteratorIb7NonZeroIsEPslEENS0_5tupleIJPlS6_EEENSJ_IJSD_SD_EEES6_SK_JS6_EEE10hipError_tPvRmT3_T4_T5_T6_T7_T9_mT8_P12ihipStream_tbDpT10_ENKUlT_T0_E_clISt17integral_constantIbLb0EES16_EEDaS11_S12_EUlS11_E_NS1_11comp_targetILNS1_3genE3ELNS1_11target_archE908ELNS1_3gpuE7ELNS1_3repE0EEENS1_30default_config_static_selectorELNS0_4arch9wavefront6targetE0EEEvT1_,comdat
.Lfunc_end120:
	.size	_ZN7rocprim17ROCPRIM_400000_NS6detail17trampoline_kernelINS0_14default_configENS1_25partition_config_selectorILNS1_17partition_subalgoE5ElNS0_10empty_typeEbEEZZNS1_14partition_implILS5_5ELb0ES3_mN6hipcub16HIPCUB_304000_NS21CountingInputIteratorIllEEPS6_NSA_22TransformInputIteratorIb7NonZeroIsEPslEENS0_5tupleIJPlS6_EEENSJ_IJSD_SD_EEES6_SK_JS6_EEE10hipError_tPvRmT3_T4_T5_T6_T7_T9_mT8_P12ihipStream_tbDpT10_ENKUlT_T0_E_clISt17integral_constantIbLb0EES16_EEDaS11_S12_EUlS11_E_NS1_11comp_targetILNS1_3genE3ELNS1_11target_archE908ELNS1_3gpuE7ELNS1_3repE0EEENS1_30default_config_static_selectorELNS0_4arch9wavefront6targetE0EEEvT1_, .Lfunc_end120-_ZN7rocprim17ROCPRIM_400000_NS6detail17trampoline_kernelINS0_14default_configENS1_25partition_config_selectorILNS1_17partition_subalgoE5ElNS0_10empty_typeEbEEZZNS1_14partition_implILS5_5ELb0ES3_mN6hipcub16HIPCUB_304000_NS21CountingInputIteratorIllEEPS6_NSA_22TransformInputIteratorIb7NonZeroIsEPslEENS0_5tupleIJPlS6_EEENSJ_IJSD_SD_EEES6_SK_JS6_EEE10hipError_tPvRmT3_T4_T5_T6_T7_T9_mT8_P12ihipStream_tbDpT10_ENKUlT_T0_E_clISt17integral_constantIbLb0EES16_EEDaS11_S12_EUlS11_E_NS1_11comp_targetILNS1_3genE3ELNS1_11target_archE908ELNS1_3gpuE7ELNS1_3repE0EEENS1_30default_config_static_selectorELNS0_4arch9wavefront6targetE0EEEvT1_
                                        ; -- End function
	.section	.AMDGPU.csdata,"",@progbits
; Kernel info:
; codeLenInByte = 0
; NumSgprs: 0
; NumVgprs: 0
; ScratchSize: 0
; MemoryBound: 0
; FloatMode: 240
; IeeeMode: 1
; LDSByteSize: 0 bytes/workgroup (compile time only)
; SGPRBlocks: 0
; VGPRBlocks: 0
; NumSGPRsForWavesPerEU: 1
; NumVGPRsForWavesPerEU: 1
; Occupancy: 16
; WaveLimiterHint : 0
; COMPUTE_PGM_RSRC2:SCRATCH_EN: 0
; COMPUTE_PGM_RSRC2:USER_SGPR: 15
; COMPUTE_PGM_RSRC2:TRAP_HANDLER: 0
; COMPUTE_PGM_RSRC2:TGID_X_EN: 1
; COMPUTE_PGM_RSRC2:TGID_Y_EN: 0
; COMPUTE_PGM_RSRC2:TGID_Z_EN: 0
; COMPUTE_PGM_RSRC2:TIDIG_COMP_CNT: 0
	.section	.text._ZN7rocprim17ROCPRIM_400000_NS6detail17trampoline_kernelINS0_14default_configENS1_25partition_config_selectorILNS1_17partition_subalgoE5ElNS0_10empty_typeEbEEZZNS1_14partition_implILS5_5ELb0ES3_mN6hipcub16HIPCUB_304000_NS21CountingInputIteratorIllEEPS6_NSA_22TransformInputIteratorIb7NonZeroIsEPslEENS0_5tupleIJPlS6_EEENSJ_IJSD_SD_EEES6_SK_JS6_EEE10hipError_tPvRmT3_T4_T5_T6_T7_T9_mT8_P12ihipStream_tbDpT10_ENKUlT_T0_E_clISt17integral_constantIbLb0EES16_EEDaS11_S12_EUlS11_E_NS1_11comp_targetILNS1_3genE2ELNS1_11target_archE906ELNS1_3gpuE6ELNS1_3repE0EEENS1_30default_config_static_selectorELNS0_4arch9wavefront6targetE0EEEvT1_,"axG",@progbits,_ZN7rocprim17ROCPRIM_400000_NS6detail17trampoline_kernelINS0_14default_configENS1_25partition_config_selectorILNS1_17partition_subalgoE5ElNS0_10empty_typeEbEEZZNS1_14partition_implILS5_5ELb0ES3_mN6hipcub16HIPCUB_304000_NS21CountingInputIteratorIllEEPS6_NSA_22TransformInputIteratorIb7NonZeroIsEPslEENS0_5tupleIJPlS6_EEENSJ_IJSD_SD_EEES6_SK_JS6_EEE10hipError_tPvRmT3_T4_T5_T6_T7_T9_mT8_P12ihipStream_tbDpT10_ENKUlT_T0_E_clISt17integral_constantIbLb0EES16_EEDaS11_S12_EUlS11_E_NS1_11comp_targetILNS1_3genE2ELNS1_11target_archE906ELNS1_3gpuE6ELNS1_3repE0EEENS1_30default_config_static_selectorELNS0_4arch9wavefront6targetE0EEEvT1_,comdat
	.protected	_ZN7rocprim17ROCPRIM_400000_NS6detail17trampoline_kernelINS0_14default_configENS1_25partition_config_selectorILNS1_17partition_subalgoE5ElNS0_10empty_typeEbEEZZNS1_14partition_implILS5_5ELb0ES3_mN6hipcub16HIPCUB_304000_NS21CountingInputIteratorIllEEPS6_NSA_22TransformInputIteratorIb7NonZeroIsEPslEENS0_5tupleIJPlS6_EEENSJ_IJSD_SD_EEES6_SK_JS6_EEE10hipError_tPvRmT3_T4_T5_T6_T7_T9_mT8_P12ihipStream_tbDpT10_ENKUlT_T0_E_clISt17integral_constantIbLb0EES16_EEDaS11_S12_EUlS11_E_NS1_11comp_targetILNS1_3genE2ELNS1_11target_archE906ELNS1_3gpuE6ELNS1_3repE0EEENS1_30default_config_static_selectorELNS0_4arch9wavefront6targetE0EEEvT1_ ; -- Begin function _ZN7rocprim17ROCPRIM_400000_NS6detail17trampoline_kernelINS0_14default_configENS1_25partition_config_selectorILNS1_17partition_subalgoE5ElNS0_10empty_typeEbEEZZNS1_14partition_implILS5_5ELb0ES3_mN6hipcub16HIPCUB_304000_NS21CountingInputIteratorIllEEPS6_NSA_22TransformInputIteratorIb7NonZeroIsEPslEENS0_5tupleIJPlS6_EEENSJ_IJSD_SD_EEES6_SK_JS6_EEE10hipError_tPvRmT3_T4_T5_T6_T7_T9_mT8_P12ihipStream_tbDpT10_ENKUlT_T0_E_clISt17integral_constantIbLb0EES16_EEDaS11_S12_EUlS11_E_NS1_11comp_targetILNS1_3genE2ELNS1_11target_archE906ELNS1_3gpuE6ELNS1_3repE0EEENS1_30default_config_static_selectorELNS0_4arch9wavefront6targetE0EEEvT1_
	.globl	_ZN7rocprim17ROCPRIM_400000_NS6detail17trampoline_kernelINS0_14default_configENS1_25partition_config_selectorILNS1_17partition_subalgoE5ElNS0_10empty_typeEbEEZZNS1_14partition_implILS5_5ELb0ES3_mN6hipcub16HIPCUB_304000_NS21CountingInputIteratorIllEEPS6_NSA_22TransformInputIteratorIb7NonZeroIsEPslEENS0_5tupleIJPlS6_EEENSJ_IJSD_SD_EEES6_SK_JS6_EEE10hipError_tPvRmT3_T4_T5_T6_T7_T9_mT8_P12ihipStream_tbDpT10_ENKUlT_T0_E_clISt17integral_constantIbLb0EES16_EEDaS11_S12_EUlS11_E_NS1_11comp_targetILNS1_3genE2ELNS1_11target_archE906ELNS1_3gpuE6ELNS1_3repE0EEENS1_30default_config_static_selectorELNS0_4arch9wavefront6targetE0EEEvT1_
	.p2align	8
	.type	_ZN7rocprim17ROCPRIM_400000_NS6detail17trampoline_kernelINS0_14default_configENS1_25partition_config_selectorILNS1_17partition_subalgoE5ElNS0_10empty_typeEbEEZZNS1_14partition_implILS5_5ELb0ES3_mN6hipcub16HIPCUB_304000_NS21CountingInputIteratorIllEEPS6_NSA_22TransformInputIteratorIb7NonZeroIsEPslEENS0_5tupleIJPlS6_EEENSJ_IJSD_SD_EEES6_SK_JS6_EEE10hipError_tPvRmT3_T4_T5_T6_T7_T9_mT8_P12ihipStream_tbDpT10_ENKUlT_T0_E_clISt17integral_constantIbLb0EES16_EEDaS11_S12_EUlS11_E_NS1_11comp_targetILNS1_3genE2ELNS1_11target_archE906ELNS1_3gpuE6ELNS1_3repE0EEENS1_30default_config_static_selectorELNS0_4arch9wavefront6targetE0EEEvT1_,@function
_ZN7rocprim17ROCPRIM_400000_NS6detail17trampoline_kernelINS0_14default_configENS1_25partition_config_selectorILNS1_17partition_subalgoE5ElNS0_10empty_typeEbEEZZNS1_14partition_implILS5_5ELb0ES3_mN6hipcub16HIPCUB_304000_NS21CountingInputIteratorIllEEPS6_NSA_22TransformInputIteratorIb7NonZeroIsEPslEENS0_5tupleIJPlS6_EEENSJ_IJSD_SD_EEES6_SK_JS6_EEE10hipError_tPvRmT3_T4_T5_T6_T7_T9_mT8_P12ihipStream_tbDpT10_ENKUlT_T0_E_clISt17integral_constantIbLb0EES16_EEDaS11_S12_EUlS11_E_NS1_11comp_targetILNS1_3genE2ELNS1_11target_archE906ELNS1_3gpuE6ELNS1_3repE0EEENS1_30default_config_static_selectorELNS0_4arch9wavefront6targetE0EEEvT1_: ; @_ZN7rocprim17ROCPRIM_400000_NS6detail17trampoline_kernelINS0_14default_configENS1_25partition_config_selectorILNS1_17partition_subalgoE5ElNS0_10empty_typeEbEEZZNS1_14partition_implILS5_5ELb0ES3_mN6hipcub16HIPCUB_304000_NS21CountingInputIteratorIllEEPS6_NSA_22TransformInputIteratorIb7NonZeroIsEPslEENS0_5tupleIJPlS6_EEENSJ_IJSD_SD_EEES6_SK_JS6_EEE10hipError_tPvRmT3_T4_T5_T6_T7_T9_mT8_P12ihipStream_tbDpT10_ENKUlT_T0_E_clISt17integral_constantIbLb0EES16_EEDaS11_S12_EUlS11_E_NS1_11comp_targetILNS1_3genE2ELNS1_11target_archE906ELNS1_3gpuE6ELNS1_3repE0EEENS1_30default_config_static_selectorELNS0_4arch9wavefront6targetE0EEEvT1_
; %bb.0:
	.section	.rodata,"a",@progbits
	.p2align	6, 0x0
	.amdhsa_kernel _ZN7rocprim17ROCPRIM_400000_NS6detail17trampoline_kernelINS0_14default_configENS1_25partition_config_selectorILNS1_17partition_subalgoE5ElNS0_10empty_typeEbEEZZNS1_14partition_implILS5_5ELb0ES3_mN6hipcub16HIPCUB_304000_NS21CountingInputIteratorIllEEPS6_NSA_22TransformInputIteratorIb7NonZeroIsEPslEENS0_5tupleIJPlS6_EEENSJ_IJSD_SD_EEES6_SK_JS6_EEE10hipError_tPvRmT3_T4_T5_T6_T7_T9_mT8_P12ihipStream_tbDpT10_ENKUlT_T0_E_clISt17integral_constantIbLb0EES16_EEDaS11_S12_EUlS11_E_NS1_11comp_targetILNS1_3genE2ELNS1_11target_archE906ELNS1_3gpuE6ELNS1_3repE0EEENS1_30default_config_static_selectorELNS0_4arch9wavefront6targetE0EEEvT1_
		.amdhsa_group_segment_fixed_size 0
		.amdhsa_private_segment_fixed_size 0
		.amdhsa_kernarg_size 120
		.amdhsa_user_sgpr_count 15
		.amdhsa_user_sgpr_dispatch_ptr 0
		.amdhsa_user_sgpr_queue_ptr 0
		.amdhsa_user_sgpr_kernarg_segment_ptr 1
		.amdhsa_user_sgpr_dispatch_id 0
		.amdhsa_user_sgpr_private_segment_size 0
		.amdhsa_wavefront_size32 1
		.amdhsa_uses_dynamic_stack 0
		.amdhsa_enable_private_segment 0
		.amdhsa_system_sgpr_workgroup_id_x 1
		.amdhsa_system_sgpr_workgroup_id_y 0
		.amdhsa_system_sgpr_workgroup_id_z 0
		.amdhsa_system_sgpr_workgroup_info 0
		.amdhsa_system_vgpr_workitem_id 0
		.amdhsa_next_free_vgpr 1
		.amdhsa_next_free_sgpr 1
		.amdhsa_reserve_vcc 0
		.amdhsa_float_round_mode_32 0
		.amdhsa_float_round_mode_16_64 0
		.amdhsa_float_denorm_mode_32 3
		.amdhsa_float_denorm_mode_16_64 3
		.amdhsa_dx10_clamp 1
		.amdhsa_ieee_mode 1
		.amdhsa_fp16_overflow 0
		.amdhsa_workgroup_processor_mode 1
		.amdhsa_memory_ordered 1
		.amdhsa_forward_progress 0
		.amdhsa_shared_vgpr_count 0
		.amdhsa_exception_fp_ieee_invalid_op 0
		.amdhsa_exception_fp_denorm_src 0
		.amdhsa_exception_fp_ieee_div_zero 0
		.amdhsa_exception_fp_ieee_overflow 0
		.amdhsa_exception_fp_ieee_underflow 0
		.amdhsa_exception_fp_ieee_inexact 0
		.amdhsa_exception_int_div_zero 0
	.end_amdhsa_kernel
	.section	.text._ZN7rocprim17ROCPRIM_400000_NS6detail17trampoline_kernelINS0_14default_configENS1_25partition_config_selectorILNS1_17partition_subalgoE5ElNS0_10empty_typeEbEEZZNS1_14partition_implILS5_5ELb0ES3_mN6hipcub16HIPCUB_304000_NS21CountingInputIteratorIllEEPS6_NSA_22TransformInputIteratorIb7NonZeroIsEPslEENS0_5tupleIJPlS6_EEENSJ_IJSD_SD_EEES6_SK_JS6_EEE10hipError_tPvRmT3_T4_T5_T6_T7_T9_mT8_P12ihipStream_tbDpT10_ENKUlT_T0_E_clISt17integral_constantIbLb0EES16_EEDaS11_S12_EUlS11_E_NS1_11comp_targetILNS1_3genE2ELNS1_11target_archE906ELNS1_3gpuE6ELNS1_3repE0EEENS1_30default_config_static_selectorELNS0_4arch9wavefront6targetE0EEEvT1_,"axG",@progbits,_ZN7rocprim17ROCPRIM_400000_NS6detail17trampoline_kernelINS0_14default_configENS1_25partition_config_selectorILNS1_17partition_subalgoE5ElNS0_10empty_typeEbEEZZNS1_14partition_implILS5_5ELb0ES3_mN6hipcub16HIPCUB_304000_NS21CountingInputIteratorIllEEPS6_NSA_22TransformInputIteratorIb7NonZeroIsEPslEENS0_5tupleIJPlS6_EEENSJ_IJSD_SD_EEES6_SK_JS6_EEE10hipError_tPvRmT3_T4_T5_T6_T7_T9_mT8_P12ihipStream_tbDpT10_ENKUlT_T0_E_clISt17integral_constantIbLb0EES16_EEDaS11_S12_EUlS11_E_NS1_11comp_targetILNS1_3genE2ELNS1_11target_archE906ELNS1_3gpuE6ELNS1_3repE0EEENS1_30default_config_static_selectorELNS0_4arch9wavefront6targetE0EEEvT1_,comdat
.Lfunc_end121:
	.size	_ZN7rocprim17ROCPRIM_400000_NS6detail17trampoline_kernelINS0_14default_configENS1_25partition_config_selectorILNS1_17partition_subalgoE5ElNS0_10empty_typeEbEEZZNS1_14partition_implILS5_5ELb0ES3_mN6hipcub16HIPCUB_304000_NS21CountingInputIteratorIllEEPS6_NSA_22TransformInputIteratorIb7NonZeroIsEPslEENS0_5tupleIJPlS6_EEENSJ_IJSD_SD_EEES6_SK_JS6_EEE10hipError_tPvRmT3_T4_T5_T6_T7_T9_mT8_P12ihipStream_tbDpT10_ENKUlT_T0_E_clISt17integral_constantIbLb0EES16_EEDaS11_S12_EUlS11_E_NS1_11comp_targetILNS1_3genE2ELNS1_11target_archE906ELNS1_3gpuE6ELNS1_3repE0EEENS1_30default_config_static_selectorELNS0_4arch9wavefront6targetE0EEEvT1_, .Lfunc_end121-_ZN7rocprim17ROCPRIM_400000_NS6detail17trampoline_kernelINS0_14default_configENS1_25partition_config_selectorILNS1_17partition_subalgoE5ElNS0_10empty_typeEbEEZZNS1_14partition_implILS5_5ELb0ES3_mN6hipcub16HIPCUB_304000_NS21CountingInputIteratorIllEEPS6_NSA_22TransformInputIteratorIb7NonZeroIsEPslEENS0_5tupleIJPlS6_EEENSJ_IJSD_SD_EEES6_SK_JS6_EEE10hipError_tPvRmT3_T4_T5_T6_T7_T9_mT8_P12ihipStream_tbDpT10_ENKUlT_T0_E_clISt17integral_constantIbLb0EES16_EEDaS11_S12_EUlS11_E_NS1_11comp_targetILNS1_3genE2ELNS1_11target_archE906ELNS1_3gpuE6ELNS1_3repE0EEENS1_30default_config_static_selectorELNS0_4arch9wavefront6targetE0EEEvT1_
                                        ; -- End function
	.section	.AMDGPU.csdata,"",@progbits
; Kernel info:
; codeLenInByte = 0
; NumSgprs: 0
; NumVgprs: 0
; ScratchSize: 0
; MemoryBound: 0
; FloatMode: 240
; IeeeMode: 1
; LDSByteSize: 0 bytes/workgroup (compile time only)
; SGPRBlocks: 0
; VGPRBlocks: 0
; NumSGPRsForWavesPerEU: 1
; NumVGPRsForWavesPerEU: 1
; Occupancy: 16
; WaveLimiterHint : 0
; COMPUTE_PGM_RSRC2:SCRATCH_EN: 0
; COMPUTE_PGM_RSRC2:USER_SGPR: 15
; COMPUTE_PGM_RSRC2:TRAP_HANDLER: 0
; COMPUTE_PGM_RSRC2:TGID_X_EN: 1
; COMPUTE_PGM_RSRC2:TGID_Y_EN: 0
; COMPUTE_PGM_RSRC2:TGID_Z_EN: 0
; COMPUTE_PGM_RSRC2:TIDIG_COMP_CNT: 0
	.section	.text._ZN7rocprim17ROCPRIM_400000_NS6detail17trampoline_kernelINS0_14default_configENS1_25partition_config_selectorILNS1_17partition_subalgoE5ElNS0_10empty_typeEbEEZZNS1_14partition_implILS5_5ELb0ES3_mN6hipcub16HIPCUB_304000_NS21CountingInputIteratorIllEEPS6_NSA_22TransformInputIteratorIb7NonZeroIsEPslEENS0_5tupleIJPlS6_EEENSJ_IJSD_SD_EEES6_SK_JS6_EEE10hipError_tPvRmT3_T4_T5_T6_T7_T9_mT8_P12ihipStream_tbDpT10_ENKUlT_T0_E_clISt17integral_constantIbLb0EES16_EEDaS11_S12_EUlS11_E_NS1_11comp_targetILNS1_3genE10ELNS1_11target_archE1200ELNS1_3gpuE4ELNS1_3repE0EEENS1_30default_config_static_selectorELNS0_4arch9wavefront6targetE0EEEvT1_,"axG",@progbits,_ZN7rocprim17ROCPRIM_400000_NS6detail17trampoline_kernelINS0_14default_configENS1_25partition_config_selectorILNS1_17partition_subalgoE5ElNS0_10empty_typeEbEEZZNS1_14partition_implILS5_5ELb0ES3_mN6hipcub16HIPCUB_304000_NS21CountingInputIteratorIllEEPS6_NSA_22TransformInputIteratorIb7NonZeroIsEPslEENS0_5tupleIJPlS6_EEENSJ_IJSD_SD_EEES6_SK_JS6_EEE10hipError_tPvRmT3_T4_T5_T6_T7_T9_mT8_P12ihipStream_tbDpT10_ENKUlT_T0_E_clISt17integral_constantIbLb0EES16_EEDaS11_S12_EUlS11_E_NS1_11comp_targetILNS1_3genE10ELNS1_11target_archE1200ELNS1_3gpuE4ELNS1_3repE0EEENS1_30default_config_static_selectorELNS0_4arch9wavefront6targetE0EEEvT1_,comdat
	.protected	_ZN7rocprim17ROCPRIM_400000_NS6detail17trampoline_kernelINS0_14default_configENS1_25partition_config_selectorILNS1_17partition_subalgoE5ElNS0_10empty_typeEbEEZZNS1_14partition_implILS5_5ELb0ES3_mN6hipcub16HIPCUB_304000_NS21CountingInputIteratorIllEEPS6_NSA_22TransformInputIteratorIb7NonZeroIsEPslEENS0_5tupleIJPlS6_EEENSJ_IJSD_SD_EEES6_SK_JS6_EEE10hipError_tPvRmT3_T4_T5_T6_T7_T9_mT8_P12ihipStream_tbDpT10_ENKUlT_T0_E_clISt17integral_constantIbLb0EES16_EEDaS11_S12_EUlS11_E_NS1_11comp_targetILNS1_3genE10ELNS1_11target_archE1200ELNS1_3gpuE4ELNS1_3repE0EEENS1_30default_config_static_selectorELNS0_4arch9wavefront6targetE0EEEvT1_ ; -- Begin function _ZN7rocprim17ROCPRIM_400000_NS6detail17trampoline_kernelINS0_14default_configENS1_25partition_config_selectorILNS1_17partition_subalgoE5ElNS0_10empty_typeEbEEZZNS1_14partition_implILS5_5ELb0ES3_mN6hipcub16HIPCUB_304000_NS21CountingInputIteratorIllEEPS6_NSA_22TransformInputIteratorIb7NonZeroIsEPslEENS0_5tupleIJPlS6_EEENSJ_IJSD_SD_EEES6_SK_JS6_EEE10hipError_tPvRmT3_T4_T5_T6_T7_T9_mT8_P12ihipStream_tbDpT10_ENKUlT_T0_E_clISt17integral_constantIbLb0EES16_EEDaS11_S12_EUlS11_E_NS1_11comp_targetILNS1_3genE10ELNS1_11target_archE1200ELNS1_3gpuE4ELNS1_3repE0EEENS1_30default_config_static_selectorELNS0_4arch9wavefront6targetE0EEEvT1_
	.globl	_ZN7rocprim17ROCPRIM_400000_NS6detail17trampoline_kernelINS0_14default_configENS1_25partition_config_selectorILNS1_17partition_subalgoE5ElNS0_10empty_typeEbEEZZNS1_14partition_implILS5_5ELb0ES3_mN6hipcub16HIPCUB_304000_NS21CountingInputIteratorIllEEPS6_NSA_22TransformInputIteratorIb7NonZeroIsEPslEENS0_5tupleIJPlS6_EEENSJ_IJSD_SD_EEES6_SK_JS6_EEE10hipError_tPvRmT3_T4_T5_T6_T7_T9_mT8_P12ihipStream_tbDpT10_ENKUlT_T0_E_clISt17integral_constantIbLb0EES16_EEDaS11_S12_EUlS11_E_NS1_11comp_targetILNS1_3genE10ELNS1_11target_archE1200ELNS1_3gpuE4ELNS1_3repE0EEENS1_30default_config_static_selectorELNS0_4arch9wavefront6targetE0EEEvT1_
	.p2align	8
	.type	_ZN7rocprim17ROCPRIM_400000_NS6detail17trampoline_kernelINS0_14default_configENS1_25partition_config_selectorILNS1_17partition_subalgoE5ElNS0_10empty_typeEbEEZZNS1_14partition_implILS5_5ELb0ES3_mN6hipcub16HIPCUB_304000_NS21CountingInputIteratorIllEEPS6_NSA_22TransformInputIteratorIb7NonZeroIsEPslEENS0_5tupleIJPlS6_EEENSJ_IJSD_SD_EEES6_SK_JS6_EEE10hipError_tPvRmT3_T4_T5_T6_T7_T9_mT8_P12ihipStream_tbDpT10_ENKUlT_T0_E_clISt17integral_constantIbLb0EES16_EEDaS11_S12_EUlS11_E_NS1_11comp_targetILNS1_3genE10ELNS1_11target_archE1200ELNS1_3gpuE4ELNS1_3repE0EEENS1_30default_config_static_selectorELNS0_4arch9wavefront6targetE0EEEvT1_,@function
_ZN7rocprim17ROCPRIM_400000_NS6detail17trampoline_kernelINS0_14default_configENS1_25partition_config_selectorILNS1_17partition_subalgoE5ElNS0_10empty_typeEbEEZZNS1_14partition_implILS5_5ELb0ES3_mN6hipcub16HIPCUB_304000_NS21CountingInputIteratorIllEEPS6_NSA_22TransformInputIteratorIb7NonZeroIsEPslEENS0_5tupleIJPlS6_EEENSJ_IJSD_SD_EEES6_SK_JS6_EEE10hipError_tPvRmT3_T4_T5_T6_T7_T9_mT8_P12ihipStream_tbDpT10_ENKUlT_T0_E_clISt17integral_constantIbLb0EES16_EEDaS11_S12_EUlS11_E_NS1_11comp_targetILNS1_3genE10ELNS1_11target_archE1200ELNS1_3gpuE4ELNS1_3repE0EEENS1_30default_config_static_selectorELNS0_4arch9wavefront6targetE0EEEvT1_: ; @_ZN7rocprim17ROCPRIM_400000_NS6detail17trampoline_kernelINS0_14default_configENS1_25partition_config_selectorILNS1_17partition_subalgoE5ElNS0_10empty_typeEbEEZZNS1_14partition_implILS5_5ELb0ES3_mN6hipcub16HIPCUB_304000_NS21CountingInputIteratorIllEEPS6_NSA_22TransformInputIteratorIb7NonZeroIsEPslEENS0_5tupleIJPlS6_EEENSJ_IJSD_SD_EEES6_SK_JS6_EEE10hipError_tPvRmT3_T4_T5_T6_T7_T9_mT8_P12ihipStream_tbDpT10_ENKUlT_T0_E_clISt17integral_constantIbLb0EES16_EEDaS11_S12_EUlS11_E_NS1_11comp_targetILNS1_3genE10ELNS1_11target_archE1200ELNS1_3gpuE4ELNS1_3repE0EEENS1_30default_config_static_selectorELNS0_4arch9wavefront6targetE0EEEvT1_
; %bb.0:
	.section	.rodata,"a",@progbits
	.p2align	6, 0x0
	.amdhsa_kernel _ZN7rocprim17ROCPRIM_400000_NS6detail17trampoline_kernelINS0_14default_configENS1_25partition_config_selectorILNS1_17partition_subalgoE5ElNS0_10empty_typeEbEEZZNS1_14partition_implILS5_5ELb0ES3_mN6hipcub16HIPCUB_304000_NS21CountingInputIteratorIllEEPS6_NSA_22TransformInputIteratorIb7NonZeroIsEPslEENS0_5tupleIJPlS6_EEENSJ_IJSD_SD_EEES6_SK_JS6_EEE10hipError_tPvRmT3_T4_T5_T6_T7_T9_mT8_P12ihipStream_tbDpT10_ENKUlT_T0_E_clISt17integral_constantIbLb0EES16_EEDaS11_S12_EUlS11_E_NS1_11comp_targetILNS1_3genE10ELNS1_11target_archE1200ELNS1_3gpuE4ELNS1_3repE0EEENS1_30default_config_static_selectorELNS0_4arch9wavefront6targetE0EEEvT1_
		.amdhsa_group_segment_fixed_size 0
		.amdhsa_private_segment_fixed_size 0
		.amdhsa_kernarg_size 120
		.amdhsa_user_sgpr_count 15
		.amdhsa_user_sgpr_dispatch_ptr 0
		.amdhsa_user_sgpr_queue_ptr 0
		.amdhsa_user_sgpr_kernarg_segment_ptr 1
		.amdhsa_user_sgpr_dispatch_id 0
		.amdhsa_user_sgpr_private_segment_size 0
		.amdhsa_wavefront_size32 1
		.amdhsa_uses_dynamic_stack 0
		.amdhsa_enable_private_segment 0
		.amdhsa_system_sgpr_workgroup_id_x 1
		.amdhsa_system_sgpr_workgroup_id_y 0
		.amdhsa_system_sgpr_workgroup_id_z 0
		.amdhsa_system_sgpr_workgroup_info 0
		.amdhsa_system_vgpr_workitem_id 0
		.amdhsa_next_free_vgpr 1
		.amdhsa_next_free_sgpr 1
		.amdhsa_reserve_vcc 0
		.amdhsa_float_round_mode_32 0
		.amdhsa_float_round_mode_16_64 0
		.amdhsa_float_denorm_mode_32 3
		.amdhsa_float_denorm_mode_16_64 3
		.amdhsa_dx10_clamp 1
		.amdhsa_ieee_mode 1
		.amdhsa_fp16_overflow 0
		.amdhsa_workgroup_processor_mode 1
		.amdhsa_memory_ordered 1
		.amdhsa_forward_progress 0
		.amdhsa_shared_vgpr_count 0
		.amdhsa_exception_fp_ieee_invalid_op 0
		.amdhsa_exception_fp_denorm_src 0
		.amdhsa_exception_fp_ieee_div_zero 0
		.amdhsa_exception_fp_ieee_overflow 0
		.amdhsa_exception_fp_ieee_underflow 0
		.amdhsa_exception_fp_ieee_inexact 0
		.amdhsa_exception_int_div_zero 0
	.end_amdhsa_kernel
	.section	.text._ZN7rocprim17ROCPRIM_400000_NS6detail17trampoline_kernelINS0_14default_configENS1_25partition_config_selectorILNS1_17partition_subalgoE5ElNS0_10empty_typeEbEEZZNS1_14partition_implILS5_5ELb0ES3_mN6hipcub16HIPCUB_304000_NS21CountingInputIteratorIllEEPS6_NSA_22TransformInputIteratorIb7NonZeroIsEPslEENS0_5tupleIJPlS6_EEENSJ_IJSD_SD_EEES6_SK_JS6_EEE10hipError_tPvRmT3_T4_T5_T6_T7_T9_mT8_P12ihipStream_tbDpT10_ENKUlT_T0_E_clISt17integral_constantIbLb0EES16_EEDaS11_S12_EUlS11_E_NS1_11comp_targetILNS1_3genE10ELNS1_11target_archE1200ELNS1_3gpuE4ELNS1_3repE0EEENS1_30default_config_static_selectorELNS0_4arch9wavefront6targetE0EEEvT1_,"axG",@progbits,_ZN7rocprim17ROCPRIM_400000_NS6detail17trampoline_kernelINS0_14default_configENS1_25partition_config_selectorILNS1_17partition_subalgoE5ElNS0_10empty_typeEbEEZZNS1_14partition_implILS5_5ELb0ES3_mN6hipcub16HIPCUB_304000_NS21CountingInputIteratorIllEEPS6_NSA_22TransformInputIteratorIb7NonZeroIsEPslEENS0_5tupleIJPlS6_EEENSJ_IJSD_SD_EEES6_SK_JS6_EEE10hipError_tPvRmT3_T4_T5_T6_T7_T9_mT8_P12ihipStream_tbDpT10_ENKUlT_T0_E_clISt17integral_constantIbLb0EES16_EEDaS11_S12_EUlS11_E_NS1_11comp_targetILNS1_3genE10ELNS1_11target_archE1200ELNS1_3gpuE4ELNS1_3repE0EEENS1_30default_config_static_selectorELNS0_4arch9wavefront6targetE0EEEvT1_,comdat
.Lfunc_end122:
	.size	_ZN7rocprim17ROCPRIM_400000_NS6detail17trampoline_kernelINS0_14default_configENS1_25partition_config_selectorILNS1_17partition_subalgoE5ElNS0_10empty_typeEbEEZZNS1_14partition_implILS5_5ELb0ES3_mN6hipcub16HIPCUB_304000_NS21CountingInputIteratorIllEEPS6_NSA_22TransformInputIteratorIb7NonZeroIsEPslEENS0_5tupleIJPlS6_EEENSJ_IJSD_SD_EEES6_SK_JS6_EEE10hipError_tPvRmT3_T4_T5_T6_T7_T9_mT8_P12ihipStream_tbDpT10_ENKUlT_T0_E_clISt17integral_constantIbLb0EES16_EEDaS11_S12_EUlS11_E_NS1_11comp_targetILNS1_3genE10ELNS1_11target_archE1200ELNS1_3gpuE4ELNS1_3repE0EEENS1_30default_config_static_selectorELNS0_4arch9wavefront6targetE0EEEvT1_, .Lfunc_end122-_ZN7rocprim17ROCPRIM_400000_NS6detail17trampoline_kernelINS0_14default_configENS1_25partition_config_selectorILNS1_17partition_subalgoE5ElNS0_10empty_typeEbEEZZNS1_14partition_implILS5_5ELb0ES3_mN6hipcub16HIPCUB_304000_NS21CountingInputIteratorIllEEPS6_NSA_22TransformInputIteratorIb7NonZeroIsEPslEENS0_5tupleIJPlS6_EEENSJ_IJSD_SD_EEES6_SK_JS6_EEE10hipError_tPvRmT3_T4_T5_T6_T7_T9_mT8_P12ihipStream_tbDpT10_ENKUlT_T0_E_clISt17integral_constantIbLb0EES16_EEDaS11_S12_EUlS11_E_NS1_11comp_targetILNS1_3genE10ELNS1_11target_archE1200ELNS1_3gpuE4ELNS1_3repE0EEENS1_30default_config_static_selectorELNS0_4arch9wavefront6targetE0EEEvT1_
                                        ; -- End function
	.section	.AMDGPU.csdata,"",@progbits
; Kernel info:
; codeLenInByte = 0
; NumSgprs: 0
; NumVgprs: 0
; ScratchSize: 0
; MemoryBound: 0
; FloatMode: 240
; IeeeMode: 1
; LDSByteSize: 0 bytes/workgroup (compile time only)
; SGPRBlocks: 0
; VGPRBlocks: 0
; NumSGPRsForWavesPerEU: 1
; NumVGPRsForWavesPerEU: 1
; Occupancy: 16
; WaveLimiterHint : 0
; COMPUTE_PGM_RSRC2:SCRATCH_EN: 0
; COMPUTE_PGM_RSRC2:USER_SGPR: 15
; COMPUTE_PGM_RSRC2:TRAP_HANDLER: 0
; COMPUTE_PGM_RSRC2:TGID_X_EN: 1
; COMPUTE_PGM_RSRC2:TGID_Y_EN: 0
; COMPUTE_PGM_RSRC2:TGID_Z_EN: 0
; COMPUTE_PGM_RSRC2:TIDIG_COMP_CNT: 0
	.section	.text._ZN7rocprim17ROCPRIM_400000_NS6detail17trampoline_kernelINS0_14default_configENS1_25partition_config_selectorILNS1_17partition_subalgoE5ElNS0_10empty_typeEbEEZZNS1_14partition_implILS5_5ELb0ES3_mN6hipcub16HIPCUB_304000_NS21CountingInputIteratorIllEEPS6_NSA_22TransformInputIteratorIb7NonZeroIsEPslEENS0_5tupleIJPlS6_EEENSJ_IJSD_SD_EEES6_SK_JS6_EEE10hipError_tPvRmT3_T4_T5_T6_T7_T9_mT8_P12ihipStream_tbDpT10_ENKUlT_T0_E_clISt17integral_constantIbLb0EES16_EEDaS11_S12_EUlS11_E_NS1_11comp_targetILNS1_3genE9ELNS1_11target_archE1100ELNS1_3gpuE3ELNS1_3repE0EEENS1_30default_config_static_selectorELNS0_4arch9wavefront6targetE0EEEvT1_,"axG",@progbits,_ZN7rocprim17ROCPRIM_400000_NS6detail17trampoline_kernelINS0_14default_configENS1_25partition_config_selectorILNS1_17partition_subalgoE5ElNS0_10empty_typeEbEEZZNS1_14partition_implILS5_5ELb0ES3_mN6hipcub16HIPCUB_304000_NS21CountingInputIteratorIllEEPS6_NSA_22TransformInputIteratorIb7NonZeroIsEPslEENS0_5tupleIJPlS6_EEENSJ_IJSD_SD_EEES6_SK_JS6_EEE10hipError_tPvRmT3_T4_T5_T6_T7_T9_mT8_P12ihipStream_tbDpT10_ENKUlT_T0_E_clISt17integral_constantIbLb0EES16_EEDaS11_S12_EUlS11_E_NS1_11comp_targetILNS1_3genE9ELNS1_11target_archE1100ELNS1_3gpuE3ELNS1_3repE0EEENS1_30default_config_static_selectorELNS0_4arch9wavefront6targetE0EEEvT1_,comdat
	.protected	_ZN7rocprim17ROCPRIM_400000_NS6detail17trampoline_kernelINS0_14default_configENS1_25partition_config_selectorILNS1_17partition_subalgoE5ElNS0_10empty_typeEbEEZZNS1_14partition_implILS5_5ELb0ES3_mN6hipcub16HIPCUB_304000_NS21CountingInputIteratorIllEEPS6_NSA_22TransformInputIteratorIb7NonZeroIsEPslEENS0_5tupleIJPlS6_EEENSJ_IJSD_SD_EEES6_SK_JS6_EEE10hipError_tPvRmT3_T4_T5_T6_T7_T9_mT8_P12ihipStream_tbDpT10_ENKUlT_T0_E_clISt17integral_constantIbLb0EES16_EEDaS11_S12_EUlS11_E_NS1_11comp_targetILNS1_3genE9ELNS1_11target_archE1100ELNS1_3gpuE3ELNS1_3repE0EEENS1_30default_config_static_selectorELNS0_4arch9wavefront6targetE0EEEvT1_ ; -- Begin function _ZN7rocprim17ROCPRIM_400000_NS6detail17trampoline_kernelINS0_14default_configENS1_25partition_config_selectorILNS1_17partition_subalgoE5ElNS0_10empty_typeEbEEZZNS1_14partition_implILS5_5ELb0ES3_mN6hipcub16HIPCUB_304000_NS21CountingInputIteratorIllEEPS6_NSA_22TransformInputIteratorIb7NonZeroIsEPslEENS0_5tupleIJPlS6_EEENSJ_IJSD_SD_EEES6_SK_JS6_EEE10hipError_tPvRmT3_T4_T5_T6_T7_T9_mT8_P12ihipStream_tbDpT10_ENKUlT_T0_E_clISt17integral_constantIbLb0EES16_EEDaS11_S12_EUlS11_E_NS1_11comp_targetILNS1_3genE9ELNS1_11target_archE1100ELNS1_3gpuE3ELNS1_3repE0EEENS1_30default_config_static_selectorELNS0_4arch9wavefront6targetE0EEEvT1_
	.globl	_ZN7rocprim17ROCPRIM_400000_NS6detail17trampoline_kernelINS0_14default_configENS1_25partition_config_selectorILNS1_17partition_subalgoE5ElNS0_10empty_typeEbEEZZNS1_14partition_implILS5_5ELb0ES3_mN6hipcub16HIPCUB_304000_NS21CountingInputIteratorIllEEPS6_NSA_22TransformInputIteratorIb7NonZeroIsEPslEENS0_5tupleIJPlS6_EEENSJ_IJSD_SD_EEES6_SK_JS6_EEE10hipError_tPvRmT3_T4_T5_T6_T7_T9_mT8_P12ihipStream_tbDpT10_ENKUlT_T0_E_clISt17integral_constantIbLb0EES16_EEDaS11_S12_EUlS11_E_NS1_11comp_targetILNS1_3genE9ELNS1_11target_archE1100ELNS1_3gpuE3ELNS1_3repE0EEENS1_30default_config_static_selectorELNS0_4arch9wavefront6targetE0EEEvT1_
	.p2align	8
	.type	_ZN7rocprim17ROCPRIM_400000_NS6detail17trampoline_kernelINS0_14default_configENS1_25partition_config_selectorILNS1_17partition_subalgoE5ElNS0_10empty_typeEbEEZZNS1_14partition_implILS5_5ELb0ES3_mN6hipcub16HIPCUB_304000_NS21CountingInputIteratorIllEEPS6_NSA_22TransformInputIteratorIb7NonZeroIsEPslEENS0_5tupleIJPlS6_EEENSJ_IJSD_SD_EEES6_SK_JS6_EEE10hipError_tPvRmT3_T4_T5_T6_T7_T9_mT8_P12ihipStream_tbDpT10_ENKUlT_T0_E_clISt17integral_constantIbLb0EES16_EEDaS11_S12_EUlS11_E_NS1_11comp_targetILNS1_3genE9ELNS1_11target_archE1100ELNS1_3gpuE3ELNS1_3repE0EEENS1_30default_config_static_selectorELNS0_4arch9wavefront6targetE0EEEvT1_,@function
_ZN7rocprim17ROCPRIM_400000_NS6detail17trampoline_kernelINS0_14default_configENS1_25partition_config_selectorILNS1_17partition_subalgoE5ElNS0_10empty_typeEbEEZZNS1_14partition_implILS5_5ELb0ES3_mN6hipcub16HIPCUB_304000_NS21CountingInputIteratorIllEEPS6_NSA_22TransformInputIteratorIb7NonZeroIsEPslEENS0_5tupleIJPlS6_EEENSJ_IJSD_SD_EEES6_SK_JS6_EEE10hipError_tPvRmT3_T4_T5_T6_T7_T9_mT8_P12ihipStream_tbDpT10_ENKUlT_T0_E_clISt17integral_constantIbLb0EES16_EEDaS11_S12_EUlS11_E_NS1_11comp_targetILNS1_3genE9ELNS1_11target_archE1100ELNS1_3gpuE3ELNS1_3repE0EEENS1_30default_config_static_selectorELNS0_4arch9wavefront6targetE0EEEvT1_: ; @_ZN7rocprim17ROCPRIM_400000_NS6detail17trampoline_kernelINS0_14default_configENS1_25partition_config_selectorILNS1_17partition_subalgoE5ElNS0_10empty_typeEbEEZZNS1_14partition_implILS5_5ELb0ES3_mN6hipcub16HIPCUB_304000_NS21CountingInputIteratorIllEEPS6_NSA_22TransformInputIteratorIb7NonZeroIsEPslEENS0_5tupleIJPlS6_EEENSJ_IJSD_SD_EEES6_SK_JS6_EEE10hipError_tPvRmT3_T4_T5_T6_T7_T9_mT8_P12ihipStream_tbDpT10_ENKUlT_T0_E_clISt17integral_constantIbLb0EES16_EEDaS11_S12_EUlS11_E_NS1_11comp_targetILNS1_3genE9ELNS1_11target_archE1100ELNS1_3gpuE3ELNS1_3repE0EEENS1_30default_config_static_selectorELNS0_4arch9wavefront6targetE0EEEvT1_
; %bb.0:
	s_clause 0x4
	s_load_b128 s[8:11], s[0:1], 0x8
	s_load_b128 s[4:7], s[0:1], 0x48
	s_load_b32 s14, s[0:1], 0x70
	s_load_b64 s[2:3], s[0:1], 0x58
	s_load_b64 s[12:13], s[0:1], 0x20
	s_waitcnt lgkmcnt(0)
	s_add_u32 s18, s10, s8
	s_load_b64 s[6:7], s[6:7], 0x0
	s_mul_i32 s17, s14, 0x300
	s_addc_u32 s19, s11, s9
	s_add_i32 s14, s14, -1
	s_add_u32 s8, s10, s17
	s_addc_u32 s9, s11, 0
	s_cmp_eq_u32 s15, s14
	v_cmp_ge_u64_e64 s3, s[8:9], s[2:3]
	s_cselect_b32 s14, -1, 0
	s_mul_i32 s8, s15, 0x300
	s_mov_b32 s9, 0
	s_delay_alu instid0(VALU_DEP_1) | instskip(NEXT) | instid1(SALU_CYCLE_1)
	s_and_b32 s3, s14, s3
	s_xor_b32 s16, s3, -1
	s_mov_b32 s3, -1
	s_and_b32 vcc_lo, exec_lo, s16
	s_cbranch_vccz .LBB123_2
; %bb.1:
	s_add_u32 s3, s18, s8
	s_addc_u32 s20, s19, 0
	v_add_co_u32 v1, s3, s3, v0
	s_delay_alu instid0(VALU_DEP_1) | instskip(SKIP_1) | instid1(VALU_DEP_3)
	v_add_co_ci_u32_e64 v2, null, s20, 0, s3
	v_lshlrev_b32_e32 v13, 3, v0
	v_add_co_u32 v3, vcc_lo, 0x80, v1
	s_delay_alu instid0(VALU_DEP_3)
	v_add_co_ci_u32_e32 v4, vcc_lo, 0, v2, vcc_lo
	v_add_co_u32 v5, vcc_lo, 0x100, v1
	v_add_co_ci_u32_e32 v6, vcc_lo, 0, v2, vcc_lo
	v_add_co_u32 v7, vcc_lo, 0x180, v1
	v_add_co_ci_u32_e32 v8, vcc_lo, 0, v2, vcc_lo
	v_add_co_u32 v9, vcc_lo, 0x200, v1
	v_add_co_ci_u32_e32 v10, vcc_lo, 0, v2, vcc_lo
	v_add_co_u32 v11, vcc_lo, 0x280, v1
	v_add_co_ci_u32_e32 v12, vcc_lo, 0, v2, vcc_lo
	ds_store_2addr_stride64_b64 v13, v[1:2], v[3:4] offset1:2
	ds_store_2addr_stride64_b64 v13, v[5:6], v[7:8] offset0:4 offset1:6
	ds_store_2addr_stride64_b64 v13, v[9:10], v[11:12] offset0:8 offset1:10
	s_waitcnt lgkmcnt(0)
	s_mov_b32 s3, s9
	s_barrier
.LBB123_2:
	v_or_b32_e32 v17, 0x100, v0
	v_or_b32_e32 v16, 0x180, v0
	;; [unrolled: 1-line block ×4, first 2 shown]
	s_and_not1_b32 vcc_lo, exec_lo, s3
	s_cbranch_vccnz .LBB123_4
; %bb.3:
	v_or_b32_e32 v3, 0x80, v0
	s_add_u32 s3, s18, s8
	s_addc_u32 s18, s19, 0
	v_add_co_u32 v1, s19, s3, v0
	s_delay_alu instid0(VALU_DEP_1) | instskip(SKIP_1) | instid1(VALU_DEP_1)
	v_add_co_ci_u32_e64 v2, null, s18, 0, s19
	v_add_co_u32 v3, s19, s3, v3
	v_add_co_ci_u32_e64 v4, null, s18, 0, s19
	v_add_co_u32 v5, s19, s3, v17
	s_delay_alu instid0(VALU_DEP_1) | instskip(SKIP_1) | instid1(VALU_DEP_1)
	v_add_co_ci_u32_e64 v6, null, s18, 0, s19
	v_add_co_u32 v7, s19, s3, v16
	v_add_co_ci_u32_e64 v8, null, s18, 0, s19
	v_add_co_u32 v9, s19, s3, v14
	v_lshlrev_b32_e32 v15, 3, v0
	v_add_co_u32 v11, s3, s3, v13
	v_add_co_ci_u32_e64 v10, null, s18, 0, s19
	v_add_co_ci_u32_e64 v12, null, s18, 0, s3
	ds_store_2addr_stride64_b64 v15, v[1:2], v[3:4] offset1:2
	ds_store_2addr_stride64_b64 v15, v[5:6], v[7:8] offset0:4 offset1:6
	ds_store_2addr_stride64_b64 v15, v[9:10], v[11:12] offset0:8 offset1:10
	s_waitcnt lgkmcnt(0)
	s_barrier
.LBB123_4:
	v_mul_u32_u24_e32 v1, 6, v0
	s_waitcnt lgkmcnt(0)
	buffer_gl0_inv
	s_lshl_b64 s[18:19], s[10:11], 1
	s_delay_alu instid0(SALU_CYCLE_1)
	s_add_u32 s3, s12, s18
	v_lshlrev_b32_e32 v15, 3, v1
	s_addc_u32 s11, s13, s19
	s_lshl_b64 s[8:9], s[8:9], 1
	ds_load_b128 v[9:12], v15
	ds_load_b128 v[5:8], v15 offset:16
	ds_load_b128 v[1:4], v15 offset:32
	s_add_u32 s12, s3, s8
	s_addc_u32 s13, s11, s9
	s_and_b32 vcc_lo, exec_lo, s16
	s_mov_b32 s3, -1
	s_waitcnt lgkmcnt(0)
	s_barrier
	buffer_gl0_inv
	s_cbranch_vccz .LBB123_6
; %bb.5:
	v_lshlrev_b32_e32 v18, 1, v0
	s_mov_b32 s3, 0
	s_clause 0x5
	global_load_u16 v19, v18, s[12:13]
	global_load_u16 v20, v18, s[12:13] offset:256
	global_load_u16 v21, v18, s[12:13] offset:512
	;; [unrolled: 1-line block ×5, first 2 shown]
	s_waitcnt vmcnt(5)
	v_cmp_ne_u16_e32 vcc_lo, 0, v19
	v_cndmask_b32_e64 v19, 0, 1, vcc_lo
	s_waitcnt vmcnt(4)
	v_cmp_ne_u16_e32 vcc_lo, 0, v20
	v_cndmask_b32_e64 v20, 0, 1, vcc_lo
	;; [unrolled: 3-line block ×6, first 2 shown]
	ds_store_b8 v0, v19
	ds_store_b8 v0, v20 offset:128
	ds_store_b8 v0, v21 offset:256
	;; [unrolled: 1-line block ×5, first 2 shown]
	s_waitcnt lgkmcnt(0)
	s_barrier
.LBB123_6:
	s_load_b64 s[8:9], s[0:1], 0x68
	s_and_not1_b32 vcc_lo, exec_lo, s3
	s_cbranch_vccnz .LBB123_20
; %bb.7:
	s_add_i32 s17, s17, s10
	v_dual_mov_b32 v18, 0 :: v_dual_mov_b32 v19, 0
	s_sub_i32 s2, s2, s17
	s_mov_b32 s3, exec_lo
	s_addk_i32 s2, 0x300
	s_delay_alu instid0(SALU_CYCLE_1)
	v_cmpx_gt_u32_e64 s2, v0
	s_cbranch_execz .LBB123_9
; %bb.8:
	v_lshlrev_b32_e32 v19, 1, v0
	global_load_u16 v19, v19, s[12:13]
	s_waitcnt vmcnt(0)
	v_cmp_ne_u16_e32 vcc_lo, 0, v19
	v_cndmask_b32_e64 v19, 0, 1, vcc_lo
.LBB123_9:
	s_or_b32 exec_lo, exec_lo, s3
	v_or_b32_e32 v20, 0x80, v0
	s_mov_b32 s3, exec_lo
	s_delay_alu instid0(VALU_DEP_1)
	v_cmpx_gt_u32_e64 s2, v20
	s_cbranch_execz .LBB123_11
; %bb.10:
	v_lshlrev_b32_e32 v18, 1, v0
	global_load_u16 v18, v18, s[12:13] offset:256
	s_waitcnt vmcnt(0)
	v_cmp_ne_u16_e32 vcc_lo, 0, v18
	v_cndmask_b32_e64 v18, 0, 1, vcc_lo
.LBB123_11:
	s_or_b32 exec_lo, exec_lo, s3
	v_cmp_gt_u32_e32 vcc_lo, s2, v17
	v_dual_mov_b32 v17, 0 :: v_dual_mov_b32 v20, 0
	s_and_saveexec_b32 s3, vcc_lo
	s_cbranch_execz .LBB123_13
; %bb.12:
	v_lshlrev_b32_e32 v20, 1, v0
	global_load_u16 v20, v20, s[12:13] offset:512
	s_waitcnt vmcnt(0)
	v_cmp_ne_u16_e32 vcc_lo, 0, v20
	v_cndmask_b32_e64 v20, 0, 1, vcc_lo
.LBB123_13:
	s_or_b32 exec_lo, exec_lo, s3
	s_delay_alu instid0(SALU_CYCLE_1)
	s_mov_b32 s3, exec_lo
	v_cmpx_gt_u32_e64 s2, v16
	s_cbranch_execz .LBB123_15
; %bb.14:
	v_lshlrev_b32_e32 v16, 1, v0
	global_load_u16 v16, v16, s[12:13] offset:768
	s_waitcnt vmcnt(0)
	v_cmp_ne_u16_e32 vcc_lo, 0, v16
	v_cndmask_b32_e64 v17, 0, 1, vcc_lo
.LBB123_15:
	s_or_b32 exec_lo, exec_lo, s3
	v_cmp_gt_u32_e32 vcc_lo, s2, v14
	v_mov_b32_e32 v14, 0
	v_mov_b32_e32 v16, 0
	s_and_saveexec_b32 s3, vcc_lo
	s_cbranch_execz .LBB123_17
; %bb.16:
	v_lshlrev_b32_e32 v16, 1, v0
	global_load_u16 v16, v16, s[12:13] offset:1024
	s_waitcnt vmcnt(0)
	v_cmp_ne_u16_e32 vcc_lo, 0, v16
	v_cndmask_b32_e64 v16, 0, 1, vcc_lo
.LBB123_17:
	s_or_b32 exec_lo, exec_lo, s3
	v_cmp_gt_u32_e32 vcc_lo, s2, v13
	s_and_saveexec_b32 s2, vcc_lo
	s_cbranch_execz .LBB123_19
; %bb.18:
	v_lshlrev_b32_e32 v13, 1, v0
	global_load_u16 v13, v13, s[12:13] offset:1280
	s_waitcnt vmcnt(0)
	v_cmp_ne_u16_e32 vcc_lo, 0, v13
	v_cndmask_b32_e64 v14, 0, 1, vcc_lo
.LBB123_19:
	s_or_b32 exec_lo, exec_lo, s2
	ds_store_b8 v0, v19
	ds_store_b8 v0, v18 offset:128
	ds_store_b8 v0, v20 offset:256
	;; [unrolled: 1-line block ×5, first 2 shown]
	s_waitcnt lgkmcnt(0)
	s_barrier
.LBB123_20:
	v_mad_i32_i24 v43, 0xffffffd6, v0, v15
	s_waitcnt lgkmcnt(0)
	buffer_gl0_inv
	v_mbcnt_lo_u32_b32 v42, -1, 0
	s_cmp_lg_u32 s15, 0
	s_mov_b32 s3, -1
	ds_load_u16 v36, v43
	ds_load_u16 v33, v43 offset:2
	ds_load_u16 v31, v43 offset:4
	v_mov_b32_e32 v14, 0
	v_and_b32_e32 v44, 15, v42
	s_waitcnt lgkmcnt(0)
	s_barrier
	buffer_gl0_inv
	v_and_b32_e32 v41, 0xff, v36
	v_lshrrev_b16 v34, 8, v36
	v_lshrrev_b16 v35, 8, v33
	v_and_b32_e32 v39, 0xff, v33
	v_lshrrev_b16 v32, 8, v31
	v_and_b32_e32 v37, 0xff, v31
	v_and_b32_e32 v40, 0xffff, v34
	;; [unrolled: 1-line block ×3, first 2 shown]
	s_delay_alu instid0(VALU_DEP_4) | instskip(NEXT) | instid1(VALU_DEP_3)
	v_and_b32_e32 v16, 0xffff, v32
	v_add_co_u32 v13, s2, v40, v41
	s_delay_alu instid0(VALU_DEP_1) | instskip(SKIP_1) | instid1(VALU_DEP_3)
	v_add_co_ci_u32_e64 v15, null, 0, 0, s2
	v_cmp_ne_u32_e64 s2, 0, v44
	v_add_co_u32 v13, vcc_lo, v13, v39
	s_delay_alu instid0(VALU_DEP_3) | instskip(NEXT) | instid1(VALU_DEP_2)
	v_add_co_ci_u32_e32 v15, vcc_lo, 0, v15, vcc_lo
	v_add_co_u32 v13, vcc_lo, v13, v38
	s_delay_alu instid0(VALU_DEP_2) | instskip(NEXT) | instid1(VALU_DEP_2)
	v_add_co_ci_u32_e32 v15, vcc_lo, 0, v15, vcc_lo
	v_add_co_u32 v13, vcc_lo, v13, v37
	s_delay_alu instid0(VALU_DEP_2) | instskip(NEXT) | instid1(VALU_DEP_2)
	v_add_co_ci_u32_e32 v15, vcc_lo, 0, v15, vcc_lo
	v_add_co_u32 v21, vcc_lo, v13, v16
	s_delay_alu instid0(VALU_DEP_2)
	v_add_co_ci_u32_e32 v22, vcc_lo, 0, v15, vcc_lo
	s_cbranch_scc0 .LBB123_84
; %bb.21:
	s_delay_alu instid0(VALU_DEP_2)
	v_mov_b32_e32 v15, v21
	v_mov_b32_dpp v13, v21 row_shr:1 row_mask:0xf bank_mask:0xf
	v_mov_b32_dpp v18, v14 row_shr:1 row_mask:0xf bank_mask:0xf
	v_dual_mov_b32 v17, v21 :: v_dual_mov_b32 v16, v22
	s_and_saveexec_b32 s3, s2
; %bb.22:
	s_delay_alu instid0(VALU_DEP_3) | instskip(SKIP_1) | instid1(VALU_DEP_2)
	v_add_co_u32 v17, vcc_lo, v21, v13
	v_add_co_ci_u32_e32 v14, vcc_lo, 0, v22, vcc_lo
	v_add_co_u32 v13, vcc_lo, 0, v17
	s_delay_alu instid0(VALU_DEP_2) | instskip(NEXT) | instid1(VALU_DEP_1)
	v_add_co_ci_u32_e32 v14, vcc_lo, v18, v14, vcc_lo
	v_dual_mov_b32 v16, v14 :: v_dual_mov_b32 v15, v13
; %bb.23:
	s_or_b32 exec_lo, exec_lo, s3
	v_mov_b32_dpp v13, v17 row_shr:2 row_mask:0xf bank_mask:0xf
	v_mov_b32_dpp v18, v14 row_shr:2 row_mask:0xf bank_mask:0xf
	s_mov_b32 s3, exec_lo
	v_cmpx_lt_u32_e32 1, v44
; %bb.24:
	s_delay_alu instid0(VALU_DEP_3) | instskip(SKIP_1) | instid1(VALU_DEP_2)
	v_add_co_u32 v17, vcc_lo, v15, v13
	v_add_co_ci_u32_e32 v14, vcc_lo, 0, v16, vcc_lo
	v_add_co_u32 v13, vcc_lo, 0, v17
	s_delay_alu instid0(VALU_DEP_2) | instskip(NEXT) | instid1(VALU_DEP_1)
	v_add_co_ci_u32_e32 v14, vcc_lo, v18, v14, vcc_lo
	v_dual_mov_b32 v16, v14 :: v_dual_mov_b32 v15, v13
; %bb.25:
	s_or_b32 exec_lo, exec_lo, s3
	v_mov_b32_dpp v13, v17 row_shr:4 row_mask:0xf bank_mask:0xf
	v_mov_b32_dpp v18, v14 row_shr:4 row_mask:0xf bank_mask:0xf
	s_mov_b32 s3, exec_lo
	v_cmpx_lt_u32_e32 3, v44
	;; [unrolled: 14-line block ×3, first 2 shown]
; %bb.28:
	s_delay_alu instid0(VALU_DEP_3) | instskip(SKIP_1) | instid1(VALU_DEP_2)
	v_add_co_u32 v17, vcc_lo, v15, v18
	v_add_co_ci_u32_e32 v14, vcc_lo, 0, v16, vcc_lo
	v_add_co_u32 v15, vcc_lo, 0, v17
	s_delay_alu instid0(VALU_DEP_2) | instskip(NEXT) | instid1(VALU_DEP_1)
	v_add_co_ci_u32_e32 v16, vcc_lo, v13, v14, vcc_lo
	v_mov_b32_e32 v14, v16
; %bb.29:
	s_or_b32 exec_lo, exec_lo, s3
	ds_swizzle_b32 v13, v17 offset:swizzle(BROADCAST,32,15)
	ds_swizzle_b32 v18, v14 offset:swizzle(BROADCAST,32,15)
	v_and_b32_e32 v19, 16, v42
	s_mov_b32 s3, exec_lo
	s_delay_alu instid0(VALU_DEP_1)
	v_cmpx_ne_u32_e32 0, v19
	s_cbranch_execz .LBB123_31
; %bb.30:
	s_waitcnt lgkmcnt(1)
	v_add_co_u32 v17, vcc_lo, v15, v13
	v_add_co_ci_u32_e32 v14, vcc_lo, 0, v16, vcc_lo
	s_delay_alu instid0(VALU_DEP_2) | instskip(SKIP_1) | instid1(VALU_DEP_2)
	v_add_co_u32 v13, vcc_lo, 0, v17
	s_waitcnt lgkmcnt(0)
	v_add_co_ci_u32_e32 v14, vcc_lo, v18, v14, vcc_lo
	s_delay_alu instid0(VALU_DEP_1)
	v_dual_mov_b32 v16, v14 :: v_dual_mov_b32 v15, v13
.LBB123_31:
	s_or_b32 exec_lo, exec_lo, s3
	s_waitcnt lgkmcnt(0)
	v_or_b32_e32 v18, 31, v0
	v_lshrrev_b32_e32 v13, 5, v0
	s_mov_b32 s3, exec_lo
	s_delay_alu instid0(VALU_DEP_2)
	v_cmpx_eq_u32_e64 v18, v0
	s_cbranch_execz .LBB123_33
; %bb.32:
	s_delay_alu instid0(VALU_DEP_2)
	v_lshlrev_b32_e32 v18, 3, v13
	ds_store_b64 v18, v[15:16]
.LBB123_33:
	s_or_b32 exec_lo, exec_lo, s3
	s_delay_alu instid0(SALU_CYCLE_1)
	s_mov_b32 s3, exec_lo
	s_waitcnt lgkmcnt(0)
	s_barrier
	buffer_gl0_inv
	v_cmpx_gt_u32_e32 4, v0
	s_cbranch_execz .LBB123_39
; %bb.34:
	v_lshlrev_b32_e32 v18, 3, v0
	s_mov_b32 s10, exec_lo
	ds_load_b64 v[15:16], v18
	s_waitcnt lgkmcnt(0)
	v_dual_mov_b32 v20, v15 :: v_dual_and_b32 v19, 3, v42
	v_mov_b32_dpp v24, v15 row_shr:1 row_mask:0xf bank_mask:0xf
	v_mov_b32_dpp v23, v16 row_shr:1 row_mask:0xf bank_mask:0xf
	s_delay_alu instid0(VALU_DEP_3)
	v_cmpx_ne_u32_e32 0, v19
; %bb.35:
	s_delay_alu instid0(VALU_DEP_3) | instskip(SKIP_1) | instid1(VALU_DEP_2)
	v_add_co_u32 v20, vcc_lo, v15, v24
	v_add_co_ci_u32_e32 v16, vcc_lo, 0, v16, vcc_lo
	v_add_co_u32 v15, vcc_lo, 0, v20
	s_delay_alu instid0(VALU_DEP_2)
	v_add_co_ci_u32_e32 v16, vcc_lo, v23, v16, vcc_lo
; %bb.36:
	s_or_b32 exec_lo, exec_lo, s10
	v_mov_b32_dpp v23, v20 row_shr:2 row_mask:0xf bank_mask:0xf
	s_delay_alu instid0(VALU_DEP_2)
	v_mov_b32_dpp v20, v16 row_shr:2 row_mask:0xf bank_mask:0xf
	s_mov_b32 s10, exec_lo
	v_cmpx_lt_u32_e32 1, v19
; %bb.37:
	s_delay_alu instid0(VALU_DEP_3) | instskip(SKIP_1) | instid1(VALU_DEP_2)
	v_add_co_u32 v15, vcc_lo, v15, v23
	v_add_co_ci_u32_e32 v16, vcc_lo, 0, v16, vcc_lo
	v_add_co_u32 v15, vcc_lo, v15, 0
	s_delay_alu instid0(VALU_DEP_2)
	v_add_co_ci_u32_e32 v16, vcc_lo, v16, v20, vcc_lo
; %bb.38:
	s_or_b32 exec_lo, exec_lo, s10
	ds_store_b64 v18, v[15:16]
.LBB123_39:
	s_or_b32 exec_lo, exec_lo, s3
	v_cmp_gt_u32_e32 vcc_lo, 32, v0
	s_mov_b32 s10, exec_lo
	s_waitcnt lgkmcnt(0)
	s_barrier
	buffer_gl0_inv
                                        ; implicit-def: $vgpr23_vgpr24
	v_cmpx_lt_u32_e32 31, v0
	s_cbranch_execz .LBB123_41
; %bb.40:
	v_lshl_add_u32 v13, v13, 3, -8
	ds_load_b64 v[23:24], v13
	s_waitcnt lgkmcnt(0)
	v_add_co_u32 v17, s3, v17, v23
	s_delay_alu instid0(VALU_DEP_1)
	v_add_co_ci_u32_e64 v14, s3, v14, v24, s3
.LBB123_41:
	s_or_b32 exec_lo, exec_lo, s10
	v_add_nc_u32_e32 v13, -1, v42
	s_delay_alu instid0(VALU_DEP_1) | instskip(NEXT) | instid1(VALU_DEP_1)
	v_cmp_gt_i32_e64 s3, 0, v13
	v_cndmask_b32_e64 v13, v13, v42, s3
	v_cmp_eq_u32_e64 s3, 0, v42
	s_delay_alu instid0(VALU_DEP_2)
	v_lshlrev_b32_e32 v13, 2, v13
	ds_bpermute_b32 v29, v13, v17
	ds_bpermute_b32 v30, v13, v14
	s_and_saveexec_b32 s10, vcc_lo
	s_cbranch_execz .LBB123_79
; %bb.42:
	v_mov_b32_e32 v16, 0
	ds_load_b64 v[13:14], v16 offset:24
	s_and_saveexec_b32 s11, s3
	s_cbranch_execz .LBB123_44
; %bb.43:
	s_add_i32 s12, s15, 32
	s_mov_b32 s13, 0
	s_delay_alu instid0(SALU_CYCLE_1) | instskip(NEXT) | instid1(SALU_CYCLE_1)
	s_lshl_b64 s[12:13], s[12:13], 4
	s_add_u32 s12, s8, s12
	s_addc_u32 s13, s9, s13
	s_delay_alu instid0(SALU_CYCLE_1)
	v_dual_mov_b32 v15, 1 :: v_dual_mov_b32 v18, s13
	v_mov_b32_e32 v17, s12
	s_waitcnt lgkmcnt(0)
	;;#ASMSTART
	global_store_dwordx4 v[17:18], v[13:16] off	
s_waitcnt vmcnt(0)
	;;#ASMEND
.LBB123_44:
	s_or_b32 exec_lo, exec_lo, s11
	v_xad_u32 v25, v42, -1, s15
	s_mov_b32 s12, 0
	s_mov_b32 s11, exec_lo
	s_delay_alu instid0(VALU_DEP_1) | instskip(NEXT) | instid1(VALU_DEP_1)
	v_add_nc_u32_e32 v15, 32, v25
	v_lshlrev_b64 v[15:16], 4, v[15:16]
	s_delay_alu instid0(VALU_DEP_1) | instskip(NEXT) | instid1(VALU_DEP_2)
	v_add_co_u32 v15, vcc_lo, s8, v15
	v_add_co_ci_u32_e32 v16, vcc_lo, s9, v16, vcc_lo
	;;#ASMSTART
	global_load_dwordx4 v[17:20], v[15:16] off glc	
s_waitcnt vmcnt(0)
	;;#ASMEND
	v_and_b32_e32 v20, 0xff, v18
	v_and_b32_e32 v26, 0xff00, v18
	;; [unrolled: 1-line block ×3, first 2 shown]
	v_or3_b32 v17, v17, 0, 0
	v_and_b32_e32 v18, 0xff000000, v18
	s_delay_alu instid0(VALU_DEP_4) | instskip(SKIP_1) | instid1(VALU_DEP_4)
	v_or3_b32 v20, 0, v20, v26
	v_and_b32_e32 v26, 0xff, v19
	v_or3_b32 v17, v17, 0, 0
	s_delay_alu instid0(VALU_DEP_3) | instskip(NEXT) | instid1(VALU_DEP_3)
	v_or3_b32 v18, v20, v27, v18
	v_cmpx_eq_u16_e32 0, v26
	s_cbranch_execz .LBB123_47
.LBB123_45:                             ; =>This Inner Loop Header: Depth=1
	;;#ASMSTART
	global_load_dwordx4 v[17:20], v[15:16] off glc	
s_waitcnt vmcnt(0)
	;;#ASMEND
	v_and_b32_e32 v20, 0xff, v19
	s_delay_alu instid0(VALU_DEP_1) | instskip(SKIP_1) | instid1(SALU_CYCLE_1)
	v_cmp_ne_u16_e32 vcc_lo, 0, v20
	s_or_b32 s12, vcc_lo, s12
	s_and_not1_b32 exec_lo, exec_lo, s12
	s_cbranch_execnz .LBB123_45
; %bb.46:
	s_or_b32 exec_lo, exec_lo, s12
.LBB123_47:
	s_delay_alu instid0(SALU_CYCLE_1)
	s_or_b32 exec_lo, exec_lo, s11
	v_cmp_ne_u32_e32 vcc_lo, 31, v42
	v_and_b32_e32 v16, 0xff, v19
	v_lshlrev_b32_e64 v46, v42, -1
	s_mov_b32 s11, exec_lo
	v_add_co_ci_u32_e32 v15, vcc_lo, 0, v42, vcc_lo
	s_delay_alu instid0(VALU_DEP_3) | instskip(NEXT) | instid1(VALU_DEP_2)
	v_cmp_eq_u16_e32 vcc_lo, 2, v16
	v_dual_mov_b32 v16, v17 :: v_dual_lshlrev_b32 v45, 2, v15
	v_and_or_b32 v15, vcc_lo, v46, 0x80000000
	ds_bpermute_b32 v26, v45, v17
	ds_bpermute_b32 v20, v45, v18
	v_ctz_i32_b32_e32 v15, v15
	s_delay_alu instid0(VALU_DEP_1)
	v_cmpx_lt_u32_e64 v42, v15
	s_cbranch_execz .LBB123_49
; %bb.48:
	s_waitcnt lgkmcnt(1)
	v_add_co_u32 v16, vcc_lo, v17, v26
	v_add_co_ci_u32_e32 v18, vcc_lo, 0, v18, vcc_lo
	s_delay_alu instid0(VALU_DEP_2) | instskip(SKIP_1) | instid1(VALU_DEP_2)
	v_add_co_u32 v17, vcc_lo, 0, v16
	s_waitcnt lgkmcnt(0)
	v_add_co_ci_u32_e32 v18, vcc_lo, v20, v18, vcc_lo
.LBB123_49:
	s_or_b32 exec_lo, exec_lo, s11
	v_cmp_gt_u32_e32 vcc_lo, 30, v42
	v_add_nc_u32_e32 v48, 2, v42
	s_mov_b32 s11, exec_lo
	s_waitcnt lgkmcnt(0)
	v_cndmask_b32_e64 v20, 0, 1, vcc_lo
	s_delay_alu instid0(VALU_DEP_1) | instskip(NEXT) | instid1(VALU_DEP_1)
	v_lshlrev_b32_e32 v20, 1, v20
	v_add_lshl_u32 v47, v20, v42, 2
	ds_bpermute_b32 v26, v47, v16
	ds_bpermute_b32 v20, v47, v18
	v_cmpx_le_u32_e64 v48, v15
	s_cbranch_execz .LBB123_51
; %bb.50:
	s_waitcnt lgkmcnt(1)
	v_add_co_u32 v16, vcc_lo, v17, v26
	v_add_co_ci_u32_e32 v18, vcc_lo, 0, v18, vcc_lo
	s_delay_alu instid0(VALU_DEP_2) | instskip(SKIP_1) | instid1(VALU_DEP_2)
	v_add_co_u32 v17, vcc_lo, 0, v16
	s_waitcnt lgkmcnt(0)
	v_add_co_ci_u32_e32 v18, vcc_lo, v20, v18, vcc_lo
.LBB123_51:
	s_or_b32 exec_lo, exec_lo, s11
	v_cmp_gt_u32_e32 vcc_lo, 28, v42
	v_add_nc_u32_e32 v50, 4, v42
	s_mov_b32 s11, exec_lo
	s_waitcnt lgkmcnt(0)
	v_cndmask_b32_e64 v20, 0, 1, vcc_lo
	s_delay_alu instid0(VALU_DEP_1) | instskip(NEXT) | instid1(VALU_DEP_1)
	v_lshlrev_b32_e32 v20, 2, v20
	v_add_lshl_u32 v49, v20, v42, 2
	ds_bpermute_b32 v26, v49, v16
	ds_bpermute_b32 v20, v49, v18
	v_cmpx_le_u32_e64 v50, v15
	;; [unrolled: 22-line block ×4, first 2 shown]
	s_cbranch_execz .LBB123_57
; %bb.56:
	s_waitcnt lgkmcnt(1)
	v_add_co_u32 v15, vcc_lo, v17, v20
	v_add_co_ci_u32_e32 v18, vcc_lo, 0, v18, vcc_lo
	s_delay_alu instid0(VALU_DEP_2) | instskip(SKIP_1) | instid1(VALU_DEP_2)
	v_add_co_u32 v17, vcc_lo, v15, 0
	s_waitcnt lgkmcnt(0)
	v_add_co_ci_u32_e32 v18, vcc_lo, v18, v16, vcc_lo
.LBB123_57:
	s_or_b32 exec_lo, exec_lo, s11
	v_mov_b32_e32 v26, 0
	s_branch .LBB123_59
.LBB123_58:                             ;   in Loop: Header=BB123_59 Depth=1
	s_or_b32 exec_lo, exec_lo, s11
	v_add_co_u32 v17, vcc_lo, v17, v15
	v_subrev_nc_u32_e32 v25, 32, v25
	v_add_co_ci_u32_e32 v18, vcc_lo, v18, v16, vcc_lo
.LBB123_59:                             ; =>This Loop Header: Depth=1
                                        ;     Child Loop BB123_62 Depth 2
	v_and_b32_e32 v15, 0xff, v19
	s_delay_alu instid0(VALU_DEP_1) | instskip(SKIP_2) | instid1(VALU_DEP_1)
	v_cmp_ne_u16_e32 vcc_lo, 2, v15
	v_cndmask_b32_e64 v15, 0, 1, vcc_lo
	;;#ASMSTART
	;;#ASMEND
	v_cmp_ne_u32_e32 vcc_lo, 0, v15
	s_waitcnt lgkmcnt(0)
	v_dual_mov_b32 v15, v17 :: v_dual_mov_b32 v16, v18
	s_cmp_lg_u32 vcc_lo, exec_lo
	s_cbranch_scc1 .LBB123_74
; %bb.60:                               ;   in Loop: Header=BB123_59 Depth=1
	v_lshlrev_b64 v[17:18], 4, v[25:26]
	s_mov_b32 s11, exec_lo
	s_delay_alu instid0(VALU_DEP_1) | instskip(NEXT) | instid1(VALU_DEP_2)
	v_add_co_u32 v27, vcc_lo, s8, v17
	v_add_co_ci_u32_e32 v28, vcc_lo, s9, v18, vcc_lo
	;;#ASMSTART
	global_load_dwordx4 v[17:20], v[27:28] off glc	
s_waitcnt vmcnt(0)
	;;#ASMEND
	v_and_b32_e32 v20, 0xff, v18
	v_and_b32_e32 v55, 0xff00, v18
	;; [unrolled: 1-line block ×3, first 2 shown]
	v_or3_b32 v17, v17, 0, 0
	v_and_b32_e32 v18, 0xff000000, v18
	s_delay_alu instid0(VALU_DEP_4) | instskip(SKIP_1) | instid1(VALU_DEP_4)
	v_or3_b32 v20, 0, v20, v55
	v_and_b32_e32 v55, 0xff, v19
	v_or3_b32 v17, v17, 0, 0
	s_delay_alu instid0(VALU_DEP_3) | instskip(NEXT) | instid1(VALU_DEP_3)
	v_or3_b32 v18, v20, v56, v18
	v_cmpx_eq_u16_e32 0, v55
	s_cbranch_execz .LBB123_64
; %bb.61:                               ;   in Loop: Header=BB123_59 Depth=1
	s_mov_b32 s12, 0
.LBB123_62:                             ;   Parent Loop BB123_59 Depth=1
                                        ; =>  This Inner Loop Header: Depth=2
	;;#ASMSTART
	global_load_dwordx4 v[17:20], v[27:28] off glc	
s_waitcnt vmcnt(0)
	;;#ASMEND
	v_and_b32_e32 v20, 0xff, v19
	s_delay_alu instid0(VALU_DEP_1) | instskip(SKIP_1) | instid1(SALU_CYCLE_1)
	v_cmp_ne_u16_e32 vcc_lo, 0, v20
	s_or_b32 s12, vcc_lo, s12
	s_and_not1_b32 exec_lo, exec_lo, s12
	s_cbranch_execnz .LBB123_62
; %bb.63:                               ;   in Loop: Header=BB123_59 Depth=1
	s_or_b32 exec_lo, exec_lo, s12
.LBB123_64:                             ;   in Loop: Header=BB123_59 Depth=1
	s_delay_alu instid0(SALU_CYCLE_1)
	s_or_b32 exec_lo, exec_lo, s11
	v_dual_mov_b32 v27, v17 :: v_dual_and_b32 v20, 0xff, v19
	ds_bpermute_b32 v55, v45, v17
	ds_bpermute_b32 v28, v45, v18
	s_mov_b32 s11, exec_lo
	v_cmp_eq_u16_e32 vcc_lo, 2, v20
	v_and_or_b32 v20, vcc_lo, v46, 0x80000000
	s_delay_alu instid0(VALU_DEP_1) | instskip(NEXT) | instid1(VALU_DEP_1)
	v_ctz_i32_b32_e32 v20, v20
	v_cmpx_lt_u32_e64 v42, v20
	s_cbranch_execz .LBB123_66
; %bb.65:                               ;   in Loop: Header=BB123_59 Depth=1
	s_waitcnt lgkmcnt(1)
	v_add_co_u32 v27, vcc_lo, v17, v55
	v_add_co_ci_u32_e32 v18, vcc_lo, 0, v18, vcc_lo
	s_delay_alu instid0(VALU_DEP_2) | instskip(SKIP_1) | instid1(VALU_DEP_2)
	v_add_co_u32 v17, vcc_lo, 0, v27
	s_waitcnt lgkmcnt(0)
	v_add_co_ci_u32_e32 v18, vcc_lo, v28, v18, vcc_lo
.LBB123_66:                             ;   in Loop: Header=BB123_59 Depth=1
	s_or_b32 exec_lo, exec_lo, s11
	s_waitcnt lgkmcnt(1)
	ds_bpermute_b32 v55, v47, v27
	s_waitcnt lgkmcnt(1)
	ds_bpermute_b32 v28, v47, v18
	s_mov_b32 s11, exec_lo
	v_cmpx_le_u32_e64 v48, v20
	s_cbranch_execz .LBB123_68
; %bb.67:                               ;   in Loop: Header=BB123_59 Depth=1
	s_waitcnt lgkmcnt(1)
	v_add_co_u32 v27, vcc_lo, v17, v55
	v_add_co_ci_u32_e32 v18, vcc_lo, 0, v18, vcc_lo
	s_delay_alu instid0(VALU_DEP_2) | instskip(SKIP_1) | instid1(VALU_DEP_2)
	v_add_co_u32 v17, vcc_lo, 0, v27
	s_waitcnt lgkmcnt(0)
	v_add_co_ci_u32_e32 v18, vcc_lo, v28, v18, vcc_lo
.LBB123_68:                             ;   in Loop: Header=BB123_59 Depth=1
	s_or_b32 exec_lo, exec_lo, s11
	s_waitcnt lgkmcnt(1)
	ds_bpermute_b32 v55, v49, v27
	s_waitcnt lgkmcnt(1)
	ds_bpermute_b32 v28, v49, v18
	s_mov_b32 s11, exec_lo
	v_cmpx_le_u32_e64 v50, v20
	;; [unrolled: 17-line block ×3, first 2 shown]
	s_cbranch_execz .LBB123_72
; %bb.71:                               ;   in Loop: Header=BB123_59 Depth=1
	s_waitcnt lgkmcnt(1)
	v_add_co_u32 v27, vcc_lo, v17, v55
	v_add_co_ci_u32_e32 v18, vcc_lo, 0, v18, vcc_lo
	s_delay_alu instid0(VALU_DEP_2) | instskip(SKIP_1) | instid1(VALU_DEP_2)
	v_add_co_u32 v17, vcc_lo, 0, v27
	s_waitcnt lgkmcnt(0)
	v_add_co_ci_u32_e32 v18, vcc_lo, v28, v18, vcc_lo
.LBB123_72:                             ;   in Loop: Header=BB123_59 Depth=1
	s_or_b32 exec_lo, exec_lo, s11
	s_waitcnt lgkmcnt(0)
	ds_bpermute_b32 v28, v53, v27
	ds_bpermute_b32 v27, v53, v18
	s_mov_b32 s11, exec_lo
	v_cmpx_le_u32_e64 v54, v20
	s_cbranch_execz .LBB123_58
; %bb.73:                               ;   in Loop: Header=BB123_59 Depth=1
	s_waitcnt lgkmcnt(1)
	v_add_co_u32 v17, vcc_lo, v17, v28
	v_add_co_ci_u32_e32 v18, vcc_lo, 0, v18, vcc_lo
	s_delay_alu instid0(VALU_DEP_2) | instskip(SKIP_1) | instid1(VALU_DEP_2)
	v_add_co_u32 v17, vcc_lo, v17, 0
	s_waitcnt lgkmcnt(0)
	v_add_co_ci_u32_e32 v18, vcc_lo, v18, v27, vcc_lo
	s_branch .LBB123_58
.LBB123_74:                             ;   in Loop: Header=BB123_59 Depth=1
                                        ; implicit-def: $vgpr17_vgpr18
	s_cbranch_execz .LBB123_59
; %bb.75:
	s_and_saveexec_b32 s11, s3
	s_cbranch_execz .LBB123_77
; %bb.76:
	s_add_i32 s12, s15, 32
	s_mov_b32 s13, 0
	v_add_co_u32 v17, vcc_lo, v15, v13
	s_lshl_b64 s[12:13], s[12:13], 4
	v_dual_mov_b32 v19, 2 :: v_dual_mov_b32 v20, 0
	s_add_u32 s12, s8, s12
	s_addc_u32 s13, s9, s13
	v_add_co_ci_u32_e32 v18, vcc_lo, v16, v14, vcc_lo
	v_dual_mov_b32 v26, s13 :: v_dual_mov_b32 v25, s12
	;;#ASMSTART
	global_store_dwordx4 v[25:26], v[17:20] off	
s_waitcnt vmcnt(0)
	;;#ASMEND
	ds_store_b128 v20, v[13:16] offset:6144
.LBB123_77:
	s_or_b32 exec_lo, exec_lo, s11
	v_cmp_eq_u32_e32 vcc_lo, 0, v0
	s_and_b32 exec_lo, exec_lo, vcc_lo
	s_cbranch_execz .LBB123_79
; %bb.78:
	v_mov_b32_e32 v13, 0
	ds_store_b64 v13, v[15:16] offset:24
.LBB123_79:
	s_or_b32 exec_lo, exec_lo, s10
	s_waitcnt lgkmcnt(1)
	v_cndmask_b32_e64 v16, v29, v23, s3
	v_cmp_ne_u32_e32 vcc_lo, 0, v0
	v_mov_b32_e32 v15, 0
	s_waitcnt lgkmcnt(0)
	s_barrier
	buffer_gl0_inv
	v_cndmask_b32_e32 v16, 0, v16, vcc_lo
	ds_load_b64 v[13:14], v15 offset:24
	v_cndmask_b32_e64 v17, v30, v24, s3
	s_waitcnt lgkmcnt(0)
	s_barrier
	buffer_gl0_inv
	v_cndmask_b32_e32 v17, 0, v17, vcc_lo
	v_add_co_u32 v29, vcc_lo, v13, v16
	s_delay_alu instid0(VALU_DEP_2) | instskip(SKIP_3) | instid1(VALU_DEP_2)
	v_add_co_ci_u32_e32 v30, vcc_lo, v14, v17, vcc_lo
	ds_load_b128 v[13:16], v15 offset:6144
	v_add_co_u32 v27, vcc_lo, v29, v41
	v_add_co_ci_u32_e32 v28, vcc_lo, 0, v30, vcc_lo
	v_add_co_u32 v25, vcc_lo, v27, v40
	s_delay_alu instid0(VALU_DEP_2) | instskip(NEXT) | instid1(VALU_DEP_2)
	v_add_co_ci_u32_e32 v26, vcc_lo, 0, v28, vcc_lo
	v_add_co_u32 v23, vcc_lo, v25, v39
	s_delay_alu instid0(VALU_DEP_2) | instskip(NEXT) | instid1(VALU_DEP_2)
	;; [unrolled: 3-line block ×3, first 2 shown]
	v_add_co_ci_u32_e32 v20, vcc_lo, 0, v24, vcc_lo
	v_add_co_u32 v17, vcc_lo, v19, v37
	s_delay_alu instid0(VALU_DEP_2)
	v_add_co_ci_u32_e32 v18, vcc_lo, 0, v20, vcc_lo
	s_load_b64 s[10:11], s[0:1], 0x30
.LBB123_80:
	s_waitcnt lgkmcnt(0)
	v_cmp_gt_u64_e32 vcc_lo, 0x81, v[13:14]
	s_mov_b32 s0, -1
	s_cbranch_vccnz .LBB123_108
.LBB123_81:
	s_and_b32 vcc_lo, exec_lo, s0
	s_cbranch_vccnz .LBB123_127
.LBB123_82:
	v_cmp_eq_u32_e32 vcc_lo, 0, v0
	s_and_b32 s0, vcc_lo, s14
	s_delay_alu instid0(SALU_CYCLE_1)
	s_and_saveexec_b32 s1, s0
	s_cbranch_execnz .LBB123_143
.LBB123_83:
	s_nop 0
	s_sendmsg sendmsg(MSG_DEALLOC_VGPRS)
	s_endpgm
.LBB123_84:
                                        ; kill: def $vgpr13_vgpr14 killed $sgpr0_sgpr1 killed $exec
                                        ; implicit-def: $vgpr17_vgpr18
                                        ; implicit-def: $vgpr19_vgpr20
                                        ; implicit-def: $vgpr23_vgpr24
                                        ; implicit-def: $vgpr25_vgpr26
                                        ; implicit-def: $vgpr27_vgpr28
                                        ; implicit-def: $vgpr29_vgpr30
                                        ; implicit-def: $vgpr15_vgpr16
	s_load_b64 s[10:11], s[0:1], 0x30
	s_and_b32 vcc_lo, exec_lo, s3
	s_cbranch_vccz .LBB123_80
; %bb.85:
	s_waitcnt lgkmcnt(0)
	v_dual_mov_b32 v14, 0 :: v_dual_mov_b32 v15, v21
	v_mov_b32_dpp v16, v21 row_shr:1 row_mask:0xf bank_mask:0xf
	s_delay_alu instid0(VALU_DEP_2)
	v_mov_b32_dpp v13, v14 row_shr:1 row_mask:0xf bank_mask:0xf
	s_and_saveexec_b32 s0, s2
; %bb.86:
	s_delay_alu instid0(VALU_DEP_2) | instskip(SKIP_1) | instid1(VALU_DEP_2)
	v_add_co_u32 v15, vcc_lo, v21, v16
	v_add_co_ci_u32_e32 v14, vcc_lo, 0, v22, vcc_lo
	v_add_co_u32 v21, vcc_lo, 0, v15
	s_delay_alu instid0(VALU_DEP_2) | instskip(NEXT) | instid1(VALU_DEP_1)
	v_add_co_ci_u32_e32 v22, vcc_lo, v13, v14, vcc_lo
	v_mov_b32_e32 v14, v22
; %bb.87:
	s_or_b32 exec_lo, exec_lo, s0
	v_mov_b32_dpp v13, v15 row_shr:2 row_mask:0xf bank_mask:0xf
	s_delay_alu instid0(VALU_DEP_2)
	v_mov_b32_dpp v16, v14 row_shr:2 row_mask:0xf bank_mask:0xf
	s_mov_b32 s0, exec_lo
	v_cmpx_lt_u32_e32 1, v44
; %bb.88:
	s_delay_alu instid0(VALU_DEP_3) | instskip(SKIP_1) | instid1(VALU_DEP_2)
	v_add_co_u32 v15, vcc_lo, v21, v13
	v_add_co_ci_u32_e32 v14, vcc_lo, 0, v22, vcc_lo
	v_add_co_u32 v13, vcc_lo, 0, v15
	s_delay_alu instid0(VALU_DEP_2) | instskip(NEXT) | instid1(VALU_DEP_1)
	v_add_co_ci_u32_e32 v14, vcc_lo, v16, v14, vcc_lo
	v_dual_mov_b32 v22, v14 :: v_dual_mov_b32 v21, v13
; %bb.89:
	s_or_b32 exec_lo, exec_lo, s0
	v_mov_b32_dpp v13, v15 row_shr:4 row_mask:0xf bank_mask:0xf
	v_mov_b32_dpp v16, v14 row_shr:4 row_mask:0xf bank_mask:0xf
	s_mov_b32 s0, exec_lo
	v_cmpx_lt_u32_e32 3, v44
; %bb.90:
	s_delay_alu instid0(VALU_DEP_3) | instskip(SKIP_1) | instid1(VALU_DEP_2)
	v_add_co_u32 v15, vcc_lo, v21, v13
	v_add_co_ci_u32_e32 v14, vcc_lo, 0, v22, vcc_lo
	v_add_co_u32 v13, vcc_lo, 0, v15
	s_delay_alu instid0(VALU_DEP_2) | instskip(NEXT) | instid1(VALU_DEP_1)
	v_add_co_ci_u32_e32 v14, vcc_lo, v16, v14, vcc_lo
	v_dual_mov_b32 v22, v14 :: v_dual_mov_b32 v21, v13
; %bb.91:
	s_or_b32 exec_lo, exec_lo, s0
	v_mov_b32_dpp v16, v15 row_shr:8 row_mask:0xf bank_mask:0xf
	v_mov_b32_dpp v13, v14 row_shr:8 row_mask:0xf bank_mask:0xf
	s_mov_b32 s0, exec_lo
	v_cmpx_lt_u32_e32 7, v44
; %bb.92:
	s_delay_alu instid0(VALU_DEP_3) | instskip(SKIP_1) | instid1(VALU_DEP_2)
	v_add_co_u32 v15, vcc_lo, v21, v16
	v_add_co_ci_u32_e32 v14, vcc_lo, 0, v22, vcc_lo
	v_add_co_u32 v21, vcc_lo, 0, v15
	s_delay_alu instid0(VALU_DEP_2) | instskip(NEXT) | instid1(VALU_DEP_1)
	v_add_co_ci_u32_e32 v22, vcc_lo, v13, v14, vcc_lo
	v_mov_b32_e32 v14, v22
; %bb.93:
	s_or_b32 exec_lo, exec_lo, s0
	ds_swizzle_b32 v15, v15 offset:swizzle(BROADCAST,32,15)
	ds_swizzle_b32 v13, v14 offset:swizzle(BROADCAST,32,15)
	v_and_b32_e32 v14, 16, v42
	s_mov_b32 s0, exec_lo
	s_delay_alu instid0(VALU_DEP_1)
	v_cmpx_ne_u32_e32 0, v14
	s_cbranch_execz .LBB123_95
; %bb.94:
	s_waitcnt lgkmcnt(1)
	v_add_co_u32 v14, vcc_lo, v21, v15
	v_add_co_ci_u32_e32 v15, vcc_lo, 0, v22, vcc_lo
	s_delay_alu instid0(VALU_DEP_2) | instskip(SKIP_1) | instid1(VALU_DEP_2)
	v_add_co_u32 v21, vcc_lo, v14, 0
	s_waitcnt lgkmcnt(0)
	v_add_co_ci_u32_e32 v22, vcc_lo, v15, v13, vcc_lo
.LBB123_95:
	s_or_b32 exec_lo, exec_lo, s0
	s_waitcnt lgkmcnt(0)
	v_or_b32_e32 v13, 31, v0
	v_lshrrev_b32_e32 v15, 5, v0
	s_mov_b32 s0, exec_lo
	s_delay_alu instid0(VALU_DEP_2)
	v_cmpx_eq_u32_e64 v13, v0
	s_cbranch_execz .LBB123_97
; %bb.96:
	s_delay_alu instid0(VALU_DEP_2)
	v_lshlrev_b32_e32 v13, 3, v15
	ds_store_b64 v13, v[21:22]
.LBB123_97:
	s_or_b32 exec_lo, exec_lo, s0
	s_delay_alu instid0(SALU_CYCLE_1)
	s_mov_b32 s0, exec_lo
	s_waitcnt lgkmcnt(0)
	s_barrier
	buffer_gl0_inv
	v_cmpx_gt_u32_e32 4, v0
	s_cbranch_execz .LBB123_103
; %bb.98:
	v_lshlrev_b32_e32 v13, 1, v0
	s_mov_b32 s1, exec_lo
	s_delay_alu instid0(VALU_DEP_1)
	v_add_nc_u32_e32 v16, v43, v13
	ds_load_b64 v[13:14], v16
	s_waitcnt lgkmcnt(0)
	v_dual_mov_b32 v18, v13 :: v_dual_and_b32 v17, 3, v42
	v_mov_b32_dpp v20, v13 row_shr:1 row_mask:0xf bank_mask:0xf
	v_mov_b32_dpp v19, v14 row_shr:1 row_mask:0xf bank_mask:0xf
	s_delay_alu instid0(VALU_DEP_3)
	v_cmpx_ne_u32_e32 0, v17
; %bb.99:
	s_delay_alu instid0(VALU_DEP_3) | instskip(SKIP_1) | instid1(VALU_DEP_2)
	v_add_co_u32 v18, vcc_lo, v13, v20
	v_add_co_ci_u32_e32 v14, vcc_lo, 0, v14, vcc_lo
	v_add_co_u32 v13, vcc_lo, 0, v18
	s_delay_alu instid0(VALU_DEP_2)
	v_add_co_ci_u32_e32 v14, vcc_lo, v19, v14, vcc_lo
; %bb.100:
	s_or_b32 exec_lo, exec_lo, s1
	v_mov_b32_dpp v19, v18 row_shr:2 row_mask:0xf bank_mask:0xf
	s_delay_alu instid0(VALU_DEP_2)
	v_mov_b32_dpp v18, v14 row_shr:2 row_mask:0xf bank_mask:0xf
	s_mov_b32 s1, exec_lo
	v_cmpx_lt_u32_e32 1, v17
; %bb.101:
	s_delay_alu instid0(VALU_DEP_3) | instskip(SKIP_1) | instid1(VALU_DEP_2)
	v_add_co_u32 v13, vcc_lo, v13, v19
	v_add_co_ci_u32_e32 v14, vcc_lo, 0, v14, vcc_lo
	v_add_co_u32 v13, vcc_lo, v13, 0
	s_delay_alu instid0(VALU_DEP_2)
	v_add_co_ci_u32_e32 v14, vcc_lo, v14, v18, vcc_lo
; %bb.102:
	s_or_b32 exec_lo, exec_lo, s1
	ds_store_b64 v16, v[13:14]
.LBB123_103:
	s_or_b32 exec_lo, exec_lo, s0
	v_mov_b32_e32 v17, 0
	v_mov_b32_e32 v18, 0
	s_mov_b32 s0, exec_lo
	s_waitcnt lgkmcnt(0)
	s_barrier
	buffer_gl0_inv
	v_cmpx_lt_u32_e32 31, v0
	s_cbranch_execz .LBB123_105
; %bb.104:
	v_lshl_add_u32 v13, v15, 3, -8
	ds_load_b64 v[17:18], v13
.LBB123_105:
	s_or_b32 exec_lo, exec_lo, s0
	v_dual_mov_b32 v16, 0 :: v_dual_add_nc_u32 v13, -1, v42
	s_delay_alu instid0(VALU_DEP_1) | instskip(SKIP_4) | instid1(VALU_DEP_3)
	v_cmp_gt_i32_e32 vcc_lo, 0, v13
	v_cndmask_b32_e32 v13, v13, v42, vcc_lo
	s_waitcnt lgkmcnt(0)
	v_add_co_u32 v14, vcc_lo, v17, v21
	v_add_co_ci_u32_e32 v15, vcc_lo, v18, v22, vcc_lo
	v_lshlrev_b32_e32 v13, 2, v13
	v_cmp_eq_u32_e32 vcc_lo, 0, v0
	ds_bpermute_b32 v19, v13, v14
	ds_bpermute_b32 v20, v13, v15
	ds_load_b64 v[13:14], v16 offset:24
	s_and_saveexec_b32 s0, vcc_lo
	s_cbranch_execz .LBB123_107
; %bb.106:
	s_add_u32 s2, s8, 0x200
	s_addc_u32 s3, s9, 0
	s_delay_alu instid0(SALU_CYCLE_1)
	v_dual_mov_b32 v15, 2 :: v_dual_mov_b32 v22, s3
	v_mov_b32_e32 v21, s2
	s_waitcnt lgkmcnt(0)
	;;#ASMSTART
	global_store_dwordx4 v[21:22], v[13:16] off	
s_waitcnt vmcnt(0)
	;;#ASMEND
.LBB123_107:
	s_or_b32 exec_lo, exec_lo, s0
	v_cmp_eq_u32_e64 s0, 0, v42
	s_waitcnt lgkmcnt(0)
	s_barrier
	buffer_gl0_inv
	v_cndmask_b32_e64 v15, v19, v17, s0
	v_cndmask_b32_e64 v16, v20, v18, s0
	s_delay_alu instid0(VALU_DEP_2) | instskip(NEXT) | instid1(VALU_DEP_2)
	v_cndmask_b32_e64 v29, v15, 0, vcc_lo
	v_cndmask_b32_e64 v30, v16, 0, vcc_lo
	v_mov_b32_e32 v15, 0
	v_mov_b32_e32 v16, 0
	s_delay_alu instid0(VALU_DEP_4) | instskip(NEXT) | instid1(VALU_DEP_4)
	v_add_co_u32 v27, vcc_lo, v29, v41
	v_add_co_ci_u32_e32 v28, vcc_lo, 0, v30, vcc_lo
	s_delay_alu instid0(VALU_DEP_2) | instskip(NEXT) | instid1(VALU_DEP_2)
	v_add_co_u32 v25, vcc_lo, v27, v40
	v_add_co_ci_u32_e32 v26, vcc_lo, 0, v28, vcc_lo
	s_delay_alu instid0(VALU_DEP_2) | instskip(NEXT) | instid1(VALU_DEP_2)
	;; [unrolled: 3-line block ×4, first 2 shown]
	v_add_co_u32 v17, vcc_lo, v19, v37
	v_add_co_ci_u32_e32 v18, vcc_lo, 0, v20, vcc_lo
	v_cmp_gt_u64_e32 vcc_lo, 0x81, v[13:14]
	s_mov_b32 s0, -1
	s_cbranch_vccz .LBB123_81
.LBB123_108:
	v_add_co_u32 v21, vcc_lo, v15, v13
	v_add_co_ci_u32_e32 v22, vcc_lo, v16, v14, vcc_lo
	s_delay_alu instid0(VALU_DEP_1) | instskip(SKIP_1) | instid1(SALU_CYCLE_1)
	v_cmp_lt_u64_e32 vcc_lo, v[29:30], v[21:22]
	s_or_b32 s1, s16, vcc_lo
	s_and_saveexec_b32 s0, s1
	s_cbranch_execz .LBB123_111
; %bb.109:
	v_and_b32_e32 v37, 1, v36
	s_delay_alu instid0(VALU_DEP_1)
	v_cmp_eq_u32_e32 vcc_lo, 1, v37
	s_and_b32 exec_lo, exec_lo, vcc_lo
	s_cbranch_execz .LBB123_111
; %bb.110:
	v_lshlrev_b64 v[37:38], 3, v[29:30]
	s_lshl_b64 s[2:3], s[6:7], 3
	s_delay_alu instid0(SALU_CYCLE_1) | instskip(SKIP_1) | instid1(VALU_DEP_1)
	s_add_u32 s1, s10, s2
	s_addc_u32 s2, s11, s3
	v_add_co_u32 v37, vcc_lo, s1, v37
	s_delay_alu instid0(VALU_DEP_2)
	v_add_co_ci_u32_e32 v38, vcc_lo, s2, v38, vcc_lo
	global_store_b64 v[37:38], v[9:10], off
.LBB123_111:
	s_or_b32 exec_lo, exec_lo, s0
	v_cmp_lt_u64_e32 vcc_lo, v[27:28], v[21:22]
	s_or_b32 s1, s16, vcc_lo
	s_delay_alu instid0(SALU_CYCLE_1)
	s_and_saveexec_b32 s0, s1
	s_cbranch_execz .LBB123_114
; %bb.112:
	v_and_b32_e32 v30, 1, v34
	s_delay_alu instid0(VALU_DEP_1)
	v_cmp_eq_u32_e32 vcc_lo, 1, v30
	s_and_b32 exec_lo, exec_lo, vcc_lo
	s_cbranch_execz .LBB123_114
; %bb.113:
	v_lshlrev_b64 v[37:38], 3, v[27:28]
	s_lshl_b64 s[2:3], s[6:7], 3
	s_delay_alu instid0(SALU_CYCLE_1) | instskip(SKIP_1) | instid1(VALU_DEP_1)
	s_add_u32 s1, s10, s2
	s_addc_u32 s2, s11, s3
	v_add_co_u32 v37, vcc_lo, s1, v37
	s_delay_alu instid0(VALU_DEP_2)
	v_add_co_ci_u32_e32 v38, vcc_lo, s2, v38, vcc_lo
	global_store_b64 v[37:38], v[11:12], off
.LBB123_114:
	s_or_b32 exec_lo, exec_lo, s0
	v_cmp_lt_u64_e32 vcc_lo, v[25:26], v[21:22]
	s_or_b32 s1, s16, vcc_lo
	s_delay_alu instid0(SALU_CYCLE_1)
	;; [unrolled: 23-line block ×5, first 2 shown]
	s_and_saveexec_b32 s0, s1
	s_cbranch_execz .LBB123_126
; %bb.124:
	v_and_b32_e32 v20, 1, v32
	s_delay_alu instid0(VALU_DEP_1)
	v_cmp_eq_u32_e32 vcc_lo, 1, v20
	s_and_b32 exec_lo, exec_lo, vcc_lo
	s_cbranch_execz .LBB123_126
; %bb.125:
	v_lshlrev_b64 v[20:21], 3, v[17:18]
	s_lshl_b64 s[2:3], s[6:7], 3
	s_delay_alu instid0(SALU_CYCLE_1) | instskip(SKIP_1) | instid1(VALU_DEP_1)
	s_add_u32 s1, s10, s2
	s_addc_u32 s2, s11, s3
	v_add_co_u32 v20, vcc_lo, s1, v20
	s_delay_alu instid0(VALU_DEP_2)
	v_add_co_ci_u32_e32 v21, vcc_lo, s2, v21, vcc_lo
	global_store_b64 v[20:21], v[3:4], off
.LBB123_126:
	s_or_b32 exec_lo, exec_lo, s0
	s_branch .LBB123_82
.LBB123_127:
	v_and_b32_e32 v18, 1, v36
	s_mov_b32 s0, exec_lo
	s_delay_alu instid0(VALU_DEP_1)
	v_cmpx_eq_u32_e32 1, v18
	s_cbranch_execz .LBB123_129
; %bb.128:
	v_sub_nc_u32_e32 v18, v29, v15
	s_delay_alu instid0(VALU_DEP_1)
	v_lshlrev_b32_e32 v18, 3, v18
	ds_store_b64 v18, v[9:10]
.LBB123_129:
	s_or_b32 exec_lo, exec_lo, s0
	v_and_b32_e32 v9, 1, v34
	s_mov_b32 s0, exec_lo
	s_delay_alu instid0(VALU_DEP_1)
	v_cmpx_eq_u32_e32 1, v9
	s_cbranch_execz .LBB123_131
; %bb.130:
	v_sub_nc_u32_e32 v9, v27, v15
	s_delay_alu instid0(VALU_DEP_1)
	v_lshlrev_b32_e32 v9, 3, v9
	ds_store_b64 v9, v[11:12]
.LBB123_131:
	s_or_b32 exec_lo, exec_lo, s0
	;; [unrolled: 12-line block ×6, first 2 shown]
	v_mov_b32_e32 v3, 0
	s_mov_b32 s1, exec_lo
	s_waitcnt lgkmcnt(0)
	s_waitcnt_vscnt null, 0x0
	s_barrier
	buffer_gl0_inv
	v_mov_b32_e32 v1, v3
	s_delay_alu instid0(VALU_DEP_1)
	v_cmpx_gt_u64_e64 v[13:14], v[0:1]
	s_cbranch_execz .LBB123_142
; %bb.140:
	v_lshlrev_b64 v[4:5], 3, v[15:16]
	s_lshl_b64 s[2:3], s[6:7], 3
	v_or_b32_e32 v2, 0x80, v0
	s_delay_alu instid0(VALU_DEP_2) | instskip(NEXT) | instid1(VALU_DEP_3)
	v_add_co_u32 v4, vcc_lo, s10, v4
	v_add_co_ci_u32_e32 v5, vcc_lo, s11, v5, vcc_lo
	s_delay_alu instid0(VALU_DEP_2) | instskip(NEXT) | instid1(VALU_DEP_2)
	v_add_co_u32 v6, vcc_lo, v4, s2
	v_add_co_ci_u32_e32 v7, vcc_lo, s3, v5, vcc_lo
	v_dual_mov_b32 v5, v1 :: v_dual_mov_b32 v4, v0
	s_mov_b32 s2, 0
	.p2align	6
.LBB123_141:                            ; =>This Inner Loop Header: Depth=1
	s_delay_alu instid0(VALU_DEP_1) | instskip(NEXT) | instid1(VALU_DEP_2)
	v_lshlrev_b32_e32 v1, 3, v4
	v_lshlrev_b64 v[10:11], 3, v[4:5]
	v_dual_mov_b32 v5, v3 :: v_dual_mov_b32 v4, v2
	v_cmp_le_u64_e32 vcc_lo, v[13:14], v[2:3]
	v_add_nc_u32_e32 v2, 0x80, v2
	ds_load_b64 v[8:9], v1
	v_add_co_u32 v10, s0, v6, v10
	s_delay_alu instid0(VALU_DEP_1)
	v_add_co_ci_u32_e64 v11, s0, v7, v11, s0
	s_or_b32 s2, vcc_lo, s2
	s_waitcnt lgkmcnt(0)
	global_store_b64 v[10:11], v[8:9], off
	s_and_not1_b32 exec_lo, exec_lo, s2
	s_cbranch_execnz .LBB123_141
.LBB123_142:
	s_or_b32 exec_lo, exec_lo, s1
	v_cmp_eq_u32_e32 vcc_lo, 0, v0
	s_and_b32 s0, vcc_lo, s14
	s_delay_alu instid0(SALU_CYCLE_1)
	s_and_saveexec_b32 s1, s0
	s_cbranch_execz .LBB123_83
.LBB123_143:
	v_add_co_u32 v0, vcc_lo, v15, v13
	v_add_co_ci_u32_e32 v1, vcc_lo, v16, v14, vcc_lo
	v_mov_b32_e32 v2, 0
	s_delay_alu instid0(VALU_DEP_3) | instskip(NEXT) | instid1(VALU_DEP_3)
	v_add_co_u32 v0, vcc_lo, v0, s6
	v_add_co_ci_u32_e32 v1, vcc_lo, s7, v1, vcc_lo
	global_store_b64 v2, v[0:1], s[4:5]
	s_nop 0
	s_sendmsg sendmsg(MSG_DEALLOC_VGPRS)
	s_endpgm
	.section	.rodata,"a",@progbits
	.p2align	6, 0x0
	.amdhsa_kernel _ZN7rocprim17ROCPRIM_400000_NS6detail17trampoline_kernelINS0_14default_configENS1_25partition_config_selectorILNS1_17partition_subalgoE5ElNS0_10empty_typeEbEEZZNS1_14partition_implILS5_5ELb0ES3_mN6hipcub16HIPCUB_304000_NS21CountingInputIteratorIllEEPS6_NSA_22TransformInputIteratorIb7NonZeroIsEPslEENS0_5tupleIJPlS6_EEENSJ_IJSD_SD_EEES6_SK_JS6_EEE10hipError_tPvRmT3_T4_T5_T6_T7_T9_mT8_P12ihipStream_tbDpT10_ENKUlT_T0_E_clISt17integral_constantIbLb0EES16_EEDaS11_S12_EUlS11_E_NS1_11comp_targetILNS1_3genE9ELNS1_11target_archE1100ELNS1_3gpuE3ELNS1_3repE0EEENS1_30default_config_static_selectorELNS0_4arch9wavefront6targetE0EEEvT1_
		.amdhsa_group_segment_fixed_size 6160
		.amdhsa_private_segment_fixed_size 0
		.amdhsa_kernarg_size 120
		.amdhsa_user_sgpr_count 15
		.amdhsa_user_sgpr_dispatch_ptr 0
		.amdhsa_user_sgpr_queue_ptr 0
		.amdhsa_user_sgpr_kernarg_segment_ptr 1
		.amdhsa_user_sgpr_dispatch_id 0
		.amdhsa_user_sgpr_private_segment_size 0
		.amdhsa_wavefront_size32 1
		.amdhsa_uses_dynamic_stack 0
		.amdhsa_enable_private_segment 0
		.amdhsa_system_sgpr_workgroup_id_x 1
		.amdhsa_system_sgpr_workgroup_id_y 0
		.amdhsa_system_sgpr_workgroup_id_z 0
		.amdhsa_system_sgpr_workgroup_info 0
		.amdhsa_system_vgpr_workitem_id 0
		.amdhsa_next_free_vgpr 57
		.amdhsa_next_free_sgpr 21
		.amdhsa_reserve_vcc 1
		.amdhsa_float_round_mode_32 0
		.amdhsa_float_round_mode_16_64 0
		.amdhsa_float_denorm_mode_32 3
		.amdhsa_float_denorm_mode_16_64 3
		.amdhsa_dx10_clamp 1
		.amdhsa_ieee_mode 1
		.amdhsa_fp16_overflow 0
		.amdhsa_workgroup_processor_mode 1
		.amdhsa_memory_ordered 1
		.amdhsa_forward_progress 0
		.amdhsa_shared_vgpr_count 0
		.amdhsa_exception_fp_ieee_invalid_op 0
		.amdhsa_exception_fp_denorm_src 0
		.amdhsa_exception_fp_ieee_div_zero 0
		.amdhsa_exception_fp_ieee_overflow 0
		.amdhsa_exception_fp_ieee_underflow 0
		.amdhsa_exception_fp_ieee_inexact 0
		.amdhsa_exception_int_div_zero 0
	.end_amdhsa_kernel
	.section	.text._ZN7rocprim17ROCPRIM_400000_NS6detail17trampoline_kernelINS0_14default_configENS1_25partition_config_selectorILNS1_17partition_subalgoE5ElNS0_10empty_typeEbEEZZNS1_14partition_implILS5_5ELb0ES3_mN6hipcub16HIPCUB_304000_NS21CountingInputIteratorIllEEPS6_NSA_22TransformInputIteratorIb7NonZeroIsEPslEENS0_5tupleIJPlS6_EEENSJ_IJSD_SD_EEES6_SK_JS6_EEE10hipError_tPvRmT3_T4_T5_T6_T7_T9_mT8_P12ihipStream_tbDpT10_ENKUlT_T0_E_clISt17integral_constantIbLb0EES16_EEDaS11_S12_EUlS11_E_NS1_11comp_targetILNS1_3genE9ELNS1_11target_archE1100ELNS1_3gpuE3ELNS1_3repE0EEENS1_30default_config_static_selectorELNS0_4arch9wavefront6targetE0EEEvT1_,"axG",@progbits,_ZN7rocprim17ROCPRIM_400000_NS6detail17trampoline_kernelINS0_14default_configENS1_25partition_config_selectorILNS1_17partition_subalgoE5ElNS0_10empty_typeEbEEZZNS1_14partition_implILS5_5ELb0ES3_mN6hipcub16HIPCUB_304000_NS21CountingInputIteratorIllEEPS6_NSA_22TransformInputIteratorIb7NonZeroIsEPslEENS0_5tupleIJPlS6_EEENSJ_IJSD_SD_EEES6_SK_JS6_EEE10hipError_tPvRmT3_T4_T5_T6_T7_T9_mT8_P12ihipStream_tbDpT10_ENKUlT_T0_E_clISt17integral_constantIbLb0EES16_EEDaS11_S12_EUlS11_E_NS1_11comp_targetILNS1_3genE9ELNS1_11target_archE1100ELNS1_3gpuE3ELNS1_3repE0EEENS1_30default_config_static_selectorELNS0_4arch9wavefront6targetE0EEEvT1_,comdat
.Lfunc_end123:
	.size	_ZN7rocprim17ROCPRIM_400000_NS6detail17trampoline_kernelINS0_14default_configENS1_25partition_config_selectorILNS1_17partition_subalgoE5ElNS0_10empty_typeEbEEZZNS1_14partition_implILS5_5ELb0ES3_mN6hipcub16HIPCUB_304000_NS21CountingInputIteratorIllEEPS6_NSA_22TransformInputIteratorIb7NonZeroIsEPslEENS0_5tupleIJPlS6_EEENSJ_IJSD_SD_EEES6_SK_JS6_EEE10hipError_tPvRmT3_T4_T5_T6_T7_T9_mT8_P12ihipStream_tbDpT10_ENKUlT_T0_E_clISt17integral_constantIbLb0EES16_EEDaS11_S12_EUlS11_E_NS1_11comp_targetILNS1_3genE9ELNS1_11target_archE1100ELNS1_3gpuE3ELNS1_3repE0EEENS1_30default_config_static_selectorELNS0_4arch9wavefront6targetE0EEEvT1_, .Lfunc_end123-_ZN7rocprim17ROCPRIM_400000_NS6detail17trampoline_kernelINS0_14default_configENS1_25partition_config_selectorILNS1_17partition_subalgoE5ElNS0_10empty_typeEbEEZZNS1_14partition_implILS5_5ELb0ES3_mN6hipcub16HIPCUB_304000_NS21CountingInputIteratorIllEEPS6_NSA_22TransformInputIteratorIb7NonZeroIsEPslEENS0_5tupleIJPlS6_EEENSJ_IJSD_SD_EEES6_SK_JS6_EEE10hipError_tPvRmT3_T4_T5_T6_T7_T9_mT8_P12ihipStream_tbDpT10_ENKUlT_T0_E_clISt17integral_constantIbLb0EES16_EEDaS11_S12_EUlS11_E_NS1_11comp_targetILNS1_3genE9ELNS1_11target_archE1100ELNS1_3gpuE3ELNS1_3repE0EEENS1_30default_config_static_selectorELNS0_4arch9wavefront6targetE0EEEvT1_
                                        ; -- End function
	.section	.AMDGPU.csdata,"",@progbits
; Kernel info:
; codeLenInByte = 6376
; NumSgprs: 23
; NumVgprs: 57
; ScratchSize: 0
; MemoryBound: 0
; FloatMode: 240
; IeeeMode: 1
; LDSByteSize: 6160 bytes/workgroup (compile time only)
; SGPRBlocks: 2
; VGPRBlocks: 7
; NumSGPRsForWavesPerEU: 23
; NumVGPRsForWavesPerEU: 57
; Occupancy: 16
; WaveLimiterHint : 1
; COMPUTE_PGM_RSRC2:SCRATCH_EN: 0
; COMPUTE_PGM_RSRC2:USER_SGPR: 15
; COMPUTE_PGM_RSRC2:TRAP_HANDLER: 0
; COMPUTE_PGM_RSRC2:TGID_X_EN: 1
; COMPUTE_PGM_RSRC2:TGID_Y_EN: 0
; COMPUTE_PGM_RSRC2:TGID_Z_EN: 0
; COMPUTE_PGM_RSRC2:TIDIG_COMP_CNT: 0
	.section	.text._ZN7rocprim17ROCPRIM_400000_NS6detail17trampoline_kernelINS0_14default_configENS1_25partition_config_selectorILNS1_17partition_subalgoE5ElNS0_10empty_typeEbEEZZNS1_14partition_implILS5_5ELb0ES3_mN6hipcub16HIPCUB_304000_NS21CountingInputIteratorIllEEPS6_NSA_22TransformInputIteratorIb7NonZeroIsEPslEENS0_5tupleIJPlS6_EEENSJ_IJSD_SD_EEES6_SK_JS6_EEE10hipError_tPvRmT3_T4_T5_T6_T7_T9_mT8_P12ihipStream_tbDpT10_ENKUlT_T0_E_clISt17integral_constantIbLb0EES16_EEDaS11_S12_EUlS11_E_NS1_11comp_targetILNS1_3genE8ELNS1_11target_archE1030ELNS1_3gpuE2ELNS1_3repE0EEENS1_30default_config_static_selectorELNS0_4arch9wavefront6targetE0EEEvT1_,"axG",@progbits,_ZN7rocprim17ROCPRIM_400000_NS6detail17trampoline_kernelINS0_14default_configENS1_25partition_config_selectorILNS1_17partition_subalgoE5ElNS0_10empty_typeEbEEZZNS1_14partition_implILS5_5ELb0ES3_mN6hipcub16HIPCUB_304000_NS21CountingInputIteratorIllEEPS6_NSA_22TransformInputIteratorIb7NonZeroIsEPslEENS0_5tupleIJPlS6_EEENSJ_IJSD_SD_EEES6_SK_JS6_EEE10hipError_tPvRmT3_T4_T5_T6_T7_T9_mT8_P12ihipStream_tbDpT10_ENKUlT_T0_E_clISt17integral_constantIbLb0EES16_EEDaS11_S12_EUlS11_E_NS1_11comp_targetILNS1_3genE8ELNS1_11target_archE1030ELNS1_3gpuE2ELNS1_3repE0EEENS1_30default_config_static_selectorELNS0_4arch9wavefront6targetE0EEEvT1_,comdat
	.protected	_ZN7rocprim17ROCPRIM_400000_NS6detail17trampoline_kernelINS0_14default_configENS1_25partition_config_selectorILNS1_17partition_subalgoE5ElNS0_10empty_typeEbEEZZNS1_14partition_implILS5_5ELb0ES3_mN6hipcub16HIPCUB_304000_NS21CountingInputIteratorIllEEPS6_NSA_22TransformInputIteratorIb7NonZeroIsEPslEENS0_5tupleIJPlS6_EEENSJ_IJSD_SD_EEES6_SK_JS6_EEE10hipError_tPvRmT3_T4_T5_T6_T7_T9_mT8_P12ihipStream_tbDpT10_ENKUlT_T0_E_clISt17integral_constantIbLb0EES16_EEDaS11_S12_EUlS11_E_NS1_11comp_targetILNS1_3genE8ELNS1_11target_archE1030ELNS1_3gpuE2ELNS1_3repE0EEENS1_30default_config_static_selectorELNS0_4arch9wavefront6targetE0EEEvT1_ ; -- Begin function _ZN7rocprim17ROCPRIM_400000_NS6detail17trampoline_kernelINS0_14default_configENS1_25partition_config_selectorILNS1_17partition_subalgoE5ElNS0_10empty_typeEbEEZZNS1_14partition_implILS5_5ELb0ES3_mN6hipcub16HIPCUB_304000_NS21CountingInputIteratorIllEEPS6_NSA_22TransformInputIteratorIb7NonZeroIsEPslEENS0_5tupleIJPlS6_EEENSJ_IJSD_SD_EEES6_SK_JS6_EEE10hipError_tPvRmT3_T4_T5_T6_T7_T9_mT8_P12ihipStream_tbDpT10_ENKUlT_T0_E_clISt17integral_constantIbLb0EES16_EEDaS11_S12_EUlS11_E_NS1_11comp_targetILNS1_3genE8ELNS1_11target_archE1030ELNS1_3gpuE2ELNS1_3repE0EEENS1_30default_config_static_selectorELNS0_4arch9wavefront6targetE0EEEvT1_
	.globl	_ZN7rocprim17ROCPRIM_400000_NS6detail17trampoline_kernelINS0_14default_configENS1_25partition_config_selectorILNS1_17partition_subalgoE5ElNS0_10empty_typeEbEEZZNS1_14partition_implILS5_5ELb0ES3_mN6hipcub16HIPCUB_304000_NS21CountingInputIteratorIllEEPS6_NSA_22TransformInputIteratorIb7NonZeroIsEPslEENS0_5tupleIJPlS6_EEENSJ_IJSD_SD_EEES6_SK_JS6_EEE10hipError_tPvRmT3_T4_T5_T6_T7_T9_mT8_P12ihipStream_tbDpT10_ENKUlT_T0_E_clISt17integral_constantIbLb0EES16_EEDaS11_S12_EUlS11_E_NS1_11comp_targetILNS1_3genE8ELNS1_11target_archE1030ELNS1_3gpuE2ELNS1_3repE0EEENS1_30default_config_static_selectorELNS0_4arch9wavefront6targetE0EEEvT1_
	.p2align	8
	.type	_ZN7rocprim17ROCPRIM_400000_NS6detail17trampoline_kernelINS0_14default_configENS1_25partition_config_selectorILNS1_17partition_subalgoE5ElNS0_10empty_typeEbEEZZNS1_14partition_implILS5_5ELb0ES3_mN6hipcub16HIPCUB_304000_NS21CountingInputIteratorIllEEPS6_NSA_22TransformInputIteratorIb7NonZeroIsEPslEENS0_5tupleIJPlS6_EEENSJ_IJSD_SD_EEES6_SK_JS6_EEE10hipError_tPvRmT3_T4_T5_T6_T7_T9_mT8_P12ihipStream_tbDpT10_ENKUlT_T0_E_clISt17integral_constantIbLb0EES16_EEDaS11_S12_EUlS11_E_NS1_11comp_targetILNS1_3genE8ELNS1_11target_archE1030ELNS1_3gpuE2ELNS1_3repE0EEENS1_30default_config_static_selectorELNS0_4arch9wavefront6targetE0EEEvT1_,@function
_ZN7rocprim17ROCPRIM_400000_NS6detail17trampoline_kernelINS0_14default_configENS1_25partition_config_selectorILNS1_17partition_subalgoE5ElNS0_10empty_typeEbEEZZNS1_14partition_implILS5_5ELb0ES3_mN6hipcub16HIPCUB_304000_NS21CountingInputIteratorIllEEPS6_NSA_22TransformInputIteratorIb7NonZeroIsEPslEENS0_5tupleIJPlS6_EEENSJ_IJSD_SD_EEES6_SK_JS6_EEE10hipError_tPvRmT3_T4_T5_T6_T7_T9_mT8_P12ihipStream_tbDpT10_ENKUlT_T0_E_clISt17integral_constantIbLb0EES16_EEDaS11_S12_EUlS11_E_NS1_11comp_targetILNS1_3genE8ELNS1_11target_archE1030ELNS1_3gpuE2ELNS1_3repE0EEENS1_30default_config_static_selectorELNS0_4arch9wavefront6targetE0EEEvT1_: ; @_ZN7rocprim17ROCPRIM_400000_NS6detail17trampoline_kernelINS0_14default_configENS1_25partition_config_selectorILNS1_17partition_subalgoE5ElNS0_10empty_typeEbEEZZNS1_14partition_implILS5_5ELb0ES3_mN6hipcub16HIPCUB_304000_NS21CountingInputIteratorIllEEPS6_NSA_22TransformInputIteratorIb7NonZeroIsEPslEENS0_5tupleIJPlS6_EEENSJ_IJSD_SD_EEES6_SK_JS6_EEE10hipError_tPvRmT3_T4_T5_T6_T7_T9_mT8_P12ihipStream_tbDpT10_ENKUlT_T0_E_clISt17integral_constantIbLb0EES16_EEDaS11_S12_EUlS11_E_NS1_11comp_targetILNS1_3genE8ELNS1_11target_archE1030ELNS1_3gpuE2ELNS1_3repE0EEENS1_30default_config_static_selectorELNS0_4arch9wavefront6targetE0EEEvT1_
; %bb.0:
	.section	.rodata,"a",@progbits
	.p2align	6, 0x0
	.amdhsa_kernel _ZN7rocprim17ROCPRIM_400000_NS6detail17trampoline_kernelINS0_14default_configENS1_25partition_config_selectorILNS1_17partition_subalgoE5ElNS0_10empty_typeEbEEZZNS1_14partition_implILS5_5ELb0ES3_mN6hipcub16HIPCUB_304000_NS21CountingInputIteratorIllEEPS6_NSA_22TransformInputIteratorIb7NonZeroIsEPslEENS0_5tupleIJPlS6_EEENSJ_IJSD_SD_EEES6_SK_JS6_EEE10hipError_tPvRmT3_T4_T5_T6_T7_T9_mT8_P12ihipStream_tbDpT10_ENKUlT_T0_E_clISt17integral_constantIbLb0EES16_EEDaS11_S12_EUlS11_E_NS1_11comp_targetILNS1_3genE8ELNS1_11target_archE1030ELNS1_3gpuE2ELNS1_3repE0EEENS1_30default_config_static_selectorELNS0_4arch9wavefront6targetE0EEEvT1_
		.amdhsa_group_segment_fixed_size 0
		.amdhsa_private_segment_fixed_size 0
		.amdhsa_kernarg_size 120
		.amdhsa_user_sgpr_count 15
		.amdhsa_user_sgpr_dispatch_ptr 0
		.amdhsa_user_sgpr_queue_ptr 0
		.amdhsa_user_sgpr_kernarg_segment_ptr 1
		.amdhsa_user_sgpr_dispatch_id 0
		.amdhsa_user_sgpr_private_segment_size 0
		.amdhsa_wavefront_size32 1
		.amdhsa_uses_dynamic_stack 0
		.amdhsa_enable_private_segment 0
		.amdhsa_system_sgpr_workgroup_id_x 1
		.amdhsa_system_sgpr_workgroup_id_y 0
		.amdhsa_system_sgpr_workgroup_id_z 0
		.amdhsa_system_sgpr_workgroup_info 0
		.amdhsa_system_vgpr_workitem_id 0
		.amdhsa_next_free_vgpr 1
		.amdhsa_next_free_sgpr 1
		.amdhsa_reserve_vcc 0
		.amdhsa_float_round_mode_32 0
		.amdhsa_float_round_mode_16_64 0
		.amdhsa_float_denorm_mode_32 3
		.amdhsa_float_denorm_mode_16_64 3
		.amdhsa_dx10_clamp 1
		.amdhsa_ieee_mode 1
		.amdhsa_fp16_overflow 0
		.amdhsa_workgroup_processor_mode 1
		.amdhsa_memory_ordered 1
		.amdhsa_forward_progress 0
		.amdhsa_shared_vgpr_count 0
		.amdhsa_exception_fp_ieee_invalid_op 0
		.amdhsa_exception_fp_denorm_src 0
		.amdhsa_exception_fp_ieee_div_zero 0
		.amdhsa_exception_fp_ieee_overflow 0
		.amdhsa_exception_fp_ieee_underflow 0
		.amdhsa_exception_fp_ieee_inexact 0
		.amdhsa_exception_int_div_zero 0
	.end_amdhsa_kernel
	.section	.text._ZN7rocprim17ROCPRIM_400000_NS6detail17trampoline_kernelINS0_14default_configENS1_25partition_config_selectorILNS1_17partition_subalgoE5ElNS0_10empty_typeEbEEZZNS1_14partition_implILS5_5ELb0ES3_mN6hipcub16HIPCUB_304000_NS21CountingInputIteratorIllEEPS6_NSA_22TransformInputIteratorIb7NonZeroIsEPslEENS0_5tupleIJPlS6_EEENSJ_IJSD_SD_EEES6_SK_JS6_EEE10hipError_tPvRmT3_T4_T5_T6_T7_T9_mT8_P12ihipStream_tbDpT10_ENKUlT_T0_E_clISt17integral_constantIbLb0EES16_EEDaS11_S12_EUlS11_E_NS1_11comp_targetILNS1_3genE8ELNS1_11target_archE1030ELNS1_3gpuE2ELNS1_3repE0EEENS1_30default_config_static_selectorELNS0_4arch9wavefront6targetE0EEEvT1_,"axG",@progbits,_ZN7rocprim17ROCPRIM_400000_NS6detail17trampoline_kernelINS0_14default_configENS1_25partition_config_selectorILNS1_17partition_subalgoE5ElNS0_10empty_typeEbEEZZNS1_14partition_implILS5_5ELb0ES3_mN6hipcub16HIPCUB_304000_NS21CountingInputIteratorIllEEPS6_NSA_22TransformInputIteratorIb7NonZeroIsEPslEENS0_5tupleIJPlS6_EEENSJ_IJSD_SD_EEES6_SK_JS6_EEE10hipError_tPvRmT3_T4_T5_T6_T7_T9_mT8_P12ihipStream_tbDpT10_ENKUlT_T0_E_clISt17integral_constantIbLb0EES16_EEDaS11_S12_EUlS11_E_NS1_11comp_targetILNS1_3genE8ELNS1_11target_archE1030ELNS1_3gpuE2ELNS1_3repE0EEENS1_30default_config_static_selectorELNS0_4arch9wavefront6targetE0EEEvT1_,comdat
.Lfunc_end124:
	.size	_ZN7rocprim17ROCPRIM_400000_NS6detail17trampoline_kernelINS0_14default_configENS1_25partition_config_selectorILNS1_17partition_subalgoE5ElNS0_10empty_typeEbEEZZNS1_14partition_implILS5_5ELb0ES3_mN6hipcub16HIPCUB_304000_NS21CountingInputIteratorIllEEPS6_NSA_22TransformInputIteratorIb7NonZeroIsEPslEENS0_5tupleIJPlS6_EEENSJ_IJSD_SD_EEES6_SK_JS6_EEE10hipError_tPvRmT3_T4_T5_T6_T7_T9_mT8_P12ihipStream_tbDpT10_ENKUlT_T0_E_clISt17integral_constantIbLb0EES16_EEDaS11_S12_EUlS11_E_NS1_11comp_targetILNS1_3genE8ELNS1_11target_archE1030ELNS1_3gpuE2ELNS1_3repE0EEENS1_30default_config_static_selectorELNS0_4arch9wavefront6targetE0EEEvT1_, .Lfunc_end124-_ZN7rocprim17ROCPRIM_400000_NS6detail17trampoline_kernelINS0_14default_configENS1_25partition_config_selectorILNS1_17partition_subalgoE5ElNS0_10empty_typeEbEEZZNS1_14partition_implILS5_5ELb0ES3_mN6hipcub16HIPCUB_304000_NS21CountingInputIteratorIllEEPS6_NSA_22TransformInputIteratorIb7NonZeroIsEPslEENS0_5tupleIJPlS6_EEENSJ_IJSD_SD_EEES6_SK_JS6_EEE10hipError_tPvRmT3_T4_T5_T6_T7_T9_mT8_P12ihipStream_tbDpT10_ENKUlT_T0_E_clISt17integral_constantIbLb0EES16_EEDaS11_S12_EUlS11_E_NS1_11comp_targetILNS1_3genE8ELNS1_11target_archE1030ELNS1_3gpuE2ELNS1_3repE0EEENS1_30default_config_static_selectorELNS0_4arch9wavefront6targetE0EEEvT1_
                                        ; -- End function
	.section	.AMDGPU.csdata,"",@progbits
; Kernel info:
; codeLenInByte = 0
; NumSgprs: 0
; NumVgprs: 0
; ScratchSize: 0
; MemoryBound: 0
; FloatMode: 240
; IeeeMode: 1
; LDSByteSize: 0 bytes/workgroup (compile time only)
; SGPRBlocks: 0
; VGPRBlocks: 0
; NumSGPRsForWavesPerEU: 1
; NumVGPRsForWavesPerEU: 1
; Occupancy: 16
; WaveLimiterHint : 0
; COMPUTE_PGM_RSRC2:SCRATCH_EN: 0
; COMPUTE_PGM_RSRC2:USER_SGPR: 15
; COMPUTE_PGM_RSRC2:TRAP_HANDLER: 0
; COMPUTE_PGM_RSRC2:TGID_X_EN: 1
; COMPUTE_PGM_RSRC2:TGID_Y_EN: 0
; COMPUTE_PGM_RSRC2:TGID_Z_EN: 0
; COMPUTE_PGM_RSRC2:TIDIG_COMP_CNT: 0
	.section	.text._ZN7rocprim17ROCPRIM_400000_NS6detail17trampoline_kernelINS0_14default_configENS1_25partition_config_selectorILNS1_17partition_subalgoE5ElNS0_10empty_typeEbEEZZNS1_14partition_implILS5_5ELb0ES3_mN6hipcub16HIPCUB_304000_NS21CountingInputIteratorIllEEPS6_NSA_22TransformInputIteratorIb7NonZeroIsEPslEENS0_5tupleIJPlS6_EEENSJ_IJSD_SD_EEES6_SK_JS6_EEE10hipError_tPvRmT3_T4_T5_T6_T7_T9_mT8_P12ihipStream_tbDpT10_ENKUlT_T0_E_clISt17integral_constantIbLb1EES16_EEDaS11_S12_EUlS11_E_NS1_11comp_targetILNS1_3genE0ELNS1_11target_archE4294967295ELNS1_3gpuE0ELNS1_3repE0EEENS1_30default_config_static_selectorELNS0_4arch9wavefront6targetE0EEEvT1_,"axG",@progbits,_ZN7rocprim17ROCPRIM_400000_NS6detail17trampoline_kernelINS0_14default_configENS1_25partition_config_selectorILNS1_17partition_subalgoE5ElNS0_10empty_typeEbEEZZNS1_14partition_implILS5_5ELb0ES3_mN6hipcub16HIPCUB_304000_NS21CountingInputIteratorIllEEPS6_NSA_22TransformInputIteratorIb7NonZeroIsEPslEENS0_5tupleIJPlS6_EEENSJ_IJSD_SD_EEES6_SK_JS6_EEE10hipError_tPvRmT3_T4_T5_T6_T7_T9_mT8_P12ihipStream_tbDpT10_ENKUlT_T0_E_clISt17integral_constantIbLb1EES16_EEDaS11_S12_EUlS11_E_NS1_11comp_targetILNS1_3genE0ELNS1_11target_archE4294967295ELNS1_3gpuE0ELNS1_3repE0EEENS1_30default_config_static_selectorELNS0_4arch9wavefront6targetE0EEEvT1_,comdat
	.protected	_ZN7rocprim17ROCPRIM_400000_NS6detail17trampoline_kernelINS0_14default_configENS1_25partition_config_selectorILNS1_17partition_subalgoE5ElNS0_10empty_typeEbEEZZNS1_14partition_implILS5_5ELb0ES3_mN6hipcub16HIPCUB_304000_NS21CountingInputIteratorIllEEPS6_NSA_22TransformInputIteratorIb7NonZeroIsEPslEENS0_5tupleIJPlS6_EEENSJ_IJSD_SD_EEES6_SK_JS6_EEE10hipError_tPvRmT3_T4_T5_T6_T7_T9_mT8_P12ihipStream_tbDpT10_ENKUlT_T0_E_clISt17integral_constantIbLb1EES16_EEDaS11_S12_EUlS11_E_NS1_11comp_targetILNS1_3genE0ELNS1_11target_archE4294967295ELNS1_3gpuE0ELNS1_3repE0EEENS1_30default_config_static_selectorELNS0_4arch9wavefront6targetE0EEEvT1_ ; -- Begin function _ZN7rocprim17ROCPRIM_400000_NS6detail17trampoline_kernelINS0_14default_configENS1_25partition_config_selectorILNS1_17partition_subalgoE5ElNS0_10empty_typeEbEEZZNS1_14partition_implILS5_5ELb0ES3_mN6hipcub16HIPCUB_304000_NS21CountingInputIteratorIllEEPS6_NSA_22TransformInputIteratorIb7NonZeroIsEPslEENS0_5tupleIJPlS6_EEENSJ_IJSD_SD_EEES6_SK_JS6_EEE10hipError_tPvRmT3_T4_T5_T6_T7_T9_mT8_P12ihipStream_tbDpT10_ENKUlT_T0_E_clISt17integral_constantIbLb1EES16_EEDaS11_S12_EUlS11_E_NS1_11comp_targetILNS1_3genE0ELNS1_11target_archE4294967295ELNS1_3gpuE0ELNS1_3repE0EEENS1_30default_config_static_selectorELNS0_4arch9wavefront6targetE0EEEvT1_
	.globl	_ZN7rocprim17ROCPRIM_400000_NS6detail17trampoline_kernelINS0_14default_configENS1_25partition_config_selectorILNS1_17partition_subalgoE5ElNS0_10empty_typeEbEEZZNS1_14partition_implILS5_5ELb0ES3_mN6hipcub16HIPCUB_304000_NS21CountingInputIteratorIllEEPS6_NSA_22TransformInputIteratorIb7NonZeroIsEPslEENS0_5tupleIJPlS6_EEENSJ_IJSD_SD_EEES6_SK_JS6_EEE10hipError_tPvRmT3_T4_T5_T6_T7_T9_mT8_P12ihipStream_tbDpT10_ENKUlT_T0_E_clISt17integral_constantIbLb1EES16_EEDaS11_S12_EUlS11_E_NS1_11comp_targetILNS1_3genE0ELNS1_11target_archE4294967295ELNS1_3gpuE0ELNS1_3repE0EEENS1_30default_config_static_selectorELNS0_4arch9wavefront6targetE0EEEvT1_
	.p2align	8
	.type	_ZN7rocprim17ROCPRIM_400000_NS6detail17trampoline_kernelINS0_14default_configENS1_25partition_config_selectorILNS1_17partition_subalgoE5ElNS0_10empty_typeEbEEZZNS1_14partition_implILS5_5ELb0ES3_mN6hipcub16HIPCUB_304000_NS21CountingInputIteratorIllEEPS6_NSA_22TransformInputIteratorIb7NonZeroIsEPslEENS0_5tupleIJPlS6_EEENSJ_IJSD_SD_EEES6_SK_JS6_EEE10hipError_tPvRmT3_T4_T5_T6_T7_T9_mT8_P12ihipStream_tbDpT10_ENKUlT_T0_E_clISt17integral_constantIbLb1EES16_EEDaS11_S12_EUlS11_E_NS1_11comp_targetILNS1_3genE0ELNS1_11target_archE4294967295ELNS1_3gpuE0ELNS1_3repE0EEENS1_30default_config_static_selectorELNS0_4arch9wavefront6targetE0EEEvT1_,@function
_ZN7rocprim17ROCPRIM_400000_NS6detail17trampoline_kernelINS0_14default_configENS1_25partition_config_selectorILNS1_17partition_subalgoE5ElNS0_10empty_typeEbEEZZNS1_14partition_implILS5_5ELb0ES3_mN6hipcub16HIPCUB_304000_NS21CountingInputIteratorIllEEPS6_NSA_22TransformInputIteratorIb7NonZeroIsEPslEENS0_5tupleIJPlS6_EEENSJ_IJSD_SD_EEES6_SK_JS6_EEE10hipError_tPvRmT3_T4_T5_T6_T7_T9_mT8_P12ihipStream_tbDpT10_ENKUlT_T0_E_clISt17integral_constantIbLb1EES16_EEDaS11_S12_EUlS11_E_NS1_11comp_targetILNS1_3genE0ELNS1_11target_archE4294967295ELNS1_3gpuE0ELNS1_3repE0EEENS1_30default_config_static_selectorELNS0_4arch9wavefront6targetE0EEEvT1_: ; @_ZN7rocprim17ROCPRIM_400000_NS6detail17trampoline_kernelINS0_14default_configENS1_25partition_config_selectorILNS1_17partition_subalgoE5ElNS0_10empty_typeEbEEZZNS1_14partition_implILS5_5ELb0ES3_mN6hipcub16HIPCUB_304000_NS21CountingInputIteratorIllEEPS6_NSA_22TransformInputIteratorIb7NonZeroIsEPslEENS0_5tupleIJPlS6_EEENSJ_IJSD_SD_EEES6_SK_JS6_EEE10hipError_tPvRmT3_T4_T5_T6_T7_T9_mT8_P12ihipStream_tbDpT10_ENKUlT_T0_E_clISt17integral_constantIbLb1EES16_EEDaS11_S12_EUlS11_E_NS1_11comp_targetILNS1_3genE0ELNS1_11target_archE4294967295ELNS1_3gpuE0ELNS1_3repE0EEENS1_30default_config_static_selectorELNS0_4arch9wavefront6targetE0EEEvT1_
; %bb.0:
	.section	.rodata,"a",@progbits
	.p2align	6, 0x0
	.amdhsa_kernel _ZN7rocprim17ROCPRIM_400000_NS6detail17trampoline_kernelINS0_14default_configENS1_25partition_config_selectorILNS1_17partition_subalgoE5ElNS0_10empty_typeEbEEZZNS1_14partition_implILS5_5ELb0ES3_mN6hipcub16HIPCUB_304000_NS21CountingInputIteratorIllEEPS6_NSA_22TransformInputIteratorIb7NonZeroIsEPslEENS0_5tupleIJPlS6_EEENSJ_IJSD_SD_EEES6_SK_JS6_EEE10hipError_tPvRmT3_T4_T5_T6_T7_T9_mT8_P12ihipStream_tbDpT10_ENKUlT_T0_E_clISt17integral_constantIbLb1EES16_EEDaS11_S12_EUlS11_E_NS1_11comp_targetILNS1_3genE0ELNS1_11target_archE4294967295ELNS1_3gpuE0ELNS1_3repE0EEENS1_30default_config_static_selectorELNS0_4arch9wavefront6targetE0EEEvT1_
		.amdhsa_group_segment_fixed_size 0
		.amdhsa_private_segment_fixed_size 0
		.amdhsa_kernarg_size 136
		.amdhsa_user_sgpr_count 15
		.amdhsa_user_sgpr_dispatch_ptr 0
		.amdhsa_user_sgpr_queue_ptr 0
		.amdhsa_user_sgpr_kernarg_segment_ptr 1
		.amdhsa_user_sgpr_dispatch_id 0
		.amdhsa_user_sgpr_private_segment_size 0
		.amdhsa_wavefront_size32 1
		.amdhsa_uses_dynamic_stack 0
		.amdhsa_enable_private_segment 0
		.amdhsa_system_sgpr_workgroup_id_x 1
		.amdhsa_system_sgpr_workgroup_id_y 0
		.amdhsa_system_sgpr_workgroup_id_z 0
		.amdhsa_system_sgpr_workgroup_info 0
		.amdhsa_system_vgpr_workitem_id 0
		.amdhsa_next_free_vgpr 1
		.amdhsa_next_free_sgpr 1
		.amdhsa_reserve_vcc 0
		.amdhsa_float_round_mode_32 0
		.amdhsa_float_round_mode_16_64 0
		.amdhsa_float_denorm_mode_32 3
		.amdhsa_float_denorm_mode_16_64 3
		.amdhsa_dx10_clamp 1
		.amdhsa_ieee_mode 1
		.amdhsa_fp16_overflow 0
		.amdhsa_workgroup_processor_mode 1
		.amdhsa_memory_ordered 1
		.amdhsa_forward_progress 0
		.amdhsa_shared_vgpr_count 0
		.amdhsa_exception_fp_ieee_invalid_op 0
		.amdhsa_exception_fp_denorm_src 0
		.amdhsa_exception_fp_ieee_div_zero 0
		.amdhsa_exception_fp_ieee_overflow 0
		.amdhsa_exception_fp_ieee_underflow 0
		.amdhsa_exception_fp_ieee_inexact 0
		.amdhsa_exception_int_div_zero 0
	.end_amdhsa_kernel
	.section	.text._ZN7rocprim17ROCPRIM_400000_NS6detail17trampoline_kernelINS0_14default_configENS1_25partition_config_selectorILNS1_17partition_subalgoE5ElNS0_10empty_typeEbEEZZNS1_14partition_implILS5_5ELb0ES3_mN6hipcub16HIPCUB_304000_NS21CountingInputIteratorIllEEPS6_NSA_22TransformInputIteratorIb7NonZeroIsEPslEENS0_5tupleIJPlS6_EEENSJ_IJSD_SD_EEES6_SK_JS6_EEE10hipError_tPvRmT3_T4_T5_T6_T7_T9_mT8_P12ihipStream_tbDpT10_ENKUlT_T0_E_clISt17integral_constantIbLb1EES16_EEDaS11_S12_EUlS11_E_NS1_11comp_targetILNS1_3genE0ELNS1_11target_archE4294967295ELNS1_3gpuE0ELNS1_3repE0EEENS1_30default_config_static_selectorELNS0_4arch9wavefront6targetE0EEEvT1_,"axG",@progbits,_ZN7rocprim17ROCPRIM_400000_NS6detail17trampoline_kernelINS0_14default_configENS1_25partition_config_selectorILNS1_17partition_subalgoE5ElNS0_10empty_typeEbEEZZNS1_14partition_implILS5_5ELb0ES3_mN6hipcub16HIPCUB_304000_NS21CountingInputIteratorIllEEPS6_NSA_22TransformInputIteratorIb7NonZeroIsEPslEENS0_5tupleIJPlS6_EEENSJ_IJSD_SD_EEES6_SK_JS6_EEE10hipError_tPvRmT3_T4_T5_T6_T7_T9_mT8_P12ihipStream_tbDpT10_ENKUlT_T0_E_clISt17integral_constantIbLb1EES16_EEDaS11_S12_EUlS11_E_NS1_11comp_targetILNS1_3genE0ELNS1_11target_archE4294967295ELNS1_3gpuE0ELNS1_3repE0EEENS1_30default_config_static_selectorELNS0_4arch9wavefront6targetE0EEEvT1_,comdat
.Lfunc_end125:
	.size	_ZN7rocprim17ROCPRIM_400000_NS6detail17trampoline_kernelINS0_14default_configENS1_25partition_config_selectorILNS1_17partition_subalgoE5ElNS0_10empty_typeEbEEZZNS1_14partition_implILS5_5ELb0ES3_mN6hipcub16HIPCUB_304000_NS21CountingInputIteratorIllEEPS6_NSA_22TransformInputIteratorIb7NonZeroIsEPslEENS0_5tupleIJPlS6_EEENSJ_IJSD_SD_EEES6_SK_JS6_EEE10hipError_tPvRmT3_T4_T5_T6_T7_T9_mT8_P12ihipStream_tbDpT10_ENKUlT_T0_E_clISt17integral_constantIbLb1EES16_EEDaS11_S12_EUlS11_E_NS1_11comp_targetILNS1_3genE0ELNS1_11target_archE4294967295ELNS1_3gpuE0ELNS1_3repE0EEENS1_30default_config_static_selectorELNS0_4arch9wavefront6targetE0EEEvT1_, .Lfunc_end125-_ZN7rocprim17ROCPRIM_400000_NS6detail17trampoline_kernelINS0_14default_configENS1_25partition_config_selectorILNS1_17partition_subalgoE5ElNS0_10empty_typeEbEEZZNS1_14partition_implILS5_5ELb0ES3_mN6hipcub16HIPCUB_304000_NS21CountingInputIteratorIllEEPS6_NSA_22TransformInputIteratorIb7NonZeroIsEPslEENS0_5tupleIJPlS6_EEENSJ_IJSD_SD_EEES6_SK_JS6_EEE10hipError_tPvRmT3_T4_T5_T6_T7_T9_mT8_P12ihipStream_tbDpT10_ENKUlT_T0_E_clISt17integral_constantIbLb1EES16_EEDaS11_S12_EUlS11_E_NS1_11comp_targetILNS1_3genE0ELNS1_11target_archE4294967295ELNS1_3gpuE0ELNS1_3repE0EEENS1_30default_config_static_selectorELNS0_4arch9wavefront6targetE0EEEvT1_
                                        ; -- End function
	.section	.AMDGPU.csdata,"",@progbits
; Kernel info:
; codeLenInByte = 0
; NumSgprs: 0
; NumVgprs: 0
; ScratchSize: 0
; MemoryBound: 0
; FloatMode: 240
; IeeeMode: 1
; LDSByteSize: 0 bytes/workgroup (compile time only)
; SGPRBlocks: 0
; VGPRBlocks: 0
; NumSGPRsForWavesPerEU: 1
; NumVGPRsForWavesPerEU: 1
; Occupancy: 16
; WaveLimiterHint : 0
; COMPUTE_PGM_RSRC2:SCRATCH_EN: 0
; COMPUTE_PGM_RSRC2:USER_SGPR: 15
; COMPUTE_PGM_RSRC2:TRAP_HANDLER: 0
; COMPUTE_PGM_RSRC2:TGID_X_EN: 1
; COMPUTE_PGM_RSRC2:TGID_Y_EN: 0
; COMPUTE_PGM_RSRC2:TGID_Z_EN: 0
; COMPUTE_PGM_RSRC2:TIDIG_COMP_CNT: 0
	.section	.text._ZN7rocprim17ROCPRIM_400000_NS6detail17trampoline_kernelINS0_14default_configENS1_25partition_config_selectorILNS1_17partition_subalgoE5ElNS0_10empty_typeEbEEZZNS1_14partition_implILS5_5ELb0ES3_mN6hipcub16HIPCUB_304000_NS21CountingInputIteratorIllEEPS6_NSA_22TransformInputIteratorIb7NonZeroIsEPslEENS0_5tupleIJPlS6_EEENSJ_IJSD_SD_EEES6_SK_JS6_EEE10hipError_tPvRmT3_T4_T5_T6_T7_T9_mT8_P12ihipStream_tbDpT10_ENKUlT_T0_E_clISt17integral_constantIbLb1EES16_EEDaS11_S12_EUlS11_E_NS1_11comp_targetILNS1_3genE5ELNS1_11target_archE942ELNS1_3gpuE9ELNS1_3repE0EEENS1_30default_config_static_selectorELNS0_4arch9wavefront6targetE0EEEvT1_,"axG",@progbits,_ZN7rocprim17ROCPRIM_400000_NS6detail17trampoline_kernelINS0_14default_configENS1_25partition_config_selectorILNS1_17partition_subalgoE5ElNS0_10empty_typeEbEEZZNS1_14partition_implILS5_5ELb0ES3_mN6hipcub16HIPCUB_304000_NS21CountingInputIteratorIllEEPS6_NSA_22TransformInputIteratorIb7NonZeroIsEPslEENS0_5tupleIJPlS6_EEENSJ_IJSD_SD_EEES6_SK_JS6_EEE10hipError_tPvRmT3_T4_T5_T6_T7_T9_mT8_P12ihipStream_tbDpT10_ENKUlT_T0_E_clISt17integral_constantIbLb1EES16_EEDaS11_S12_EUlS11_E_NS1_11comp_targetILNS1_3genE5ELNS1_11target_archE942ELNS1_3gpuE9ELNS1_3repE0EEENS1_30default_config_static_selectorELNS0_4arch9wavefront6targetE0EEEvT1_,comdat
	.protected	_ZN7rocprim17ROCPRIM_400000_NS6detail17trampoline_kernelINS0_14default_configENS1_25partition_config_selectorILNS1_17partition_subalgoE5ElNS0_10empty_typeEbEEZZNS1_14partition_implILS5_5ELb0ES3_mN6hipcub16HIPCUB_304000_NS21CountingInputIteratorIllEEPS6_NSA_22TransformInputIteratorIb7NonZeroIsEPslEENS0_5tupleIJPlS6_EEENSJ_IJSD_SD_EEES6_SK_JS6_EEE10hipError_tPvRmT3_T4_T5_T6_T7_T9_mT8_P12ihipStream_tbDpT10_ENKUlT_T0_E_clISt17integral_constantIbLb1EES16_EEDaS11_S12_EUlS11_E_NS1_11comp_targetILNS1_3genE5ELNS1_11target_archE942ELNS1_3gpuE9ELNS1_3repE0EEENS1_30default_config_static_selectorELNS0_4arch9wavefront6targetE0EEEvT1_ ; -- Begin function _ZN7rocprim17ROCPRIM_400000_NS6detail17trampoline_kernelINS0_14default_configENS1_25partition_config_selectorILNS1_17partition_subalgoE5ElNS0_10empty_typeEbEEZZNS1_14partition_implILS5_5ELb0ES3_mN6hipcub16HIPCUB_304000_NS21CountingInputIteratorIllEEPS6_NSA_22TransformInputIteratorIb7NonZeroIsEPslEENS0_5tupleIJPlS6_EEENSJ_IJSD_SD_EEES6_SK_JS6_EEE10hipError_tPvRmT3_T4_T5_T6_T7_T9_mT8_P12ihipStream_tbDpT10_ENKUlT_T0_E_clISt17integral_constantIbLb1EES16_EEDaS11_S12_EUlS11_E_NS1_11comp_targetILNS1_3genE5ELNS1_11target_archE942ELNS1_3gpuE9ELNS1_3repE0EEENS1_30default_config_static_selectorELNS0_4arch9wavefront6targetE0EEEvT1_
	.globl	_ZN7rocprim17ROCPRIM_400000_NS6detail17trampoline_kernelINS0_14default_configENS1_25partition_config_selectorILNS1_17partition_subalgoE5ElNS0_10empty_typeEbEEZZNS1_14partition_implILS5_5ELb0ES3_mN6hipcub16HIPCUB_304000_NS21CountingInputIteratorIllEEPS6_NSA_22TransformInputIteratorIb7NonZeroIsEPslEENS0_5tupleIJPlS6_EEENSJ_IJSD_SD_EEES6_SK_JS6_EEE10hipError_tPvRmT3_T4_T5_T6_T7_T9_mT8_P12ihipStream_tbDpT10_ENKUlT_T0_E_clISt17integral_constantIbLb1EES16_EEDaS11_S12_EUlS11_E_NS1_11comp_targetILNS1_3genE5ELNS1_11target_archE942ELNS1_3gpuE9ELNS1_3repE0EEENS1_30default_config_static_selectorELNS0_4arch9wavefront6targetE0EEEvT1_
	.p2align	8
	.type	_ZN7rocprim17ROCPRIM_400000_NS6detail17trampoline_kernelINS0_14default_configENS1_25partition_config_selectorILNS1_17partition_subalgoE5ElNS0_10empty_typeEbEEZZNS1_14partition_implILS5_5ELb0ES3_mN6hipcub16HIPCUB_304000_NS21CountingInputIteratorIllEEPS6_NSA_22TransformInputIteratorIb7NonZeroIsEPslEENS0_5tupleIJPlS6_EEENSJ_IJSD_SD_EEES6_SK_JS6_EEE10hipError_tPvRmT3_T4_T5_T6_T7_T9_mT8_P12ihipStream_tbDpT10_ENKUlT_T0_E_clISt17integral_constantIbLb1EES16_EEDaS11_S12_EUlS11_E_NS1_11comp_targetILNS1_3genE5ELNS1_11target_archE942ELNS1_3gpuE9ELNS1_3repE0EEENS1_30default_config_static_selectorELNS0_4arch9wavefront6targetE0EEEvT1_,@function
_ZN7rocprim17ROCPRIM_400000_NS6detail17trampoline_kernelINS0_14default_configENS1_25partition_config_selectorILNS1_17partition_subalgoE5ElNS0_10empty_typeEbEEZZNS1_14partition_implILS5_5ELb0ES3_mN6hipcub16HIPCUB_304000_NS21CountingInputIteratorIllEEPS6_NSA_22TransformInputIteratorIb7NonZeroIsEPslEENS0_5tupleIJPlS6_EEENSJ_IJSD_SD_EEES6_SK_JS6_EEE10hipError_tPvRmT3_T4_T5_T6_T7_T9_mT8_P12ihipStream_tbDpT10_ENKUlT_T0_E_clISt17integral_constantIbLb1EES16_EEDaS11_S12_EUlS11_E_NS1_11comp_targetILNS1_3genE5ELNS1_11target_archE942ELNS1_3gpuE9ELNS1_3repE0EEENS1_30default_config_static_selectorELNS0_4arch9wavefront6targetE0EEEvT1_: ; @_ZN7rocprim17ROCPRIM_400000_NS6detail17trampoline_kernelINS0_14default_configENS1_25partition_config_selectorILNS1_17partition_subalgoE5ElNS0_10empty_typeEbEEZZNS1_14partition_implILS5_5ELb0ES3_mN6hipcub16HIPCUB_304000_NS21CountingInputIteratorIllEEPS6_NSA_22TransformInputIteratorIb7NonZeroIsEPslEENS0_5tupleIJPlS6_EEENSJ_IJSD_SD_EEES6_SK_JS6_EEE10hipError_tPvRmT3_T4_T5_T6_T7_T9_mT8_P12ihipStream_tbDpT10_ENKUlT_T0_E_clISt17integral_constantIbLb1EES16_EEDaS11_S12_EUlS11_E_NS1_11comp_targetILNS1_3genE5ELNS1_11target_archE942ELNS1_3gpuE9ELNS1_3repE0EEENS1_30default_config_static_selectorELNS0_4arch9wavefront6targetE0EEEvT1_
; %bb.0:
	.section	.rodata,"a",@progbits
	.p2align	6, 0x0
	.amdhsa_kernel _ZN7rocprim17ROCPRIM_400000_NS6detail17trampoline_kernelINS0_14default_configENS1_25partition_config_selectorILNS1_17partition_subalgoE5ElNS0_10empty_typeEbEEZZNS1_14partition_implILS5_5ELb0ES3_mN6hipcub16HIPCUB_304000_NS21CountingInputIteratorIllEEPS6_NSA_22TransformInputIteratorIb7NonZeroIsEPslEENS0_5tupleIJPlS6_EEENSJ_IJSD_SD_EEES6_SK_JS6_EEE10hipError_tPvRmT3_T4_T5_T6_T7_T9_mT8_P12ihipStream_tbDpT10_ENKUlT_T0_E_clISt17integral_constantIbLb1EES16_EEDaS11_S12_EUlS11_E_NS1_11comp_targetILNS1_3genE5ELNS1_11target_archE942ELNS1_3gpuE9ELNS1_3repE0EEENS1_30default_config_static_selectorELNS0_4arch9wavefront6targetE0EEEvT1_
		.amdhsa_group_segment_fixed_size 0
		.amdhsa_private_segment_fixed_size 0
		.amdhsa_kernarg_size 136
		.amdhsa_user_sgpr_count 15
		.amdhsa_user_sgpr_dispatch_ptr 0
		.amdhsa_user_sgpr_queue_ptr 0
		.amdhsa_user_sgpr_kernarg_segment_ptr 1
		.amdhsa_user_sgpr_dispatch_id 0
		.amdhsa_user_sgpr_private_segment_size 0
		.amdhsa_wavefront_size32 1
		.amdhsa_uses_dynamic_stack 0
		.amdhsa_enable_private_segment 0
		.amdhsa_system_sgpr_workgroup_id_x 1
		.amdhsa_system_sgpr_workgroup_id_y 0
		.amdhsa_system_sgpr_workgroup_id_z 0
		.amdhsa_system_sgpr_workgroup_info 0
		.amdhsa_system_vgpr_workitem_id 0
		.amdhsa_next_free_vgpr 1
		.amdhsa_next_free_sgpr 1
		.amdhsa_reserve_vcc 0
		.amdhsa_float_round_mode_32 0
		.amdhsa_float_round_mode_16_64 0
		.amdhsa_float_denorm_mode_32 3
		.amdhsa_float_denorm_mode_16_64 3
		.amdhsa_dx10_clamp 1
		.amdhsa_ieee_mode 1
		.amdhsa_fp16_overflow 0
		.amdhsa_workgroup_processor_mode 1
		.amdhsa_memory_ordered 1
		.amdhsa_forward_progress 0
		.amdhsa_shared_vgpr_count 0
		.amdhsa_exception_fp_ieee_invalid_op 0
		.amdhsa_exception_fp_denorm_src 0
		.amdhsa_exception_fp_ieee_div_zero 0
		.amdhsa_exception_fp_ieee_overflow 0
		.amdhsa_exception_fp_ieee_underflow 0
		.amdhsa_exception_fp_ieee_inexact 0
		.amdhsa_exception_int_div_zero 0
	.end_amdhsa_kernel
	.section	.text._ZN7rocprim17ROCPRIM_400000_NS6detail17trampoline_kernelINS0_14default_configENS1_25partition_config_selectorILNS1_17partition_subalgoE5ElNS0_10empty_typeEbEEZZNS1_14partition_implILS5_5ELb0ES3_mN6hipcub16HIPCUB_304000_NS21CountingInputIteratorIllEEPS6_NSA_22TransformInputIteratorIb7NonZeroIsEPslEENS0_5tupleIJPlS6_EEENSJ_IJSD_SD_EEES6_SK_JS6_EEE10hipError_tPvRmT3_T4_T5_T6_T7_T9_mT8_P12ihipStream_tbDpT10_ENKUlT_T0_E_clISt17integral_constantIbLb1EES16_EEDaS11_S12_EUlS11_E_NS1_11comp_targetILNS1_3genE5ELNS1_11target_archE942ELNS1_3gpuE9ELNS1_3repE0EEENS1_30default_config_static_selectorELNS0_4arch9wavefront6targetE0EEEvT1_,"axG",@progbits,_ZN7rocprim17ROCPRIM_400000_NS6detail17trampoline_kernelINS0_14default_configENS1_25partition_config_selectorILNS1_17partition_subalgoE5ElNS0_10empty_typeEbEEZZNS1_14partition_implILS5_5ELb0ES3_mN6hipcub16HIPCUB_304000_NS21CountingInputIteratorIllEEPS6_NSA_22TransformInputIteratorIb7NonZeroIsEPslEENS0_5tupleIJPlS6_EEENSJ_IJSD_SD_EEES6_SK_JS6_EEE10hipError_tPvRmT3_T4_T5_T6_T7_T9_mT8_P12ihipStream_tbDpT10_ENKUlT_T0_E_clISt17integral_constantIbLb1EES16_EEDaS11_S12_EUlS11_E_NS1_11comp_targetILNS1_3genE5ELNS1_11target_archE942ELNS1_3gpuE9ELNS1_3repE0EEENS1_30default_config_static_selectorELNS0_4arch9wavefront6targetE0EEEvT1_,comdat
.Lfunc_end126:
	.size	_ZN7rocprim17ROCPRIM_400000_NS6detail17trampoline_kernelINS0_14default_configENS1_25partition_config_selectorILNS1_17partition_subalgoE5ElNS0_10empty_typeEbEEZZNS1_14partition_implILS5_5ELb0ES3_mN6hipcub16HIPCUB_304000_NS21CountingInputIteratorIllEEPS6_NSA_22TransformInputIteratorIb7NonZeroIsEPslEENS0_5tupleIJPlS6_EEENSJ_IJSD_SD_EEES6_SK_JS6_EEE10hipError_tPvRmT3_T4_T5_T6_T7_T9_mT8_P12ihipStream_tbDpT10_ENKUlT_T0_E_clISt17integral_constantIbLb1EES16_EEDaS11_S12_EUlS11_E_NS1_11comp_targetILNS1_3genE5ELNS1_11target_archE942ELNS1_3gpuE9ELNS1_3repE0EEENS1_30default_config_static_selectorELNS0_4arch9wavefront6targetE0EEEvT1_, .Lfunc_end126-_ZN7rocprim17ROCPRIM_400000_NS6detail17trampoline_kernelINS0_14default_configENS1_25partition_config_selectorILNS1_17partition_subalgoE5ElNS0_10empty_typeEbEEZZNS1_14partition_implILS5_5ELb0ES3_mN6hipcub16HIPCUB_304000_NS21CountingInputIteratorIllEEPS6_NSA_22TransformInputIteratorIb7NonZeroIsEPslEENS0_5tupleIJPlS6_EEENSJ_IJSD_SD_EEES6_SK_JS6_EEE10hipError_tPvRmT3_T4_T5_T6_T7_T9_mT8_P12ihipStream_tbDpT10_ENKUlT_T0_E_clISt17integral_constantIbLb1EES16_EEDaS11_S12_EUlS11_E_NS1_11comp_targetILNS1_3genE5ELNS1_11target_archE942ELNS1_3gpuE9ELNS1_3repE0EEENS1_30default_config_static_selectorELNS0_4arch9wavefront6targetE0EEEvT1_
                                        ; -- End function
	.section	.AMDGPU.csdata,"",@progbits
; Kernel info:
; codeLenInByte = 0
; NumSgprs: 0
; NumVgprs: 0
; ScratchSize: 0
; MemoryBound: 0
; FloatMode: 240
; IeeeMode: 1
; LDSByteSize: 0 bytes/workgroup (compile time only)
; SGPRBlocks: 0
; VGPRBlocks: 0
; NumSGPRsForWavesPerEU: 1
; NumVGPRsForWavesPerEU: 1
; Occupancy: 16
; WaveLimiterHint : 0
; COMPUTE_PGM_RSRC2:SCRATCH_EN: 0
; COMPUTE_PGM_RSRC2:USER_SGPR: 15
; COMPUTE_PGM_RSRC2:TRAP_HANDLER: 0
; COMPUTE_PGM_RSRC2:TGID_X_EN: 1
; COMPUTE_PGM_RSRC2:TGID_Y_EN: 0
; COMPUTE_PGM_RSRC2:TGID_Z_EN: 0
; COMPUTE_PGM_RSRC2:TIDIG_COMP_CNT: 0
	.section	.text._ZN7rocprim17ROCPRIM_400000_NS6detail17trampoline_kernelINS0_14default_configENS1_25partition_config_selectorILNS1_17partition_subalgoE5ElNS0_10empty_typeEbEEZZNS1_14partition_implILS5_5ELb0ES3_mN6hipcub16HIPCUB_304000_NS21CountingInputIteratorIllEEPS6_NSA_22TransformInputIteratorIb7NonZeroIsEPslEENS0_5tupleIJPlS6_EEENSJ_IJSD_SD_EEES6_SK_JS6_EEE10hipError_tPvRmT3_T4_T5_T6_T7_T9_mT8_P12ihipStream_tbDpT10_ENKUlT_T0_E_clISt17integral_constantIbLb1EES16_EEDaS11_S12_EUlS11_E_NS1_11comp_targetILNS1_3genE4ELNS1_11target_archE910ELNS1_3gpuE8ELNS1_3repE0EEENS1_30default_config_static_selectorELNS0_4arch9wavefront6targetE0EEEvT1_,"axG",@progbits,_ZN7rocprim17ROCPRIM_400000_NS6detail17trampoline_kernelINS0_14default_configENS1_25partition_config_selectorILNS1_17partition_subalgoE5ElNS0_10empty_typeEbEEZZNS1_14partition_implILS5_5ELb0ES3_mN6hipcub16HIPCUB_304000_NS21CountingInputIteratorIllEEPS6_NSA_22TransformInputIteratorIb7NonZeroIsEPslEENS0_5tupleIJPlS6_EEENSJ_IJSD_SD_EEES6_SK_JS6_EEE10hipError_tPvRmT3_T4_T5_T6_T7_T9_mT8_P12ihipStream_tbDpT10_ENKUlT_T0_E_clISt17integral_constantIbLb1EES16_EEDaS11_S12_EUlS11_E_NS1_11comp_targetILNS1_3genE4ELNS1_11target_archE910ELNS1_3gpuE8ELNS1_3repE0EEENS1_30default_config_static_selectorELNS0_4arch9wavefront6targetE0EEEvT1_,comdat
	.protected	_ZN7rocprim17ROCPRIM_400000_NS6detail17trampoline_kernelINS0_14default_configENS1_25partition_config_selectorILNS1_17partition_subalgoE5ElNS0_10empty_typeEbEEZZNS1_14partition_implILS5_5ELb0ES3_mN6hipcub16HIPCUB_304000_NS21CountingInputIteratorIllEEPS6_NSA_22TransformInputIteratorIb7NonZeroIsEPslEENS0_5tupleIJPlS6_EEENSJ_IJSD_SD_EEES6_SK_JS6_EEE10hipError_tPvRmT3_T4_T5_T6_T7_T9_mT8_P12ihipStream_tbDpT10_ENKUlT_T0_E_clISt17integral_constantIbLb1EES16_EEDaS11_S12_EUlS11_E_NS1_11comp_targetILNS1_3genE4ELNS1_11target_archE910ELNS1_3gpuE8ELNS1_3repE0EEENS1_30default_config_static_selectorELNS0_4arch9wavefront6targetE0EEEvT1_ ; -- Begin function _ZN7rocprim17ROCPRIM_400000_NS6detail17trampoline_kernelINS0_14default_configENS1_25partition_config_selectorILNS1_17partition_subalgoE5ElNS0_10empty_typeEbEEZZNS1_14partition_implILS5_5ELb0ES3_mN6hipcub16HIPCUB_304000_NS21CountingInputIteratorIllEEPS6_NSA_22TransformInputIteratorIb7NonZeroIsEPslEENS0_5tupleIJPlS6_EEENSJ_IJSD_SD_EEES6_SK_JS6_EEE10hipError_tPvRmT3_T4_T5_T6_T7_T9_mT8_P12ihipStream_tbDpT10_ENKUlT_T0_E_clISt17integral_constantIbLb1EES16_EEDaS11_S12_EUlS11_E_NS1_11comp_targetILNS1_3genE4ELNS1_11target_archE910ELNS1_3gpuE8ELNS1_3repE0EEENS1_30default_config_static_selectorELNS0_4arch9wavefront6targetE0EEEvT1_
	.globl	_ZN7rocprim17ROCPRIM_400000_NS6detail17trampoline_kernelINS0_14default_configENS1_25partition_config_selectorILNS1_17partition_subalgoE5ElNS0_10empty_typeEbEEZZNS1_14partition_implILS5_5ELb0ES3_mN6hipcub16HIPCUB_304000_NS21CountingInputIteratorIllEEPS6_NSA_22TransformInputIteratorIb7NonZeroIsEPslEENS0_5tupleIJPlS6_EEENSJ_IJSD_SD_EEES6_SK_JS6_EEE10hipError_tPvRmT3_T4_T5_T6_T7_T9_mT8_P12ihipStream_tbDpT10_ENKUlT_T0_E_clISt17integral_constantIbLb1EES16_EEDaS11_S12_EUlS11_E_NS1_11comp_targetILNS1_3genE4ELNS1_11target_archE910ELNS1_3gpuE8ELNS1_3repE0EEENS1_30default_config_static_selectorELNS0_4arch9wavefront6targetE0EEEvT1_
	.p2align	8
	.type	_ZN7rocprim17ROCPRIM_400000_NS6detail17trampoline_kernelINS0_14default_configENS1_25partition_config_selectorILNS1_17partition_subalgoE5ElNS0_10empty_typeEbEEZZNS1_14partition_implILS5_5ELb0ES3_mN6hipcub16HIPCUB_304000_NS21CountingInputIteratorIllEEPS6_NSA_22TransformInputIteratorIb7NonZeroIsEPslEENS0_5tupleIJPlS6_EEENSJ_IJSD_SD_EEES6_SK_JS6_EEE10hipError_tPvRmT3_T4_T5_T6_T7_T9_mT8_P12ihipStream_tbDpT10_ENKUlT_T0_E_clISt17integral_constantIbLb1EES16_EEDaS11_S12_EUlS11_E_NS1_11comp_targetILNS1_3genE4ELNS1_11target_archE910ELNS1_3gpuE8ELNS1_3repE0EEENS1_30default_config_static_selectorELNS0_4arch9wavefront6targetE0EEEvT1_,@function
_ZN7rocprim17ROCPRIM_400000_NS6detail17trampoline_kernelINS0_14default_configENS1_25partition_config_selectorILNS1_17partition_subalgoE5ElNS0_10empty_typeEbEEZZNS1_14partition_implILS5_5ELb0ES3_mN6hipcub16HIPCUB_304000_NS21CountingInputIteratorIllEEPS6_NSA_22TransformInputIteratorIb7NonZeroIsEPslEENS0_5tupleIJPlS6_EEENSJ_IJSD_SD_EEES6_SK_JS6_EEE10hipError_tPvRmT3_T4_T5_T6_T7_T9_mT8_P12ihipStream_tbDpT10_ENKUlT_T0_E_clISt17integral_constantIbLb1EES16_EEDaS11_S12_EUlS11_E_NS1_11comp_targetILNS1_3genE4ELNS1_11target_archE910ELNS1_3gpuE8ELNS1_3repE0EEENS1_30default_config_static_selectorELNS0_4arch9wavefront6targetE0EEEvT1_: ; @_ZN7rocprim17ROCPRIM_400000_NS6detail17trampoline_kernelINS0_14default_configENS1_25partition_config_selectorILNS1_17partition_subalgoE5ElNS0_10empty_typeEbEEZZNS1_14partition_implILS5_5ELb0ES3_mN6hipcub16HIPCUB_304000_NS21CountingInputIteratorIllEEPS6_NSA_22TransformInputIteratorIb7NonZeroIsEPslEENS0_5tupleIJPlS6_EEENSJ_IJSD_SD_EEES6_SK_JS6_EEE10hipError_tPvRmT3_T4_T5_T6_T7_T9_mT8_P12ihipStream_tbDpT10_ENKUlT_T0_E_clISt17integral_constantIbLb1EES16_EEDaS11_S12_EUlS11_E_NS1_11comp_targetILNS1_3genE4ELNS1_11target_archE910ELNS1_3gpuE8ELNS1_3repE0EEENS1_30default_config_static_selectorELNS0_4arch9wavefront6targetE0EEEvT1_
; %bb.0:
	.section	.rodata,"a",@progbits
	.p2align	6, 0x0
	.amdhsa_kernel _ZN7rocprim17ROCPRIM_400000_NS6detail17trampoline_kernelINS0_14default_configENS1_25partition_config_selectorILNS1_17partition_subalgoE5ElNS0_10empty_typeEbEEZZNS1_14partition_implILS5_5ELb0ES3_mN6hipcub16HIPCUB_304000_NS21CountingInputIteratorIllEEPS6_NSA_22TransformInputIteratorIb7NonZeroIsEPslEENS0_5tupleIJPlS6_EEENSJ_IJSD_SD_EEES6_SK_JS6_EEE10hipError_tPvRmT3_T4_T5_T6_T7_T9_mT8_P12ihipStream_tbDpT10_ENKUlT_T0_E_clISt17integral_constantIbLb1EES16_EEDaS11_S12_EUlS11_E_NS1_11comp_targetILNS1_3genE4ELNS1_11target_archE910ELNS1_3gpuE8ELNS1_3repE0EEENS1_30default_config_static_selectorELNS0_4arch9wavefront6targetE0EEEvT1_
		.amdhsa_group_segment_fixed_size 0
		.amdhsa_private_segment_fixed_size 0
		.amdhsa_kernarg_size 136
		.amdhsa_user_sgpr_count 15
		.amdhsa_user_sgpr_dispatch_ptr 0
		.amdhsa_user_sgpr_queue_ptr 0
		.amdhsa_user_sgpr_kernarg_segment_ptr 1
		.amdhsa_user_sgpr_dispatch_id 0
		.amdhsa_user_sgpr_private_segment_size 0
		.amdhsa_wavefront_size32 1
		.amdhsa_uses_dynamic_stack 0
		.amdhsa_enable_private_segment 0
		.amdhsa_system_sgpr_workgroup_id_x 1
		.amdhsa_system_sgpr_workgroup_id_y 0
		.amdhsa_system_sgpr_workgroup_id_z 0
		.amdhsa_system_sgpr_workgroup_info 0
		.amdhsa_system_vgpr_workitem_id 0
		.amdhsa_next_free_vgpr 1
		.amdhsa_next_free_sgpr 1
		.amdhsa_reserve_vcc 0
		.amdhsa_float_round_mode_32 0
		.amdhsa_float_round_mode_16_64 0
		.amdhsa_float_denorm_mode_32 3
		.amdhsa_float_denorm_mode_16_64 3
		.amdhsa_dx10_clamp 1
		.amdhsa_ieee_mode 1
		.amdhsa_fp16_overflow 0
		.amdhsa_workgroup_processor_mode 1
		.amdhsa_memory_ordered 1
		.amdhsa_forward_progress 0
		.amdhsa_shared_vgpr_count 0
		.amdhsa_exception_fp_ieee_invalid_op 0
		.amdhsa_exception_fp_denorm_src 0
		.amdhsa_exception_fp_ieee_div_zero 0
		.amdhsa_exception_fp_ieee_overflow 0
		.amdhsa_exception_fp_ieee_underflow 0
		.amdhsa_exception_fp_ieee_inexact 0
		.amdhsa_exception_int_div_zero 0
	.end_amdhsa_kernel
	.section	.text._ZN7rocprim17ROCPRIM_400000_NS6detail17trampoline_kernelINS0_14default_configENS1_25partition_config_selectorILNS1_17partition_subalgoE5ElNS0_10empty_typeEbEEZZNS1_14partition_implILS5_5ELb0ES3_mN6hipcub16HIPCUB_304000_NS21CountingInputIteratorIllEEPS6_NSA_22TransformInputIteratorIb7NonZeroIsEPslEENS0_5tupleIJPlS6_EEENSJ_IJSD_SD_EEES6_SK_JS6_EEE10hipError_tPvRmT3_T4_T5_T6_T7_T9_mT8_P12ihipStream_tbDpT10_ENKUlT_T0_E_clISt17integral_constantIbLb1EES16_EEDaS11_S12_EUlS11_E_NS1_11comp_targetILNS1_3genE4ELNS1_11target_archE910ELNS1_3gpuE8ELNS1_3repE0EEENS1_30default_config_static_selectorELNS0_4arch9wavefront6targetE0EEEvT1_,"axG",@progbits,_ZN7rocprim17ROCPRIM_400000_NS6detail17trampoline_kernelINS0_14default_configENS1_25partition_config_selectorILNS1_17partition_subalgoE5ElNS0_10empty_typeEbEEZZNS1_14partition_implILS5_5ELb0ES3_mN6hipcub16HIPCUB_304000_NS21CountingInputIteratorIllEEPS6_NSA_22TransformInputIteratorIb7NonZeroIsEPslEENS0_5tupleIJPlS6_EEENSJ_IJSD_SD_EEES6_SK_JS6_EEE10hipError_tPvRmT3_T4_T5_T6_T7_T9_mT8_P12ihipStream_tbDpT10_ENKUlT_T0_E_clISt17integral_constantIbLb1EES16_EEDaS11_S12_EUlS11_E_NS1_11comp_targetILNS1_3genE4ELNS1_11target_archE910ELNS1_3gpuE8ELNS1_3repE0EEENS1_30default_config_static_selectorELNS0_4arch9wavefront6targetE0EEEvT1_,comdat
.Lfunc_end127:
	.size	_ZN7rocprim17ROCPRIM_400000_NS6detail17trampoline_kernelINS0_14default_configENS1_25partition_config_selectorILNS1_17partition_subalgoE5ElNS0_10empty_typeEbEEZZNS1_14partition_implILS5_5ELb0ES3_mN6hipcub16HIPCUB_304000_NS21CountingInputIteratorIllEEPS6_NSA_22TransformInputIteratorIb7NonZeroIsEPslEENS0_5tupleIJPlS6_EEENSJ_IJSD_SD_EEES6_SK_JS6_EEE10hipError_tPvRmT3_T4_T5_T6_T7_T9_mT8_P12ihipStream_tbDpT10_ENKUlT_T0_E_clISt17integral_constantIbLb1EES16_EEDaS11_S12_EUlS11_E_NS1_11comp_targetILNS1_3genE4ELNS1_11target_archE910ELNS1_3gpuE8ELNS1_3repE0EEENS1_30default_config_static_selectorELNS0_4arch9wavefront6targetE0EEEvT1_, .Lfunc_end127-_ZN7rocprim17ROCPRIM_400000_NS6detail17trampoline_kernelINS0_14default_configENS1_25partition_config_selectorILNS1_17partition_subalgoE5ElNS0_10empty_typeEbEEZZNS1_14partition_implILS5_5ELb0ES3_mN6hipcub16HIPCUB_304000_NS21CountingInputIteratorIllEEPS6_NSA_22TransformInputIteratorIb7NonZeroIsEPslEENS0_5tupleIJPlS6_EEENSJ_IJSD_SD_EEES6_SK_JS6_EEE10hipError_tPvRmT3_T4_T5_T6_T7_T9_mT8_P12ihipStream_tbDpT10_ENKUlT_T0_E_clISt17integral_constantIbLb1EES16_EEDaS11_S12_EUlS11_E_NS1_11comp_targetILNS1_3genE4ELNS1_11target_archE910ELNS1_3gpuE8ELNS1_3repE0EEENS1_30default_config_static_selectorELNS0_4arch9wavefront6targetE0EEEvT1_
                                        ; -- End function
	.section	.AMDGPU.csdata,"",@progbits
; Kernel info:
; codeLenInByte = 0
; NumSgprs: 0
; NumVgprs: 0
; ScratchSize: 0
; MemoryBound: 0
; FloatMode: 240
; IeeeMode: 1
; LDSByteSize: 0 bytes/workgroup (compile time only)
; SGPRBlocks: 0
; VGPRBlocks: 0
; NumSGPRsForWavesPerEU: 1
; NumVGPRsForWavesPerEU: 1
; Occupancy: 15
; WaveLimiterHint : 0
; COMPUTE_PGM_RSRC2:SCRATCH_EN: 0
; COMPUTE_PGM_RSRC2:USER_SGPR: 15
; COMPUTE_PGM_RSRC2:TRAP_HANDLER: 0
; COMPUTE_PGM_RSRC2:TGID_X_EN: 1
; COMPUTE_PGM_RSRC2:TGID_Y_EN: 0
; COMPUTE_PGM_RSRC2:TGID_Z_EN: 0
; COMPUTE_PGM_RSRC2:TIDIG_COMP_CNT: 0
	.section	.text._ZN7rocprim17ROCPRIM_400000_NS6detail17trampoline_kernelINS0_14default_configENS1_25partition_config_selectorILNS1_17partition_subalgoE5ElNS0_10empty_typeEbEEZZNS1_14partition_implILS5_5ELb0ES3_mN6hipcub16HIPCUB_304000_NS21CountingInputIteratorIllEEPS6_NSA_22TransformInputIteratorIb7NonZeroIsEPslEENS0_5tupleIJPlS6_EEENSJ_IJSD_SD_EEES6_SK_JS6_EEE10hipError_tPvRmT3_T4_T5_T6_T7_T9_mT8_P12ihipStream_tbDpT10_ENKUlT_T0_E_clISt17integral_constantIbLb1EES16_EEDaS11_S12_EUlS11_E_NS1_11comp_targetILNS1_3genE3ELNS1_11target_archE908ELNS1_3gpuE7ELNS1_3repE0EEENS1_30default_config_static_selectorELNS0_4arch9wavefront6targetE0EEEvT1_,"axG",@progbits,_ZN7rocprim17ROCPRIM_400000_NS6detail17trampoline_kernelINS0_14default_configENS1_25partition_config_selectorILNS1_17partition_subalgoE5ElNS0_10empty_typeEbEEZZNS1_14partition_implILS5_5ELb0ES3_mN6hipcub16HIPCUB_304000_NS21CountingInputIteratorIllEEPS6_NSA_22TransformInputIteratorIb7NonZeroIsEPslEENS0_5tupleIJPlS6_EEENSJ_IJSD_SD_EEES6_SK_JS6_EEE10hipError_tPvRmT3_T4_T5_T6_T7_T9_mT8_P12ihipStream_tbDpT10_ENKUlT_T0_E_clISt17integral_constantIbLb1EES16_EEDaS11_S12_EUlS11_E_NS1_11comp_targetILNS1_3genE3ELNS1_11target_archE908ELNS1_3gpuE7ELNS1_3repE0EEENS1_30default_config_static_selectorELNS0_4arch9wavefront6targetE0EEEvT1_,comdat
	.protected	_ZN7rocprim17ROCPRIM_400000_NS6detail17trampoline_kernelINS0_14default_configENS1_25partition_config_selectorILNS1_17partition_subalgoE5ElNS0_10empty_typeEbEEZZNS1_14partition_implILS5_5ELb0ES3_mN6hipcub16HIPCUB_304000_NS21CountingInputIteratorIllEEPS6_NSA_22TransformInputIteratorIb7NonZeroIsEPslEENS0_5tupleIJPlS6_EEENSJ_IJSD_SD_EEES6_SK_JS6_EEE10hipError_tPvRmT3_T4_T5_T6_T7_T9_mT8_P12ihipStream_tbDpT10_ENKUlT_T0_E_clISt17integral_constantIbLb1EES16_EEDaS11_S12_EUlS11_E_NS1_11comp_targetILNS1_3genE3ELNS1_11target_archE908ELNS1_3gpuE7ELNS1_3repE0EEENS1_30default_config_static_selectorELNS0_4arch9wavefront6targetE0EEEvT1_ ; -- Begin function _ZN7rocprim17ROCPRIM_400000_NS6detail17trampoline_kernelINS0_14default_configENS1_25partition_config_selectorILNS1_17partition_subalgoE5ElNS0_10empty_typeEbEEZZNS1_14partition_implILS5_5ELb0ES3_mN6hipcub16HIPCUB_304000_NS21CountingInputIteratorIllEEPS6_NSA_22TransformInputIteratorIb7NonZeroIsEPslEENS0_5tupleIJPlS6_EEENSJ_IJSD_SD_EEES6_SK_JS6_EEE10hipError_tPvRmT3_T4_T5_T6_T7_T9_mT8_P12ihipStream_tbDpT10_ENKUlT_T0_E_clISt17integral_constantIbLb1EES16_EEDaS11_S12_EUlS11_E_NS1_11comp_targetILNS1_3genE3ELNS1_11target_archE908ELNS1_3gpuE7ELNS1_3repE0EEENS1_30default_config_static_selectorELNS0_4arch9wavefront6targetE0EEEvT1_
	.globl	_ZN7rocprim17ROCPRIM_400000_NS6detail17trampoline_kernelINS0_14default_configENS1_25partition_config_selectorILNS1_17partition_subalgoE5ElNS0_10empty_typeEbEEZZNS1_14partition_implILS5_5ELb0ES3_mN6hipcub16HIPCUB_304000_NS21CountingInputIteratorIllEEPS6_NSA_22TransformInputIteratorIb7NonZeroIsEPslEENS0_5tupleIJPlS6_EEENSJ_IJSD_SD_EEES6_SK_JS6_EEE10hipError_tPvRmT3_T4_T5_T6_T7_T9_mT8_P12ihipStream_tbDpT10_ENKUlT_T0_E_clISt17integral_constantIbLb1EES16_EEDaS11_S12_EUlS11_E_NS1_11comp_targetILNS1_3genE3ELNS1_11target_archE908ELNS1_3gpuE7ELNS1_3repE0EEENS1_30default_config_static_selectorELNS0_4arch9wavefront6targetE0EEEvT1_
	.p2align	8
	.type	_ZN7rocprim17ROCPRIM_400000_NS6detail17trampoline_kernelINS0_14default_configENS1_25partition_config_selectorILNS1_17partition_subalgoE5ElNS0_10empty_typeEbEEZZNS1_14partition_implILS5_5ELb0ES3_mN6hipcub16HIPCUB_304000_NS21CountingInputIteratorIllEEPS6_NSA_22TransformInputIteratorIb7NonZeroIsEPslEENS0_5tupleIJPlS6_EEENSJ_IJSD_SD_EEES6_SK_JS6_EEE10hipError_tPvRmT3_T4_T5_T6_T7_T9_mT8_P12ihipStream_tbDpT10_ENKUlT_T0_E_clISt17integral_constantIbLb1EES16_EEDaS11_S12_EUlS11_E_NS1_11comp_targetILNS1_3genE3ELNS1_11target_archE908ELNS1_3gpuE7ELNS1_3repE0EEENS1_30default_config_static_selectorELNS0_4arch9wavefront6targetE0EEEvT1_,@function
_ZN7rocprim17ROCPRIM_400000_NS6detail17trampoline_kernelINS0_14default_configENS1_25partition_config_selectorILNS1_17partition_subalgoE5ElNS0_10empty_typeEbEEZZNS1_14partition_implILS5_5ELb0ES3_mN6hipcub16HIPCUB_304000_NS21CountingInputIteratorIllEEPS6_NSA_22TransformInputIteratorIb7NonZeroIsEPslEENS0_5tupleIJPlS6_EEENSJ_IJSD_SD_EEES6_SK_JS6_EEE10hipError_tPvRmT3_T4_T5_T6_T7_T9_mT8_P12ihipStream_tbDpT10_ENKUlT_T0_E_clISt17integral_constantIbLb1EES16_EEDaS11_S12_EUlS11_E_NS1_11comp_targetILNS1_3genE3ELNS1_11target_archE908ELNS1_3gpuE7ELNS1_3repE0EEENS1_30default_config_static_selectorELNS0_4arch9wavefront6targetE0EEEvT1_: ; @_ZN7rocprim17ROCPRIM_400000_NS6detail17trampoline_kernelINS0_14default_configENS1_25partition_config_selectorILNS1_17partition_subalgoE5ElNS0_10empty_typeEbEEZZNS1_14partition_implILS5_5ELb0ES3_mN6hipcub16HIPCUB_304000_NS21CountingInputIteratorIllEEPS6_NSA_22TransformInputIteratorIb7NonZeroIsEPslEENS0_5tupleIJPlS6_EEENSJ_IJSD_SD_EEES6_SK_JS6_EEE10hipError_tPvRmT3_T4_T5_T6_T7_T9_mT8_P12ihipStream_tbDpT10_ENKUlT_T0_E_clISt17integral_constantIbLb1EES16_EEDaS11_S12_EUlS11_E_NS1_11comp_targetILNS1_3genE3ELNS1_11target_archE908ELNS1_3gpuE7ELNS1_3repE0EEENS1_30default_config_static_selectorELNS0_4arch9wavefront6targetE0EEEvT1_
; %bb.0:
	.section	.rodata,"a",@progbits
	.p2align	6, 0x0
	.amdhsa_kernel _ZN7rocprim17ROCPRIM_400000_NS6detail17trampoline_kernelINS0_14default_configENS1_25partition_config_selectorILNS1_17partition_subalgoE5ElNS0_10empty_typeEbEEZZNS1_14partition_implILS5_5ELb0ES3_mN6hipcub16HIPCUB_304000_NS21CountingInputIteratorIllEEPS6_NSA_22TransformInputIteratorIb7NonZeroIsEPslEENS0_5tupleIJPlS6_EEENSJ_IJSD_SD_EEES6_SK_JS6_EEE10hipError_tPvRmT3_T4_T5_T6_T7_T9_mT8_P12ihipStream_tbDpT10_ENKUlT_T0_E_clISt17integral_constantIbLb1EES16_EEDaS11_S12_EUlS11_E_NS1_11comp_targetILNS1_3genE3ELNS1_11target_archE908ELNS1_3gpuE7ELNS1_3repE0EEENS1_30default_config_static_selectorELNS0_4arch9wavefront6targetE0EEEvT1_
		.amdhsa_group_segment_fixed_size 0
		.amdhsa_private_segment_fixed_size 0
		.amdhsa_kernarg_size 136
		.amdhsa_user_sgpr_count 15
		.amdhsa_user_sgpr_dispatch_ptr 0
		.amdhsa_user_sgpr_queue_ptr 0
		.amdhsa_user_sgpr_kernarg_segment_ptr 1
		.amdhsa_user_sgpr_dispatch_id 0
		.amdhsa_user_sgpr_private_segment_size 0
		.amdhsa_wavefront_size32 1
		.amdhsa_uses_dynamic_stack 0
		.amdhsa_enable_private_segment 0
		.amdhsa_system_sgpr_workgroup_id_x 1
		.amdhsa_system_sgpr_workgroup_id_y 0
		.amdhsa_system_sgpr_workgroup_id_z 0
		.amdhsa_system_sgpr_workgroup_info 0
		.amdhsa_system_vgpr_workitem_id 0
		.amdhsa_next_free_vgpr 1
		.amdhsa_next_free_sgpr 1
		.amdhsa_reserve_vcc 0
		.amdhsa_float_round_mode_32 0
		.amdhsa_float_round_mode_16_64 0
		.amdhsa_float_denorm_mode_32 3
		.amdhsa_float_denorm_mode_16_64 3
		.amdhsa_dx10_clamp 1
		.amdhsa_ieee_mode 1
		.amdhsa_fp16_overflow 0
		.amdhsa_workgroup_processor_mode 1
		.amdhsa_memory_ordered 1
		.amdhsa_forward_progress 0
		.amdhsa_shared_vgpr_count 0
		.amdhsa_exception_fp_ieee_invalid_op 0
		.amdhsa_exception_fp_denorm_src 0
		.amdhsa_exception_fp_ieee_div_zero 0
		.amdhsa_exception_fp_ieee_overflow 0
		.amdhsa_exception_fp_ieee_underflow 0
		.amdhsa_exception_fp_ieee_inexact 0
		.amdhsa_exception_int_div_zero 0
	.end_amdhsa_kernel
	.section	.text._ZN7rocprim17ROCPRIM_400000_NS6detail17trampoline_kernelINS0_14default_configENS1_25partition_config_selectorILNS1_17partition_subalgoE5ElNS0_10empty_typeEbEEZZNS1_14partition_implILS5_5ELb0ES3_mN6hipcub16HIPCUB_304000_NS21CountingInputIteratorIllEEPS6_NSA_22TransformInputIteratorIb7NonZeroIsEPslEENS0_5tupleIJPlS6_EEENSJ_IJSD_SD_EEES6_SK_JS6_EEE10hipError_tPvRmT3_T4_T5_T6_T7_T9_mT8_P12ihipStream_tbDpT10_ENKUlT_T0_E_clISt17integral_constantIbLb1EES16_EEDaS11_S12_EUlS11_E_NS1_11comp_targetILNS1_3genE3ELNS1_11target_archE908ELNS1_3gpuE7ELNS1_3repE0EEENS1_30default_config_static_selectorELNS0_4arch9wavefront6targetE0EEEvT1_,"axG",@progbits,_ZN7rocprim17ROCPRIM_400000_NS6detail17trampoline_kernelINS0_14default_configENS1_25partition_config_selectorILNS1_17partition_subalgoE5ElNS0_10empty_typeEbEEZZNS1_14partition_implILS5_5ELb0ES3_mN6hipcub16HIPCUB_304000_NS21CountingInputIteratorIllEEPS6_NSA_22TransformInputIteratorIb7NonZeroIsEPslEENS0_5tupleIJPlS6_EEENSJ_IJSD_SD_EEES6_SK_JS6_EEE10hipError_tPvRmT3_T4_T5_T6_T7_T9_mT8_P12ihipStream_tbDpT10_ENKUlT_T0_E_clISt17integral_constantIbLb1EES16_EEDaS11_S12_EUlS11_E_NS1_11comp_targetILNS1_3genE3ELNS1_11target_archE908ELNS1_3gpuE7ELNS1_3repE0EEENS1_30default_config_static_selectorELNS0_4arch9wavefront6targetE0EEEvT1_,comdat
.Lfunc_end128:
	.size	_ZN7rocprim17ROCPRIM_400000_NS6detail17trampoline_kernelINS0_14default_configENS1_25partition_config_selectorILNS1_17partition_subalgoE5ElNS0_10empty_typeEbEEZZNS1_14partition_implILS5_5ELb0ES3_mN6hipcub16HIPCUB_304000_NS21CountingInputIteratorIllEEPS6_NSA_22TransformInputIteratorIb7NonZeroIsEPslEENS0_5tupleIJPlS6_EEENSJ_IJSD_SD_EEES6_SK_JS6_EEE10hipError_tPvRmT3_T4_T5_T6_T7_T9_mT8_P12ihipStream_tbDpT10_ENKUlT_T0_E_clISt17integral_constantIbLb1EES16_EEDaS11_S12_EUlS11_E_NS1_11comp_targetILNS1_3genE3ELNS1_11target_archE908ELNS1_3gpuE7ELNS1_3repE0EEENS1_30default_config_static_selectorELNS0_4arch9wavefront6targetE0EEEvT1_, .Lfunc_end128-_ZN7rocprim17ROCPRIM_400000_NS6detail17trampoline_kernelINS0_14default_configENS1_25partition_config_selectorILNS1_17partition_subalgoE5ElNS0_10empty_typeEbEEZZNS1_14partition_implILS5_5ELb0ES3_mN6hipcub16HIPCUB_304000_NS21CountingInputIteratorIllEEPS6_NSA_22TransformInputIteratorIb7NonZeroIsEPslEENS0_5tupleIJPlS6_EEENSJ_IJSD_SD_EEES6_SK_JS6_EEE10hipError_tPvRmT3_T4_T5_T6_T7_T9_mT8_P12ihipStream_tbDpT10_ENKUlT_T0_E_clISt17integral_constantIbLb1EES16_EEDaS11_S12_EUlS11_E_NS1_11comp_targetILNS1_3genE3ELNS1_11target_archE908ELNS1_3gpuE7ELNS1_3repE0EEENS1_30default_config_static_selectorELNS0_4arch9wavefront6targetE0EEEvT1_
                                        ; -- End function
	.section	.AMDGPU.csdata,"",@progbits
; Kernel info:
; codeLenInByte = 0
; NumSgprs: 0
; NumVgprs: 0
; ScratchSize: 0
; MemoryBound: 0
; FloatMode: 240
; IeeeMode: 1
; LDSByteSize: 0 bytes/workgroup (compile time only)
; SGPRBlocks: 0
; VGPRBlocks: 0
; NumSGPRsForWavesPerEU: 1
; NumVGPRsForWavesPerEU: 1
; Occupancy: 16
; WaveLimiterHint : 0
; COMPUTE_PGM_RSRC2:SCRATCH_EN: 0
; COMPUTE_PGM_RSRC2:USER_SGPR: 15
; COMPUTE_PGM_RSRC2:TRAP_HANDLER: 0
; COMPUTE_PGM_RSRC2:TGID_X_EN: 1
; COMPUTE_PGM_RSRC2:TGID_Y_EN: 0
; COMPUTE_PGM_RSRC2:TGID_Z_EN: 0
; COMPUTE_PGM_RSRC2:TIDIG_COMP_CNT: 0
	.section	.text._ZN7rocprim17ROCPRIM_400000_NS6detail17trampoline_kernelINS0_14default_configENS1_25partition_config_selectorILNS1_17partition_subalgoE5ElNS0_10empty_typeEbEEZZNS1_14partition_implILS5_5ELb0ES3_mN6hipcub16HIPCUB_304000_NS21CountingInputIteratorIllEEPS6_NSA_22TransformInputIteratorIb7NonZeroIsEPslEENS0_5tupleIJPlS6_EEENSJ_IJSD_SD_EEES6_SK_JS6_EEE10hipError_tPvRmT3_T4_T5_T6_T7_T9_mT8_P12ihipStream_tbDpT10_ENKUlT_T0_E_clISt17integral_constantIbLb1EES16_EEDaS11_S12_EUlS11_E_NS1_11comp_targetILNS1_3genE2ELNS1_11target_archE906ELNS1_3gpuE6ELNS1_3repE0EEENS1_30default_config_static_selectorELNS0_4arch9wavefront6targetE0EEEvT1_,"axG",@progbits,_ZN7rocprim17ROCPRIM_400000_NS6detail17trampoline_kernelINS0_14default_configENS1_25partition_config_selectorILNS1_17partition_subalgoE5ElNS0_10empty_typeEbEEZZNS1_14partition_implILS5_5ELb0ES3_mN6hipcub16HIPCUB_304000_NS21CountingInputIteratorIllEEPS6_NSA_22TransformInputIteratorIb7NonZeroIsEPslEENS0_5tupleIJPlS6_EEENSJ_IJSD_SD_EEES6_SK_JS6_EEE10hipError_tPvRmT3_T4_T5_T6_T7_T9_mT8_P12ihipStream_tbDpT10_ENKUlT_T0_E_clISt17integral_constantIbLb1EES16_EEDaS11_S12_EUlS11_E_NS1_11comp_targetILNS1_3genE2ELNS1_11target_archE906ELNS1_3gpuE6ELNS1_3repE0EEENS1_30default_config_static_selectorELNS0_4arch9wavefront6targetE0EEEvT1_,comdat
	.protected	_ZN7rocprim17ROCPRIM_400000_NS6detail17trampoline_kernelINS0_14default_configENS1_25partition_config_selectorILNS1_17partition_subalgoE5ElNS0_10empty_typeEbEEZZNS1_14partition_implILS5_5ELb0ES3_mN6hipcub16HIPCUB_304000_NS21CountingInputIteratorIllEEPS6_NSA_22TransformInputIteratorIb7NonZeroIsEPslEENS0_5tupleIJPlS6_EEENSJ_IJSD_SD_EEES6_SK_JS6_EEE10hipError_tPvRmT3_T4_T5_T6_T7_T9_mT8_P12ihipStream_tbDpT10_ENKUlT_T0_E_clISt17integral_constantIbLb1EES16_EEDaS11_S12_EUlS11_E_NS1_11comp_targetILNS1_3genE2ELNS1_11target_archE906ELNS1_3gpuE6ELNS1_3repE0EEENS1_30default_config_static_selectorELNS0_4arch9wavefront6targetE0EEEvT1_ ; -- Begin function _ZN7rocprim17ROCPRIM_400000_NS6detail17trampoline_kernelINS0_14default_configENS1_25partition_config_selectorILNS1_17partition_subalgoE5ElNS0_10empty_typeEbEEZZNS1_14partition_implILS5_5ELb0ES3_mN6hipcub16HIPCUB_304000_NS21CountingInputIteratorIllEEPS6_NSA_22TransformInputIteratorIb7NonZeroIsEPslEENS0_5tupleIJPlS6_EEENSJ_IJSD_SD_EEES6_SK_JS6_EEE10hipError_tPvRmT3_T4_T5_T6_T7_T9_mT8_P12ihipStream_tbDpT10_ENKUlT_T0_E_clISt17integral_constantIbLb1EES16_EEDaS11_S12_EUlS11_E_NS1_11comp_targetILNS1_3genE2ELNS1_11target_archE906ELNS1_3gpuE6ELNS1_3repE0EEENS1_30default_config_static_selectorELNS0_4arch9wavefront6targetE0EEEvT1_
	.globl	_ZN7rocprim17ROCPRIM_400000_NS6detail17trampoline_kernelINS0_14default_configENS1_25partition_config_selectorILNS1_17partition_subalgoE5ElNS0_10empty_typeEbEEZZNS1_14partition_implILS5_5ELb0ES3_mN6hipcub16HIPCUB_304000_NS21CountingInputIteratorIllEEPS6_NSA_22TransformInputIteratorIb7NonZeroIsEPslEENS0_5tupleIJPlS6_EEENSJ_IJSD_SD_EEES6_SK_JS6_EEE10hipError_tPvRmT3_T4_T5_T6_T7_T9_mT8_P12ihipStream_tbDpT10_ENKUlT_T0_E_clISt17integral_constantIbLb1EES16_EEDaS11_S12_EUlS11_E_NS1_11comp_targetILNS1_3genE2ELNS1_11target_archE906ELNS1_3gpuE6ELNS1_3repE0EEENS1_30default_config_static_selectorELNS0_4arch9wavefront6targetE0EEEvT1_
	.p2align	8
	.type	_ZN7rocprim17ROCPRIM_400000_NS6detail17trampoline_kernelINS0_14default_configENS1_25partition_config_selectorILNS1_17partition_subalgoE5ElNS0_10empty_typeEbEEZZNS1_14partition_implILS5_5ELb0ES3_mN6hipcub16HIPCUB_304000_NS21CountingInputIteratorIllEEPS6_NSA_22TransformInputIteratorIb7NonZeroIsEPslEENS0_5tupleIJPlS6_EEENSJ_IJSD_SD_EEES6_SK_JS6_EEE10hipError_tPvRmT3_T4_T5_T6_T7_T9_mT8_P12ihipStream_tbDpT10_ENKUlT_T0_E_clISt17integral_constantIbLb1EES16_EEDaS11_S12_EUlS11_E_NS1_11comp_targetILNS1_3genE2ELNS1_11target_archE906ELNS1_3gpuE6ELNS1_3repE0EEENS1_30default_config_static_selectorELNS0_4arch9wavefront6targetE0EEEvT1_,@function
_ZN7rocprim17ROCPRIM_400000_NS6detail17trampoline_kernelINS0_14default_configENS1_25partition_config_selectorILNS1_17partition_subalgoE5ElNS0_10empty_typeEbEEZZNS1_14partition_implILS5_5ELb0ES3_mN6hipcub16HIPCUB_304000_NS21CountingInputIteratorIllEEPS6_NSA_22TransformInputIteratorIb7NonZeroIsEPslEENS0_5tupleIJPlS6_EEENSJ_IJSD_SD_EEES6_SK_JS6_EEE10hipError_tPvRmT3_T4_T5_T6_T7_T9_mT8_P12ihipStream_tbDpT10_ENKUlT_T0_E_clISt17integral_constantIbLb1EES16_EEDaS11_S12_EUlS11_E_NS1_11comp_targetILNS1_3genE2ELNS1_11target_archE906ELNS1_3gpuE6ELNS1_3repE0EEENS1_30default_config_static_selectorELNS0_4arch9wavefront6targetE0EEEvT1_: ; @_ZN7rocprim17ROCPRIM_400000_NS6detail17trampoline_kernelINS0_14default_configENS1_25partition_config_selectorILNS1_17partition_subalgoE5ElNS0_10empty_typeEbEEZZNS1_14partition_implILS5_5ELb0ES3_mN6hipcub16HIPCUB_304000_NS21CountingInputIteratorIllEEPS6_NSA_22TransformInputIteratorIb7NonZeroIsEPslEENS0_5tupleIJPlS6_EEENSJ_IJSD_SD_EEES6_SK_JS6_EEE10hipError_tPvRmT3_T4_T5_T6_T7_T9_mT8_P12ihipStream_tbDpT10_ENKUlT_T0_E_clISt17integral_constantIbLb1EES16_EEDaS11_S12_EUlS11_E_NS1_11comp_targetILNS1_3genE2ELNS1_11target_archE906ELNS1_3gpuE6ELNS1_3repE0EEENS1_30default_config_static_selectorELNS0_4arch9wavefront6targetE0EEEvT1_
; %bb.0:
	.section	.rodata,"a",@progbits
	.p2align	6, 0x0
	.amdhsa_kernel _ZN7rocprim17ROCPRIM_400000_NS6detail17trampoline_kernelINS0_14default_configENS1_25partition_config_selectorILNS1_17partition_subalgoE5ElNS0_10empty_typeEbEEZZNS1_14partition_implILS5_5ELb0ES3_mN6hipcub16HIPCUB_304000_NS21CountingInputIteratorIllEEPS6_NSA_22TransformInputIteratorIb7NonZeroIsEPslEENS0_5tupleIJPlS6_EEENSJ_IJSD_SD_EEES6_SK_JS6_EEE10hipError_tPvRmT3_T4_T5_T6_T7_T9_mT8_P12ihipStream_tbDpT10_ENKUlT_T0_E_clISt17integral_constantIbLb1EES16_EEDaS11_S12_EUlS11_E_NS1_11comp_targetILNS1_3genE2ELNS1_11target_archE906ELNS1_3gpuE6ELNS1_3repE0EEENS1_30default_config_static_selectorELNS0_4arch9wavefront6targetE0EEEvT1_
		.amdhsa_group_segment_fixed_size 0
		.amdhsa_private_segment_fixed_size 0
		.amdhsa_kernarg_size 136
		.amdhsa_user_sgpr_count 15
		.amdhsa_user_sgpr_dispatch_ptr 0
		.amdhsa_user_sgpr_queue_ptr 0
		.amdhsa_user_sgpr_kernarg_segment_ptr 1
		.amdhsa_user_sgpr_dispatch_id 0
		.amdhsa_user_sgpr_private_segment_size 0
		.amdhsa_wavefront_size32 1
		.amdhsa_uses_dynamic_stack 0
		.amdhsa_enable_private_segment 0
		.amdhsa_system_sgpr_workgroup_id_x 1
		.amdhsa_system_sgpr_workgroup_id_y 0
		.amdhsa_system_sgpr_workgroup_id_z 0
		.amdhsa_system_sgpr_workgroup_info 0
		.amdhsa_system_vgpr_workitem_id 0
		.amdhsa_next_free_vgpr 1
		.amdhsa_next_free_sgpr 1
		.amdhsa_reserve_vcc 0
		.amdhsa_float_round_mode_32 0
		.amdhsa_float_round_mode_16_64 0
		.amdhsa_float_denorm_mode_32 3
		.amdhsa_float_denorm_mode_16_64 3
		.amdhsa_dx10_clamp 1
		.amdhsa_ieee_mode 1
		.amdhsa_fp16_overflow 0
		.amdhsa_workgroup_processor_mode 1
		.amdhsa_memory_ordered 1
		.amdhsa_forward_progress 0
		.amdhsa_shared_vgpr_count 0
		.amdhsa_exception_fp_ieee_invalid_op 0
		.amdhsa_exception_fp_denorm_src 0
		.amdhsa_exception_fp_ieee_div_zero 0
		.amdhsa_exception_fp_ieee_overflow 0
		.amdhsa_exception_fp_ieee_underflow 0
		.amdhsa_exception_fp_ieee_inexact 0
		.amdhsa_exception_int_div_zero 0
	.end_amdhsa_kernel
	.section	.text._ZN7rocprim17ROCPRIM_400000_NS6detail17trampoline_kernelINS0_14default_configENS1_25partition_config_selectorILNS1_17partition_subalgoE5ElNS0_10empty_typeEbEEZZNS1_14partition_implILS5_5ELb0ES3_mN6hipcub16HIPCUB_304000_NS21CountingInputIteratorIllEEPS6_NSA_22TransformInputIteratorIb7NonZeroIsEPslEENS0_5tupleIJPlS6_EEENSJ_IJSD_SD_EEES6_SK_JS6_EEE10hipError_tPvRmT3_T4_T5_T6_T7_T9_mT8_P12ihipStream_tbDpT10_ENKUlT_T0_E_clISt17integral_constantIbLb1EES16_EEDaS11_S12_EUlS11_E_NS1_11comp_targetILNS1_3genE2ELNS1_11target_archE906ELNS1_3gpuE6ELNS1_3repE0EEENS1_30default_config_static_selectorELNS0_4arch9wavefront6targetE0EEEvT1_,"axG",@progbits,_ZN7rocprim17ROCPRIM_400000_NS6detail17trampoline_kernelINS0_14default_configENS1_25partition_config_selectorILNS1_17partition_subalgoE5ElNS0_10empty_typeEbEEZZNS1_14partition_implILS5_5ELb0ES3_mN6hipcub16HIPCUB_304000_NS21CountingInputIteratorIllEEPS6_NSA_22TransformInputIteratorIb7NonZeroIsEPslEENS0_5tupleIJPlS6_EEENSJ_IJSD_SD_EEES6_SK_JS6_EEE10hipError_tPvRmT3_T4_T5_T6_T7_T9_mT8_P12ihipStream_tbDpT10_ENKUlT_T0_E_clISt17integral_constantIbLb1EES16_EEDaS11_S12_EUlS11_E_NS1_11comp_targetILNS1_3genE2ELNS1_11target_archE906ELNS1_3gpuE6ELNS1_3repE0EEENS1_30default_config_static_selectorELNS0_4arch9wavefront6targetE0EEEvT1_,comdat
.Lfunc_end129:
	.size	_ZN7rocprim17ROCPRIM_400000_NS6detail17trampoline_kernelINS0_14default_configENS1_25partition_config_selectorILNS1_17partition_subalgoE5ElNS0_10empty_typeEbEEZZNS1_14partition_implILS5_5ELb0ES3_mN6hipcub16HIPCUB_304000_NS21CountingInputIteratorIllEEPS6_NSA_22TransformInputIteratorIb7NonZeroIsEPslEENS0_5tupleIJPlS6_EEENSJ_IJSD_SD_EEES6_SK_JS6_EEE10hipError_tPvRmT3_T4_T5_T6_T7_T9_mT8_P12ihipStream_tbDpT10_ENKUlT_T0_E_clISt17integral_constantIbLb1EES16_EEDaS11_S12_EUlS11_E_NS1_11comp_targetILNS1_3genE2ELNS1_11target_archE906ELNS1_3gpuE6ELNS1_3repE0EEENS1_30default_config_static_selectorELNS0_4arch9wavefront6targetE0EEEvT1_, .Lfunc_end129-_ZN7rocprim17ROCPRIM_400000_NS6detail17trampoline_kernelINS0_14default_configENS1_25partition_config_selectorILNS1_17partition_subalgoE5ElNS0_10empty_typeEbEEZZNS1_14partition_implILS5_5ELb0ES3_mN6hipcub16HIPCUB_304000_NS21CountingInputIteratorIllEEPS6_NSA_22TransformInputIteratorIb7NonZeroIsEPslEENS0_5tupleIJPlS6_EEENSJ_IJSD_SD_EEES6_SK_JS6_EEE10hipError_tPvRmT3_T4_T5_T6_T7_T9_mT8_P12ihipStream_tbDpT10_ENKUlT_T0_E_clISt17integral_constantIbLb1EES16_EEDaS11_S12_EUlS11_E_NS1_11comp_targetILNS1_3genE2ELNS1_11target_archE906ELNS1_3gpuE6ELNS1_3repE0EEENS1_30default_config_static_selectorELNS0_4arch9wavefront6targetE0EEEvT1_
                                        ; -- End function
	.section	.AMDGPU.csdata,"",@progbits
; Kernel info:
; codeLenInByte = 0
; NumSgprs: 0
; NumVgprs: 0
; ScratchSize: 0
; MemoryBound: 0
; FloatMode: 240
; IeeeMode: 1
; LDSByteSize: 0 bytes/workgroup (compile time only)
; SGPRBlocks: 0
; VGPRBlocks: 0
; NumSGPRsForWavesPerEU: 1
; NumVGPRsForWavesPerEU: 1
; Occupancy: 16
; WaveLimiterHint : 0
; COMPUTE_PGM_RSRC2:SCRATCH_EN: 0
; COMPUTE_PGM_RSRC2:USER_SGPR: 15
; COMPUTE_PGM_RSRC2:TRAP_HANDLER: 0
; COMPUTE_PGM_RSRC2:TGID_X_EN: 1
; COMPUTE_PGM_RSRC2:TGID_Y_EN: 0
; COMPUTE_PGM_RSRC2:TGID_Z_EN: 0
; COMPUTE_PGM_RSRC2:TIDIG_COMP_CNT: 0
	.section	.text._ZN7rocprim17ROCPRIM_400000_NS6detail17trampoline_kernelINS0_14default_configENS1_25partition_config_selectorILNS1_17partition_subalgoE5ElNS0_10empty_typeEbEEZZNS1_14partition_implILS5_5ELb0ES3_mN6hipcub16HIPCUB_304000_NS21CountingInputIteratorIllEEPS6_NSA_22TransformInputIteratorIb7NonZeroIsEPslEENS0_5tupleIJPlS6_EEENSJ_IJSD_SD_EEES6_SK_JS6_EEE10hipError_tPvRmT3_T4_T5_T6_T7_T9_mT8_P12ihipStream_tbDpT10_ENKUlT_T0_E_clISt17integral_constantIbLb1EES16_EEDaS11_S12_EUlS11_E_NS1_11comp_targetILNS1_3genE10ELNS1_11target_archE1200ELNS1_3gpuE4ELNS1_3repE0EEENS1_30default_config_static_selectorELNS0_4arch9wavefront6targetE0EEEvT1_,"axG",@progbits,_ZN7rocprim17ROCPRIM_400000_NS6detail17trampoline_kernelINS0_14default_configENS1_25partition_config_selectorILNS1_17partition_subalgoE5ElNS0_10empty_typeEbEEZZNS1_14partition_implILS5_5ELb0ES3_mN6hipcub16HIPCUB_304000_NS21CountingInputIteratorIllEEPS6_NSA_22TransformInputIteratorIb7NonZeroIsEPslEENS0_5tupleIJPlS6_EEENSJ_IJSD_SD_EEES6_SK_JS6_EEE10hipError_tPvRmT3_T4_T5_T6_T7_T9_mT8_P12ihipStream_tbDpT10_ENKUlT_T0_E_clISt17integral_constantIbLb1EES16_EEDaS11_S12_EUlS11_E_NS1_11comp_targetILNS1_3genE10ELNS1_11target_archE1200ELNS1_3gpuE4ELNS1_3repE0EEENS1_30default_config_static_selectorELNS0_4arch9wavefront6targetE0EEEvT1_,comdat
	.protected	_ZN7rocprim17ROCPRIM_400000_NS6detail17trampoline_kernelINS0_14default_configENS1_25partition_config_selectorILNS1_17partition_subalgoE5ElNS0_10empty_typeEbEEZZNS1_14partition_implILS5_5ELb0ES3_mN6hipcub16HIPCUB_304000_NS21CountingInputIteratorIllEEPS6_NSA_22TransformInputIteratorIb7NonZeroIsEPslEENS0_5tupleIJPlS6_EEENSJ_IJSD_SD_EEES6_SK_JS6_EEE10hipError_tPvRmT3_T4_T5_T6_T7_T9_mT8_P12ihipStream_tbDpT10_ENKUlT_T0_E_clISt17integral_constantIbLb1EES16_EEDaS11_S12_EUlS11_E_NS1_11comp_targetILNS1_3genE10ELNS1_11target_archE1200ELNS1_3gpuE4ELNS1_3repE0EEENS1_30default_config_static_selectorELNS0_4arch9wavefront6targetE0EEEvT1_ ; -- Begin function _ZN7rocprim17ROCPRIM_400000_NS6detail17trampoline_kernelINS0_14default_configENS1_25partition_config_selectorILNS1_17partition_subalgoE5ElNS0_10empty_typeEbEEZZNS1_14partition_implILS5_5ELb0ES3_mN6hipcub16HIPCUB_304000_NS21CountingInputIteratorIllEEPS6_NSA_22TransformInputIteratorIb7NonZeroIsEPslEENS0_5tupleIJPlS6_EEENSJ_IJSD_SD_EEES6_SK_JS6_EEE10hipError_tPvRmT3_T4_T5_T6_T7_T9_mT8_P12ihipStream_tbDpT10_ENKUlT_T0_E_clISt17integral_constantIbLb1EES16_EEDaS11_S12_EUlS11_E_NS1_11comp_targetILNS1_3genE10ELNS1_11target_archE1200ELNS1_3gpuE4ELNS1_3repE0EEENS1_30default_config_static_selectorELNS0_4arch9wavefront6targetE0EEEvT1_
	.globl	_ZN7rocprim17ROCPRIM_400000_NS6detail17trampoline_kernelINS0_14default_configENS1_25partition_config_selectorILNS1_17partition_subalgoE5ElNS0_10empty_typeEbEEZZNS1_14partition_implILS5_5ELb0ES3_mN6hipcub16HIPCUB_304000_NS21CountingInputIteratorIllEEPS6_NSA_22TransformInputIteratorIb7NonZeroIsEPslEENS0_5tupleIJPlS6_EEENSJ_IJSD_SD_EEES6_SK_JS6_EEE10hipError_tPvRmT3_T4_T5_T6_T7_T9_mT8_P12ihipStream_tbDpT10_ENKUlT_T0_E_clISt17integral_constantIbLb1EES16_EEDaS11_S12_EUlS11_E_NS1_11comp_targetILNS1_3genE10ELNS1_11target_archE1200ELNS1_3gpuE4ELNS1_3repE0EEENS1_30default_config_static_selectorELNS0_4arch9wavefront6targetE0EEEvT1_
	.p2align	8
	.type	_ZN7rocprim17ROCPRIM_400000_NS6detail17trampoline_kernelINS0_14default_configENS1_25partition_config_selectorILNS1_17partition_subalgoE5ElNS0_10empty_typeEbEEZZNS1_14partition_implILS5_5ELb0ES3_mN6hipcub16HIPCUB_304000_NS21CountingInputIteratorIllEEPS6_NSA_22TransformInputIteratorIb7NonZeroIsEPslEENS0_5tupleIJPlS6_EEENSJ_IJSD_SD_EEES6_SK_JS6_EEE10hipError_tPvRmT3_T4_T5_T6_T7_T9_mT8_P12ihipStream_tbDpT10_ENKUlT_T0_E_clISt17integral_constantIbLb1EES16_EEDaS11_S12_EUlS11_E_NS1_11comp_targetILNS1_3genE10ELNS1_11target_archE1200ELNS1_3gpuE4ELNS1_3repE0EEENS1_30default_config_static_selectorELNS0_4arch9wavefront6targetE0EEEvT1_,@function
_ZN7rocprim17ROCPRIM_400000_NS6detail17trampoline_kernelINS0_14default_configENS1_25partition_config_selectorILNS1_17partition_subalgoE5ElNS0_10empty_typeEbEEZZNS1_14partition_implILS5_5ELb0ES3_mN6hipcub16HIPCUB_304000_NS21CountingInputIteratorIllEEPS6_NSA_22TransformInputIteratorIb7NonZeroIsEPslEENS0_5tupleIJPlS6_EEENSJ_IJSD_SD_EEES6_SK_JS6_EEE10hipError_tPvRmT3_T4_T5_T6_T7_T9_mT8_P12ihipStream_tbDpT10_ENKUlT_T0_E_clISt17integral_constantIbLb1EES16_EEDaS11_S12_EUlS11_E_NS1_11comp_targetILNS1_3genE10ELNS1_11target_archE1200ELNS1_3gpuE4ELNS1_3repE0EEENS1_30default_config_static_selectorELNS0_4arch9wavefront6targetE0EEEvT1_: ; @_ZN7rocprim17ROCPRIM_400000_NS6detail17trampoline_kernelINS0_14default_configENS1_25partition_config_selectorILNS1_17partition_subalgoE5ElNS0_10empty_typeEbEEZZNS1_14partition_implILS5_5ELb0ES3_mN6hipcub16HIPCUB_304000_NS21CountingInputIteratorIllEEPS6_NSA_22TransformInputIteratorIb7NonZeroIsEPslEENS0_5tupleIJPlS6_EEENSJ_IJSD_SD_EEES6_SK_JS6_EEE10hipError_tPvRmT3_T4_T5_T6_T7_T9_mT8_P12ihipStream_tbDpT10_ENKUlT_T0_E_clISt17integral_constantIbLb1EES16_EEDaS11_S12_EUlS11_E_NS1_11comp_targetILNS1_3genE10ELNS1_11target_archE1200ELNS1_3gpuE4ELNS1_3repE0EEENS1_30default_config_static_selectorELNS0_4arch9wavefront6targetE0EEEvT1_
; %bb.0:
	.section	.rodata,"a",@progbits
	.p2align	6, 0x0
	.amdhsa_kernel _ZN7rocprim17ROCPRIM_400000_NS6detail17trampoline_kernelINS0_14default_configENS1_25partition_config_selectorILNS1_17partition_subalgoE5ElNS0_10empty_typeEbEEZZNS1_14partition_implILS5_5ELb0ES3_mN6hipcub16HIPCUB_304000_NS21CountingInputIteratorIllEEPS6_NSA_22TransformInputIteratorIb7NonZeroIsEPslEENS0_5tupleIJPlS6_EEENSJ_IJSD_SD_EEES6_SK_JS6_EEE10hipError_tPvRmT3_T4_T5_T6_T7_T9_mT8_P12ihipStream_tbDpT10_ENKUlT_T0_E_clISt17integral_constantIbLb1EES16_EEDaS11_S12_EUlS11_E_NS1_11comp_targetILNS1_3genE10ELNS1_11target_archE1200ELNS1_3gpuE4ELNS1_3repE0EEENS1_30default_config_static_selectorELNS0_4arch9wavefront6targetE0EEEvT1_
		.amdhsa_group_segment_fixed_size 0
		.amdhsa_private_segment_fixed_size 0
		.amdhsa_kernarg_size 136
		.amdhsa_user_sgpr_count 15
		.amdhsa_user_sgpr_dispatch_ptr 0
		.amdhsa_user_sgpr_queue_ptr 0
		.amdhsa_user_sgpr_kernarg_segment_ptr 1
		.amdhsa_user_sgpr_dispatch_id 0
		.amdhsa_user_sgpr_private_segment_size 0
		.amdhsa_wavefront_size32 1
		.amdhsa_uses_dynamic_stack 0
		.amdhsa_enable_private_segment 0
		.amdhsa_system_sgpr_workgroup_id_x 1
		.amdhsa_system_sgpr_workgroup_id_y 0
		.amdhsa_system_sgpr_workgroup_id_z 0
		.amdhsa_system_sgpr_workgroup_info 0
		.amdhsa_system_vgpr_workitem_id 0
		.amdhsa_next_free_vgpr 1
		.amdhsa_next_free_sgpr 1
		.amdhsa_reserve_vcc 0
		.amdhsa_float_round_mode_32 0
		.amdhsa_float_round_mode_16_64 0
		.amdhsa_float_denorm_mode_32 3
		.amdhsa_float_denorm_mode_16_64 3
		.amdhsa_dx10_clamp 1
		.amdhsa_ieee_mode 1
		.amdhsa_fp16_overflow 0
		.amdhsa_workgroup_processor_mode 1
		.amdhsa_memory_ordered 1
		.amdhsa_forward_progress 0
		.amdhsa_shared_vgpr_count 0
		.amdhsa_exception_fp_ieee_invalid_op 0
		.amdhsa_exception_fp_denorm_src 0
		.amdhsa_exception_fp_ieee_div_zero 0
		.amdhsa_exception_fp_ieee_overflow 0
		.amdhsa_exception_fp_ieee_underflow 0
		.amdhsa_exception_fp_ieee_inexact 0
		.amdhsa_exception_int_div_zero 0
	.end_amdhsa_kernel
	.section	.text._ZN7rocprim17ROCPRIM_400000_NS6detail17trampoline_kernelINS0_14default_configENS1_25partition_config_selectorILNS1_17partition_subalgoE5ElNS0_10empty_typeEbEEZZNS1_14partition_implILS5_5ELb0ES3_mN6hipcub16HIPCUB_304000_NS21CountingInputIteratorIllEEPS6_NSA_22TransformInputIteratorIb7NonZeroIsEPslEENS0_5tupleIJPlS6_EEENSJ_IJSD_SD_EEES6_SK_JS6_EEE10hipError_tPvRmT3_T4_T5_T6_T7_T9_mT8_P12ihipStream_tbDpT10_ENKUlT_T0_E_clISt17integral_constantIbLb1EES16_EEDaS11_S12_EUlS11_E_NS1_11comp_targetILNS1_3genE10ELNS1_11target_archE1200ELNS1_3gpuE4ELNS1_3repE0EEENS1_30default_config_static_selectorELNS0_4arch9wavefront6targetE0EEEvT1_,"axG",@progbits,_ZN7rocprim17ROCPRIM_400000_NS6detail17trampoline_kernelINS0_14default_configENS1_25partition_config_selectorILNS1_17partition_subalgoE5ElNS0_10empty_typeEbEEZZNS1_14partition_implILS5_5ELb0ES3_mN6hipcub16HIPCUB_304000_NS21CountingInputIteratorIllEEPS6_NSA_22TransformInputIteratorIb7NonZeroIsEPslEENS0_5tupleIJPlS6_EEENSJ_IJSD_SD_EEES6_SK_JS6_EEE10hipError_tPvRmT3_T4_T5_T6_T7_T9_mT8_P12ihipStream_tbDpT10_ENKUlT_T0_E_clISt17integral_constantIbLb1EES16_EEDaS11_S12_EUlS11_E_NS1_11comp_targetILNS1_3genE10ELNS1_11target_archE1200ELNS1_3gpuE4ELNS1_3repE0EEENS1_30default_config_static_selectorELNS0_4arch9wavefront6targetE0EEEvT1_,comdat
.Lfunc_end130:
	.size	_ZN7rocprim17ROCPRIM_400000_NS6detail17trampoline_kernelINS0_14default_configENS1_25partition_config_selectorILNS1_17partition_subalgoE5ElNS0_10empty_typeEbEEZZNS1_14partition_implILS5_5ELb0ES3_mN6hipcub16HIPCUB_304000_NS21CountingInputIteratorIllEEPS6_NSA_22TransformInputIteratorIb7NonZeroIsEPslEENS0_5tupleIJPlS6_EEENSJ_IJSD_SD_EEES6_SK_JS6_EEE10hipError_tPvRmT3_T4_T5_T6_T7_T9_mT8_P12ihipStream_tbDpT10_ENKUlT_T0_E_clISt17integral_constantIbLb1EES16_EEDaS11_S12_EUlS11_E_NS1_11comp_targetILNS1_3genE10ELNS1_11target_archE1200ELNS1_3gpuE4ELNS1_3repE0EEENS1_30default_config_static_selectorELNS0_4arch9wavefront6targetE0EEEvT1_, .Lfunc_end130-_ZN7rocprim17ROCPRIM_400000_NS6detail17trampoline_kernelINS0_14default_configENS1_25partition_config_selectorILNS1_17partition_subalgoE5ElNS0_10empty_typeEbEEZZNS1_14partition_implILS5_5ELb0ES3_mN6hipcub16HIPCUB_304000_NS21CountingInputIteratorIllEEPS6_NSA_22TransformInputIteratorIb7NonZeroIsEPslEENS0_5tupleIJPlS6_EEENSJ_IJSD_SD_EEES6_SK_JS6_EEE10hipError_tPvRmT3_T4_T5_T6_T7_T9_mT8_P12ihipStream_tbDpT10_ENKUlT_T0_E_clISt17integral_constantIbLb1EES16_EEDaS11_S12_EUlS11_E_NS1_11comp_targetILNS1_3genE10ELNS1_11target_archE1200ELNS1_3gpuE4ELNS1_3repE0EEENS1_30default_config_static_selectorELNS0_4arch9wavefront6targetE0EEEvT1_
                                        ; -- End function
	.section	.AMDGPU.csdata,"",@progbits
; Kernel info:
; codeLenInByte = 0
; NumSgprs: 0
; NumVgprs: 0
; ScratchSize: 0
; MemoryBound: 0
; FloatMode: 240
; IeeeMode: 1
; LDSByteSize: 0 bytes/workgroup (compile time only)
; SGPRBlocks: 0
; VGPRBlocks: 0
; NumSGPRsForWavesPerEU: 1
; NumVGPRsForWavesPerEU: 1
; Occupancy: 16
; WaveLimiterHint : 0
; COMPUTE_PGM_RSRC2:SCRATCH_EN: 0
; COMPUTE_PGM_RSRC2:USER_SGPR: 15
; COMPUTE_PGM_RSRC2:TRAP_HANDLER: 0
; COMPUTE_PGM_RSRC2:TGID_X_EN: 1
; COMPUTE_PGM_RSRC2:TGID_Y_EN: 0
; COMPUTE_PGM_RSRC2:TGID_Z_EN: 0
; COMPUTE_PGM_RSRC2:TIDIG_COMP_CNT: 0
	.section	.text._ZN7rocprim17ROCPRIM_400000_NS6detail17trampoline_kernelINS0_14default_configENS1_25partition_config_selectorILNS1_17partition_subalgoE5ElNS0_10empty_typeEbEEZZNS1_14partition_implILS5_5ELb0ES3_mN6hipcub16HIPCUB_304000_NS21CountingInputIteratorIllEEPS6_NSA_22TransformInputIteratorIb7NonZeroIsEPslEENS0_5tupleIJPlS6_EEENSJ_IJSD_SD_EEES6_SK_JS6_EEE10hipError_tPvRmT3_T4_T5_T6_T7_T9_mT8_P12ihipStream_tbDpT10_ENKUlT_T0_E_clISt17integral_constantIbLb1EES16_EEDaS11_S12_EUlS11_E_NS1_11comp_targetILNS1_3genE9ELNS1_11target_archE1100ELNS1_3gpuE3ELNS1_3repE0EEENS1_30default_config_static_selectorELNS0_4arch9wavefront6targetE0EEEvT1_,"axG",@progbits,_ZN7rocprim17ROCPRIM_400000_NS6detail17trampoline_kernelINS0_14default_configENS1_25partition_config_selectorILNS1_17partition_subalgoE5ElNS0_10empty_typeEbEEZZNS1_14partition_implILS5_5ELb0ES3_mN6hipcub16HIPCUB_304000_NS21CountingInputIteratorIllEEPS6_NSA_22TransformInputIteratorIb7NonZeroIsEPslEENS0_5tupleIJPlS6_EEENSJ_IJSD_SD_EEES6_SK_JS6_EEE10hipError_tPvRmT3_T4_T5_T6_T7_T9_mT8_P12ihipStream_tbDpT10_ENKUlT_T0_E_clISt17integral_constantIbLb1EES16_EEDaS11_S12_EUlS11_E_NS1_11comp_targetILNS1_3genE9ELNS1_11target_archE1100ELNS1_3gpuE3ELNS1_3repE0EEENS1_30default_config_static_selectorELNS0_4arch9wavefront6targetE0EEEvT1_,comdat
	.protected	_ZN7rocprim17ROCPRIM_400000_NS6detail17trampoline_kernelINS0_14default_configENS1_25partition_config_selectorILNS1_17partition_subalgoE5ElNS0_10empty_typeEbEEZZNS1_14partition_implILS5_5ELb0ES3_mN6hipcub16HIPCUB_304000_NS21CountingInputIteratorIllEEPS6_NSA_22TransformInputIteratorIb7NonZeroIsEPslEENS0_5tupleIJPlS6_EEENSJ_IJSD_SD_EEES6_SK_JS6_EEE10hipError_tPvRmT3_T4_T5_T6_T7_T9_mT8_P12ihipStream_tbDpT10_ENKUlT_T0_E_clISt17integral_constantIbLb1EES16_EEDaS11_S12_EUlS11_E_NS1_11comp_targetILNS1_3genE9ELNS1_11target_archE1100ELNS1_3gpuE3ELNS1_3repE0EEENS1_30default_config_static_selectorELNS0_4arch9wavefront6targetE0EEEvT1_ ; -- Begin function _ZN7rocprim17ROCPRIM_400000_NS6detail17trampoline_kernelINS0_14default_configENS1_25partition_config_selectorILNS1_17partition_subalgoE5ElNS0_10empty_typeEbEEZZNS1_14partition_implILS5_5ELb0ES3_mN6hipcub16HIPCUB_304000_NS21CountingInputIteratorIllEEPS6_NSA_22TransformInputIteratorIb7NonZeroIsEPslEENS0_5tupleIJPlS6_EEENSJ_IJSD_SD_EEES6_SK_JS6_EEE10hipError_tPvRmT3_T4_T5_T6_T7_T9_mT8_P12ihipStream_tbDpT10_ENKUlT_T0_E_clISt17integral_constantIbLb1EES16_EEDaS11_S12_EUlS11_E_NS1_11comp_targetILNS1_3genE9ELNS1_11target_archE1100ELNS1_3gpuE3ELNS1_3repE0EEENS1_30default_config_static_selectorELNS0_4arch9wavefront6targetE0EEEvT1_
	.globl	_ZN7rocprim17ROCPRIM_400000_NS6detail17trampoline_kernelINS0_14default_configENS1_25partition_config_selectorILNS1_17partition_subalgoE5ElNS0_10empty_typeEbEEZZNS1_14partition_implILS5_5ELb0ES3_mN6hipcub16HIPCUB_304000_NS21CountingInputIteratorIllEEPS6_NSA_22TransformInputIteratorIb7NonZeroIsEPslEENS0_5tupleIJPlS6_EEENSJ_IJSD_SD_EEES6_SK_JS6_EEE10hipError_tPvRmT3_T4_T5_T6_T7_T9_mT8_P12ihipStream_tbDpT10_ENKUlT_T0_E_clISt17integral_constantIbLb1EES16_EEDaS11_S12_EUlS11_E_NS1_11comp_targetILNS1_3genE9ELNS1_11target_archE1100ELNS1_3gpuE3ELNS1_3repE0EEENS1_30default_config_static_selectorELNS0_4arch9wavefront6targetE0EEEvT1_
	.p2align	8
	.type	_ZN7rocprim17ROCPRIM_400000_NS6detail17trampoline_kernelINS0_14default_configENS1_25partition_config_selectorILNS1_17partition_subalgoE5ElNS0_10empty_typeEbEEZZNS1_14partition_implILS5_5ELb0ES3_mN6hipcub16HIPCUB_304000_NS21CountingInputIteratorIllEEPS6_NSA_22TransformInputIteratorIb7NonZeroIsEPslEENS0_5tupleIJPlS6_EEENSJ_IJSD_SD_EEES6_SK_JS6_EEE10hipError_tPvRmT3_T4_T5_T6_T7_T9_mT8_P12ihipStream_tbDpT10_ENKUlT_T0_E_clISt17integral_constantIbLb1EES16_EEDaS11_S12_EUlS11_E_NS1_11comp_targetILNS1_3genE9ELNS1_11target_archE1100ELNS1_3gpuE3ELNS1_3repE0EEENS1_30default_config_static_selectorELNS0_4arch9wavefront6targetE0EEEvT1_,@function
_ZN7rocprim17ROCPRIM_400000_NS6detail17trampoline_kernelINS0_14default_configENS1_25partition_config_selectorILNS1_17partition_subalgoE5ElNS0_10empty_typeEbEEZZNS1_14partition_implILS5_5ELb0ES3_mN6hipcub16HIPCUB_304000_NS21CountingInputIteratorIllEEPS6_NSA_22TransformInputIteratorIb7NonZeroIsEPslEENS0_5tupleIJPlS6_EEENSJ_IJSD_SD_EEES6_SK_JS6_EEE10hipError_tPvRmT3_T4_T5_T6_T7_T9_mT8_P12ihipStream_tbDpT10_ENKUlT_T0_E_clISt17integral_constantIbLb1EES16_EEDaS11_S12_EUlS11_E_NS1_11comp_targetILNS1_3genE9ELNS1_11target_archE1100ELNS1_3gpuE3ELNS1_3repE0EEENS1_30default_config_static_selectorELNS0_4arch9wavefront6targetE0EEEvT1_: ; @_ZN7rocprim17ROCPRIM_400000_NS6detail17trampoline_kernelINS0_14default_configENS1_25partition_config_selectorILNS1_17partition_subalgoE5ElNS0_10empty_typeEbEEZZNS1_14partition_implILS5_5ELb0ES3_mN6hipcub16HIPCUB_304000_NS21CountingInputIteratorIllEEPS6_NSA_22TransformInputIteratorIb7NonZeroIsEPslEENS0_5tupleIJPlS6_EEENSJ_IJSD_SD_EEES6_SK_JS6_EEE10hipError_tPvRmT3_T4_T5_T6_T7_T9_mT8_P12ihipStream_tbDpT10_ENKUlT_T0_E_clISt17integral_constantIbLb1EES16_EEDaS11_S12_EUlS11_E_NS1_11comp_targetILNS1_3genE9ELNS1_11target_archE1100ELNS1_3gpuE3ELNS1_3repE0EEENS1_30default_config_static_selectorELNS0_4arch9wavefront6targetE0EEEvT1_
; %bb.0:
	s_clause 0x4
	s_load_b64 s[18:19], s[0:1], 0x20
	s_load_b64 s[12:13], s[0:1], 0x30
	;; [unrolled: 1-line block ×3, first 2 shown]
	s_load_b128 s[4:7], s[0:1], 0x48
	s_load_b64 s[14:15], s[0:1], 0x68
	v_cmp_eq_u32_e64 s2, 0, v0
	s_delay_alu instid0(VALU_DEP_1)
	s_and_saveexec_b32 s3, s2
	s_cbranch_execz .LBB131_4
; %bb.1:
	s_mov_b32 s9, exec_lo
	s_mov_b32 s8, exec_lo
	v_mbcnt_lo_u32_b32 v1, s9, 0
                                        ; implicit-def: $vgpr2
	s_delay_alu instid0(VALU_DEP_1)
	v_cmpx_eq_u32_e32 0, v1
	s_cbranch_execz .LBB131_3
; %bb.2:
	s_load_b64 s[10:11], s[0:1], 0x78
	s_bcnt1_i32_b32 s9, s9
	s_delay_alu instid0(SALU_CYCLE_1)
	v_dual_mov_b32 v2, 0 :: v_dual_mov_b32 v3, s9
	s_waitcnt lgkmcnt(0)
	global_atomic_add_u32 v2, v2, v3, s[10:11] glc
.LBB131_3:
	s_or_b32 exec_lo, exec_lo, s8
	s_waitcnt vmcnt(0)
	v_readfirstlane_b32 s8, v2
	s_delay_alu instid0(VALU_DEP_1)
	v_dual_mov_b32 v2, 0 :: v_dual_add_nc_u32 v1, s8, v1
	ds_store_b32 v2, v1
.LBB131_4:
	s_or_b32 exec_lo, exec_lo, s3
	v_mov_b32_e32 v1, 0
	s_clause 0x1
	s_load_b128 s[8:11], s[0:1], 0x8
	s_load_b32 s0, s[0:1], 0x70
	s_waitcnt lgkmcnt(0)
	s_barrier
	buffer_gl0_inv
	ds_load_b32 v3, v1
	s_waitcnt lgkmcnt(0)
	s_barrier
	buffer_gl0_inv
	global_load_b64 v[1:2], v1, s[6:7]
	s_add_u32 s21, s10, s8
	s_mul_i32 s20, s0, 0x300
	s_addc_u32 s22, s11, s9
	s_add_i32 s3, s0, -1
	s_add_u32 s0, s10, s20
	v_readfirstlane_b32 s9, v3
	s_addc_u32 s1, s11, 0
	s_delay_alu instid0(SALU_CYCLE_1) | instskip(SKIP_1) | instid1(VALU_DEP_2)
	v_cmp_ge_u64_e64 s0, s[0:1], s[16:17]
	s_mov_b32 s17, -1
	s_cmp_eq_u32 s9, s3
	s_cselect_b32 s3, -1, 0
	s_delay_alu instid0(VALU_DEP_1) | instid1(SALU_CYCLE_1)
	s_and_b32 s1, s0, s3
	s_mul_i32 s0, s9, 0x300
	s_xor_b32 s8, s1, -1
	s_mov_b32 s1, 0
	s_and_b32 vcc_lo, exec_lo, s8
	s_waitcnt vmcnt(0)
	v_readfirstlane_b32 s6, v1
	v_readfirstlane_b32 s7, v2
	s_cbranch_vccz .LBB131_6
; %bb.5:
	s_add_u32 s17, s0, s21
	s_addc_u32 s23, 0, s22
	v_add_co_u32 v1, s17, s17, v0
	s_delay_alu instid0(VALU_DEP_1) | instskip(SKIP_1) | instid1(VALU_DEP_3)
	v_add_co_ci_u32_e64 v2, null, s23, 0, s17
	v_lshlrev_b32_e32 v13, 3, v0
	v_add_co_u32 v3, vcc_lo, 0x80, v1
	s_delay_alu instid0(VALU_DEP_3)
	v_add_co_ci_u32_e32 v4, vcc_lo, 0, v2, vcc_lo
	v_add_co_u32 v5, vcc_lo, 0x100, v1
	v_add_co_ci_u32_e32 v6, vcc_lo, 0, v2, vcc_lo
	v_add_co_u32 v7, vcc_lo, 0x180, v1
	;; [unrolled: 2-line block ×4, first 2 shown]
	v_add_co_ci_u32_e32 v12, vcc_lo, 0, v2, vcc_lo
	ds_store_2addr_stride64_b64 v13, v[1:2], v[3:4] offset1:2
	ds_store_2addr_stride64_b64 v13, v[5:6], v[7:8] offset0:4 offset1:6
	ds_store_2addr_stride64_b64 v13, v[9:10], v[11:12] offset0:8 offset1:10
	s_waitcnt lgkmcnt(0)
	s_mov_b32 s17, s1
	s_barrier
.LBB131_6:
	v_or_b32_e32 v17, 0x100, v0
	v_or_b32_e32 v16, 0x180, v0
	v_or_b32_e32 v14, 0x200, v0
	v_or_b32_e32 v13, 0x280, v0
	s_and_not1_b32 vcc_lo, exec_lo, s17
	s_cbranch_vccnz .LBB131_8
; %bb.7:
	v_or_b32_e32 v3, 0x80, v0
	s_add_u32 s17, s21, s0
	s_addc_u32 s21, s22, 0
	v_add_co_u32 v1, s22, s17, v0
	s_delay_alu instid0(VALU_DEP_1) | instskip(SKIP_1) | instid1(VALU_DEP_1)
	v_add_co_ci_u32_e64 v2, null, s21, 0, s22
	v_add_co_u32 v3, s22, s17, v3
	v_add_co_ci_u32_e64 v4, null, s21, 0, s22
	v_add_co_u32 v5, s22, s17, v17
	s_delay_alu instid0(VALU_DEP_1) | instskip(SKIP_1) | instid1(VALU_DEP_1)
	v_add_co_ci_u32_e64 v6, null, s21, 0, s22
	v_add_co_u32 v7, s22, s17, v16
	v_add_co_ci_u32_e64 v8, null, s21, 0, s22
	v_add_co_u32 v9, s22, s17, v14
	v_lshlrev_b32_e32 v15, 3, v0
	v_add_co_u32 v11, s17, s17, v13
	v_add_co_ci_u32_e64 v10, null, s21, 0, s22
	v_add_co_ci_u32_e64 v12, null, s21, 0, s17
	ds_store_2addr_stride64_b64 v15, v[1:2], v[3:4] offset1:2
	ds_store_2addr_stride64_b64 v15, v[5:6], v[7:8] offset0:4 offset1:6
	ds_store_2addr_stride64_b64 v15, v[9:10], v[11:12] offset0:8 offset1:10
	s_waitcnt lgkmcnt(0)
	s_barrier
.LBB131_8:
	v_mul_u32_u24_e32 v1, 6, v0
	buffer_gl0_inv
	s_lshl_b64 s[22:23], s[10:11], 1
	s_delay_alu instid0(SALU_CYCLE_1)
	s_add_u32 s11, s18, s22
	v_lshlrev_b32_e32 v15, 3, v1
	s_addc_u32 s17, s19, s23
	s_lshl_b64 s[0:1], s[0:1], 1
	ds_load_b128 v[9:12], v15
	ds_load_b128 v[5:8], v15 offset:16
	ds_load_b128 v[1:4], v15 offset:32
	s_add_u32 s0, s11, s0
	s_addc_u32 s1, s17, s1
	s_and_b32 vcc_lo, exec_lo, s8
	s_mov_b32 s11, -1
	s_waitcnt lgkmcnt(0)
	s_barrier
	buffer_gl0_inv
	s_cbranch_vccz .LBB131_10
; %bb.9:
	v_lshlrev_b32_e32 v18, 1, v0
	s_mov_b32 s11, 0
	s_clause 0x5
	global_load_u16 v19, v18, s[0:1]
	global_load_u16 v20, v18, s[0:1] offset:256
	global_load_u16 v21, v18, s[0:1] offset:512
	;; [unrolled: 1-line block ×5, first 2 shown]
	s_waitcnt vmcnt(5)
	v_cmp_ne_u16_e32 vcc_lo, 0, v19
	v_cndmask_b32_e64 v19, 0, 1, vcc_lo
	s_waitcnt vmcnt(4)
	v_cmp_ne_u16_e32 vcc_lo, 0, v20
	v_cndmask_b32_e64 v20, 0, 1, vcc_lo
	s_waitcnt vmcnt(3)
	v_cmp_ne_u16_e32 vcc_lo, 0, v21
	v_cndmask_b32_e64 v21, 0, 1, vcc_lo
	s_waitcnt vmcnt(2)
	v_cmp_ne_u16_e32 vcc_lo, 0, v22
	v_cndmask_b32_e64 v22, 0, 1, vcc_lo
	s_waitcnt vmcnt(1)
	v_cmp_ne_u16_e32 vcc_lo, 0, v23
	v_cndmask_b32_e64 v23, 0, 1, vcc_lo
	s_waitcnt vmcnt(0)
	v_cmp_ne_u16_e32 vcc_lo, 0, v18
	v_cndmask_b32_e64 v18, 0, 1, vcc_lo
	ds_store_b8 v0, v19
	ds_store_b8 v0, v20 offset:128
	ds_store_b8 v0, v21 offset:256
	ds_store_b8 v0, v22 offset:384
	ds_store_b8 v0, v23 offset:512
	ds_store_b8 v0, v18 offset:640
	s_waitcnt lgkmcnt(0)
	s_barrier
.LBB131_10:
	s_and_not1_b32 vcc_lo, exec_lo, s11
	s_cbranch_vccnz .LBB131_24
; %bb.11:
	s_add_i32 s20, s20, s10
	v_dual_mov_b32 v18, 0 :: v_dual_mov_b32 v19, 0
	s_sub_i32 s10, s16, s20
	s_mov_b32 s11, exec_lo
	s_addk_i32 s10, 0x300
	s_delay_alu instid0(SALU_CYCLE_1)
	v_cmpx_gt_u32_e64 s10, v0
	s_cbranch_execz .LBB131_13
; %bb.12:
	v_lshlrev_b32_e32 v19, 1, v0
	global_load_u16 v19, v19, s[0:1]
	s_waitcnt vmcnt(0)
	v_cmp_ne_u16_e32 vcc_lo, 0, v19
	v_cndmask_b32_e64 v19, 0, 1, vcc_lo
.LBB131_13:
	s_or_b32 exec_lo, exec_lo, s11
	v_or_b32_e32 v20, 0x80, v0
	s_mov_b32 s11, exec_lo
	s_delay_alu instid0(VALU_DEP_1)
	v_cmpx_gt_u32_e64 s10, v20
	s_cbranch_execz .LBB131_15
; %bb.14:
	v_lshlrev_b32_e32 v18, 1, v0
	global_load_u16 v18, v18, s[0:1] offset:256
	s_waitcnt vmcnt(0)
	v_cmp_ne_u16_e32 vcc_lo, 0, v18
	v_cndmask_b32_e64 v18, 0, 1, vcc_lo
.LBB131_15:
	s_or_b32 exec_lo, exec_lo, s11
	v_cmp_gt_u32_e32 vcc_lo, s10, v17
	v_dual_mov_b32 v17, 0 :: v_dual_mov_b32 v20, 0
	s_and_saveexec_b32 s11, vcc_lo
	s_cbranch_execz .LBB131_17
; %bb.16:
	v_lshlrev_b32_e32 v20, 1, v0
	global_load_u16 v20, v20, s[0:1] offset:512
	s_waitcnt vmcnt(0)
	v_cmp_ne_u16_e32 vcc_lo, 0, v20
	v_cndmask_b32_e64 v20, 0, 1, vcc_lo
.LBB131_17:
	s_or_b32 exec_lo, exec_lo, s11
	s_delay_alu instid0(SALU_CYCLE_1)
	s_mov_b32 s11, exec_lo
	v_cmpx_gt_u32_e64 s10, v16
	s_cbranch_execz .LBB131_19
; %bb.18:
	v_lshlrev_b32_e32 v16, 1, v0
	global_load_u16 v16, v16, s[0:1] offset:768
	s_waitcnt vmcnt(0)
	v_cmp_ne_u16_e32 vcc_lo, 0, v16
	v_cndmask_b32_e64 v17, 0, 1, vcc_lo
.LBB131_19:
	s_or_b32 exec_lo, exec_lo, s11
	v_cmp_gt_u32_e32 vcc_lo, s10, v14
	v_mov_b32_e32 v14, 0
	v_mov_b32_e32 v16, 0
	s_and_saveexec_b32 s11, vcc_lo
	s_cbranch_execz .LBB131_21
; %bb.20:
	v_lshlrev_b32_e32 v16, 1, v0
	global_load_u16 v16, v16, s[0:1] offset:1024
	s_waitcnt vmcnt(0)
	v_cmp_ne_u16_e32 vcc_lo, 0, v16
	v_cndmask_b32_e64 v16, 0, 1, vcc_lo
.LBB131_21:
	s_or_b32 exec_lo, exec_lo, s11
	v_cmp_gt_u32_e32 vcc_lo, s10, v13
	s_and_saveexec_b32 s10, vcc_lo
	s_cbranch_execz .LBB131_23
; %bb.22:
	v_lshlrev_b32_e32 v13, 1, v0
	global_load_u16 v13, v13, s[0:1] offset:1280
	s_waitcnt vmcnt(0)
	v_cmp_ne_u16_e32 vcc_lo, 0, v13
	v_cndmask_b32_e64 v14, 0, 1, vcc_lo
.LBB131_23:
	s_or_b32 exec_lo, exec_lo, s10
	ds_store_b8 v0, v19
	ds_store_b8 v0, v18 offset:128
	ds_store_b8 v0, v20 offset:256
	;; [unrolled: 1-line block ×5, first 2 shown]
	s_waitcnt lgkmcnt(0)
	s_barrier
.LBB131_24:
	v_mad_i32_i24 v43, 0xffffffd6, v0, v15
	buffer_gl0_inv
	v_mbcnt_lo_u32_b32 v42, -1, 0
	s_cmp_lg_u32 s9, 0
	s_mov_b32 s1, -1
	ds_load_u16 v36, v43
	ds_load_u16 v33, v43 offset:2
	ds_load_u16 v31, v43 offset:4
	v_mov_b32_e32 v14, 0
	v_and_b32_e32 v44, 15, v42
	s_waitcnt lgkmcnt(0)
	s_barrier
	buffer_gl0_inv
	v_and_b32_e32 v41, 0xff, v36
	v_lshrrev_b16 v34, 8, v36
	v_lshrrev_b16 v35, 8, v33
	v_and_b32_e32 v39, 0xff, v33
	v_lshrrev_b16 v32, 8, v31
	v_and_b32_e32 v37, 0xff, v31
	v_and_b32_e32 v40, 0xffff, v34
	;; [unrolled: 1-line block ×3, first 2 shown]
	s_delay_alu instid0(VALU_DEP_4) | instskip(NEXT) | instid1(VALU_DEP_3)
	v_and_b32_e32 v16, 0xffff, v32
	v_add_co_u32 v13, s0, v40, v41
	s_delay_alu instid0(VALU_DEP_1) | instskip(SKIP_1) | instid1(VALU_DEP_3)
	v_add_co_ci_u32_e64 v15, null, 0, 0, s0
	v_cmp_ne_u32_e64 s0, 0, v44
	v_add_co_u32 v13, vcc_lo, v13, v39
	s_delay_alu instid0(VALU_DEP_3) | instskip(NEXT) | instid1(VALU_DEP_2)
	v_add_co_ci_u32_e32 v15, vcc_lo, 0, v15, vcc_lo
	v_add_co_u32 v13, vcc_lo, v13, v38
	s_delay_alu instid0(VALU_DEP_2) | instskip(NEXT) | instid1(VALU_DEP_2)
	v_add_co_ci_u32_e32 v15, vcc_lo, 0, v15, vcc_lo
	v_add_co_u32 v13, vcc_lo, v13, v37
	s_delay_alu instid0(VALU_DEP_2) | instskip(NEXT) | instid1(VALU_DEP_2)
	v_add_co_ci_u32_e32 v15, vcc_lo, 0, v15, vcc_lo
	v_add_co_u32 v21, vcc_lo, v13, v16
	s_delay_alu instid0(VALU_DEP_2)
	v_add_co_ci_u32_e32 v22, vcc_lo, 0, v15, vcc_lo
	s_cbranch_scc0 .LBB131_93
; %bb.25:
	s_delay_alu instid0(VALU_DEP_2)
	v_mov_b32_e32 v15, v21
	v_mov_b32_dpp v13, v21 row_shr:1 row_mask:0xf bank_mask:0xf
	v_mov_b32_dpp v18, v14 row_shr:1 row_mask:0xf bank_mask:0xf
	v_dual_mov_b32 v17, v21 :: v_dual_mov_b32 v16, v22
	s_and_saveexec_b32 s1, s0
; %bb.26:
	s_delay_alu instid0(VALU_DEP_3) | instskip(SKIP_1) | instid1(VALU_DEP_2)
	v_add_co_u32 v17, vcc_lo, v21, v13
	v_add_co_ci_u32_e32 v14, vcc_lo, 0, v22, vcc_lo
	v_add_co_u32 v13, vcc_lo, 0, v17
	s_delay_alu instid0(VALU_DEP_2) | instskip(NEXT) | instid1(VALU_DEP_1)
	v_add_co_ci_u32_e32 v14, vcc_lo, v18, v14, vcc_lo
	v_dual_mov_b32 v16, v14 :: v_dual_mov_b32 v15, v13
; %bb.27:
	s_or_b32 exec_lo, exec_lo, s1
	v_mov_b32_dpp v13, v17 row_shr:2 row_mask:0xf bank_mask:0xf
	v_mov_b32_dpp v18, v14 row_shr:2 row_mask:0xf bank_mask:0xf
	s_mov_b32 s1, exec_lo
	v_cmpx_lt_u32_e32 1, v44
; %bb.28:
	s_delay_alu instid0(VALU_DEP_3) | instskip(SKIP_1) | instid1(VALU_DEP_2)
	v_add_co_u32 v17, vcc_lo, v15, v13
	v_add_co_ci_u32_e32 v14, vcc_lo, 0, v16, vcc_lo
	v_add_co_u32 v13, vcc_lo, 0, v17
	s_delay_alu instid0(VALU_DEP_2) | instskip(NEXT) | instid1(VALU_DEP_1)
	v_add_co_ci_u32_e32 v14, vcc_lo, v18, v14, vcc_lo
	v_dual_mov_b32 v16, v14 :: v_dual_mov_b32 v15, v13
; %bb.29:
	s_or_b32 exec_lo, exec_lo, s1
	v_mov_b32_dpp v13, v17 row_shr:4 row_mask:0xf bank_mask:0xf
	v_mov_b32_dpp v18, v14 row_shr:4 row_mask:0xf bank_mask:0xf
	s_mov_b32 s1, exec_lo
	v_cmpx_lt_u32_e32 3, v44
	;; [unrolled: 14-line block ×3, first 2 shown]
; %bb.32:
	s_delay_alu instid0(VALU_DEP_3) | instskip(SKIP_1) | instid1(VALU_DEP_2)
	v_add_co_u32 v17, vcc_lo, v15, v18
	v_add_co_ci_u32_e32 v14, vcc_lo, 0, v16, vcc_lo
	v_add_co_u32 v15, vcc_lo, 0, v17
	s_delay_alu instid0(VALU_DEP_2) | instskip(NEXT) | instid1(VALU_DEP_1)
	v_add_co_ci_u32_e32 v16, vcc_lo, v13, v14, vcc_lo
	v_mov_b32_e32 v14, v16
; %bb.33:
	s_or_b32 exec_lo, exec_lo, s1
	ds_swizzle_b32 v13, v17 offset:swizzle(BROADCAST,32,15)
	ds_swizzle_b32 v18, v14 offset:swizzle(BROADCAST,32,15)
	v_and_b32_e32 v19, 16, v42
	s_mov_b32 s1, exec_lo
	s_delay_alu instid0(VALU_DEP_1)
	v_cmpx_ne_u32_e32 0, v19
	s_cbranch_execz .LBB131_35
; %bb.34:
	s_waitcnt lgkmcnt(1)
	v_add_co_u32 v17, vcc_lo, v15, v13
	v_add_co_ci_u32_e32 v14, vcc_lo, 0, v16, vcc_lo
	s_delay_alu instid0(VALU_DEP_2) | instskip(SKIP_1) | instid1(VALU_DEP_2)
	v_add_co_u32 v13, vcc_lo, 0, v17
	s_waitcnt lgkmcnt(0)
	v_add_co_ci_u32_e32 v14, vcc_lo, v18, v14, vcc_lo
	s_delay_alu instid0(VALU_DEP_1)
	v_dual_mov_b32 v16, v14 :: v_dual_mov_b32 v15, v13
.LBB131_35:
	s_or_b32 exec_lo, exec_lo, s1
	s_waitcnt lgkmcnt(0)
	v_or_b32_e32 v18, 31, v0
	v_lshrrev_b32_e32 v13, 5, v0
	s_mov_b32 s1, exec_lo
	s_delay_alu instid0(VALU_DEP_2)
	v_cmpx_eq_u32_e64 v18, v0
	s_cbranch_execz .LBB131_37
; %bb.36:
	s_delay_alu instid0(VALU_DEP_2)
	v_lshlrev_b32_e32 v18, 3, v13
	ds_store_b64 v18, v[15:16]
.LBB131_37:
	s_or_b32 exec_lo, exec_lo, s1
	s_delay_alu instid0(SALU_CYCLE_1)
	s_mov_b32 s1, exec_lo
	s_waitcnt lgkmcnt(0)
	s_barrier
	buffer_gl0_inv
	v_cmpx_gt_u32_e32 4, v0
	s_cbranch_execz .LBB131_43
; %bb.38:
	v_lshlrev_b32_e32 v18, 3, v0
	s_mov_b32 s10, exec_lo
	ds_load_b64 v[15:16], v18
	s_waitcnt lgkmcnt(0)
	v_dual_mov_b32 v20, v15 :: v_dual_and_b32 v19, 3, v42
	v_mov_b32_dpp v24, v15 row_shr:1 row_mask:0xf bank_mask:0xf
	v_mov_b32_dpp v23, v16 row_shr:1 row_mask:0xf bank_mask:0xf
	s_delay_alu instid0(VALU_DEP_3)
	v_cmpx_ne_u32_e32 0, v19
; %bb.39:
	s_delay_alu instid0(VALU_DEP_3) | instskip(SKIP_1) | instid1(VALU_DEP_2)
	v_add_co_u32 v20, vcc_lo, v15, v24
	v_add_co_ci_u32_e32 v16, vcc_lo, 0, v16, vcc_lo
	v_add_co_u32 v15, vcc_lo, 0, v20
	s_delay_alu instid0(VALU_DEP_2)
	v_add_co_ci_u32_e32 v16, vcc_lo, v23, v16, vcc_lo
; %bb.40:
	s_or_b32 exec_lo, exec_lo, s10
	v_mov_b32_dpp v23, v20 row_shr:2 row_mask:0xf bank_mask:0xf
	s_delay_alu instid0(VALU_DEP_2)
	v_mov_b32_dpp v20, v16 row_shr:2 row_mask:0xf bank_mask:0xf
	s_mov_b32 s10, exec_lo
	v_cmpx_lt_u32_e32 1, v19
; %bb.41:
	s_delay_alu instid0(VALU_DEP_3) | instskip(SKIP_1) | instid1(VALU_DEP_2)
	v_add_co_u32 v15, vcc_lo, v15, v23
	v_add_co_ci_u32_e32 v16, vcc_lo, 0, v16, vcc_lo
	v_add_co_u32 v15, vcc_lo, v15, 0
	s_delay_alu instid0(VALU_DEP_2)
	v_add_co_ci_u32_e32 v16, vcc_lo, v16, v20, vcc_lo
; %bb.42:
	s_or_b32 exec_lo, exec_lo, s10
	ds_store_b64 v18, v[15:16]
.LBB131_43:
	s_or_b32 exec_lo, exec_lo, s1
	v_cmp_gt_u32_e32 vcc_lo, 32, v0
	s_mov_b32 s10, exec_lo
	s_waitcnt lgkmcnt(0)
	s_barrier
	buffer_gl0_inv
                                        ; implicit-def: $vgpr23_vgpr24
	v_cmpx_lt_u32_e32 31, v0
	s_cbranch_execz .LBB131_45
; %bb.44:
	v_lshl_add_u32 v13, v13, 3, -8
	ds_load_b64 v[23:24], v13
	s_waitcnt lgkmcnt(0)
	v_add_co_u32 v17, s1, v17, v23
	s_delay_alu instid0(VALU_DEP_1)
	v_add_co_ci_u32_e64 v14, s1, v14, v24, s1
.LBB131_45:
	s_or_b32 exec_lo, exec_lo, s10
	v_add_nc_u32_e32 v13, -1, v42
	s_delay_alu instid0(VALU_DEP_1) | instskip(NEXT) | instid1(VALU_DEP_1)
	v_cmp_gt_i32_e64 s1, 0, v13
	v_cndmask_b32_e64 v13, v13, v42, s1
	v_cmp_eq_u32_e64 s1, 0, v42
	s_delay_alu instid0(VALU_DEP_2)
	v_lshlrev_b32_e32 v13, 2, v13
	ds_bpermute_b32 v29, v13, v17
	ds_bpermute_b32 v30, v13, v14
	s_and_saveexec_b32 s10, vcc_lo
	s_cbranch_execz .LBB131_88
; %bb.46:
	v_mov_b32_e32 v16, 0
	ds_load_b64 v[13:14], v16 offset:24
	s_and_saveexec_b32 s11, s1
	s_cbranch_execz .LBB131_48
; %bb.47:
	s_add_i32 s16, s9, 32
	s_mov_b32 s17, 0
	s_delay_alu instid0(SALU_CYCLE_1) | instskip(NEXT) | instid1(SALU_CYCLE_1)
	s_lshl_b64 s[16:17], s[16:17], 4
	s_add_u32 s16, s14, s16
	s_addc_u32 s17, s15, s17
	s_delay_alu instid0(SALU_CYCLE_1)
	v_dual_mov_b32 v15, 1 :: v_dual_mov_b32 v18, s17
	v_mov_b32_e32 v17, s16
	s_waitcnt lgkmcnt(0)
	;;#ASMSTART
	global_store_dwordx4 v[17:18], v[13:16] off	
s_waitcnt vmcnt(0)
	;;#ASMEND
.LBB131_48:
	s_or_b32 exec_lo, exec_lo, s11
	v_xad_u32 v25, v42, -1, s9
	s_mov_b32 s16, 0
	s_mov_b32 s11, exec_lo
	s_delay_alu instid0(VALU_DEP_1) | instskip(NEXT) | instid1(VALU_DEP_1)
	v_add_nc_u32_e32 v15, 32, v25
	v_lshlrev_b64 v[15:16], 4, v[15:16]
	s_delay_alu instid0(VALU_DEP_1) | instskip(NEXT) | instid1(VALU_DEP_2)
	v_add_co_u32 v15, vcc_lo, s14, v15
	v_add_co_ci_u32_e32 v16, vcc_lo, s15, v16, vcc_lo
	;;#ASMSTART
	global_load_dwordx4 v[17:20], v[15:16] off glc	
s_waitcnt vmcnt(0)
	;;#ASMEND
	v_and_b32_e32 v20, 0xff, v18
	v_and_b32_e32 v26, 0xff00, v18
	;; [unrolled: 1-line block ×3, first 2 shown]
	v_or3_b32 v17, v17, 0, 0
	v_and_b32_e32 v18, 0xff000000, v18
	s_delay_alu instid0(VALU_DEP_4) | instskip(SKIP_1) | instid1(VALU_DEP_4)
	v_or3_b32 v20, 0, v20, v26
	v_and_b32_e32 v26, 0xff, v19
	v_or3_b32 v17, v17, 0, 0
	s_delay_alu instid0(VALU_DEP_3) | instskip(NEXT) | instid1(VALU_DEP_3)
	v_or3_b32 v18, v20, v27, v18
	v_cmpx_eq_u16_e32 0, v26
	s_cbranch_execz .LBB131_54
; %bb.49:
	s_mov_b32 s17, 1
	.p2align	6
.LBB131_50:                             ; =>This Loop Header: Depth=1
                                        ;     Child Loop BB131_51 Depth 2
	s_delay_alu instid0(SALU_CYCLE_1)
	s_max_u32 s18, s17, 1
.LBB131_51:                             ;   Parent Loop BB131_50 Depth=1
                                        ; =>  This Inner Loop Header: Depth=2
	s_delay_alu instid0(SALU_CYCLE_1)
	s_add_i32 s18, s18, -1
	s_sleep 1
	s_cmp_eq_u32 s18, 0
	s_cbranch_scc0 .LBB131_51
; %bb.52:                               ;   in Loop: Header=BB131_50 Depth=1
	;;#ASMSTART
	global_load_dwordx4 v[17:20], v[15:16] off glc	
s_waitcnt vmcnt(0)
	;;#ASMEND
	v_and_b32_e32 v20, 0xff, v19
	s_cmp_lt_u32 s17, 32
	s_cselect_b32 s18, -1, 0
	s_delay_alu instid0(SALU_CYCLE_1) | instskip(NEXT) | instid1(VALU_DEP_1)
	s_cmp_lg_u32 s18, 0
	v_cmp_ne_u16_e32 vcc_lo, 0, v20
	s_addc_u32 s17, s17, 0
	s_or_b32 s16, vcc_lo, s16
	s_delay_alu instid0(SALU_CYCLE_1)
	s_and_not1_b32 exec_lo, exec_lo, s16
	s_cbranch_execnz .LBB131_50
; %bb.53:
	s_or_b32 exec_lo, exec_lo, s16
.LBB131_54:
	s_delay_alu instid0(SALU_CYCLE_1)
	s_or_b32 exec_lo, exec_lo, s11
	v_cmp_ne_u32_e32 vcc_lo, 31, v42
	v_and_b32_e32 v16, 0xff, v19
	v_lshlrev_b32_e64 v46, v42, -1
	s_mov_b32 s11, exec_lo
	v_add_co_ci_u32_e32 v15, vcc_lo, 0, v42, vcc_lo
	s_delay_alu instid0(VALU_DEP_3) | instskip(NEXT) | instid1(VALU_DEP_2)
	v_cmp_eq_u16_e32 vcc_lo, 2, v16
	v_dual_mov_b32 v16, v17 :: v_dual_lshlrev_b32 v45, 2, v15
	v_and_or_b32 v15, vcc_lo, v46, 0x80000000
	ds_bpermute_b32 v26, v45, v17
	ds_bpermute_b32 v20, v45, v18
	v_ctz_i32_b32_e32 v15, v15
	s_delay_alu instid0(VALU_DEP_1)
	v_cmpx_lt_u32_e64 v42, v15
	s_cbranch_execz .LBB131_56
; %bb.55:
	s_waitcnt lgkmcnt(1)
	v_add_co_u32 v16, vcc_lo, v17, v26
	v_add_co_ci_u32_e32 v18, vcc_lo, 0, v18, vcc_lo
	s_delay_alu instid0(VALU_DEP_2) | instskip(SKIP_1) | instid1(VALU_DEP_2)
	v_add_co_u32 v17, vcc_lo, 0, v16
	s_waitcnt lgkmcnt(0)
	v_add_co_ci_u32_e32 v18, vcc_lo, v20, v18, vcc_lo
.LBB131_56:
	s_or_b32 exec_lo, exec_lo, s11
	v_cmp_gt_u32_e32 vcc_lo, 30, v42
	v_add_nc_u32_e32 v48, 2, v42
	s_mov_b32 s11, exec_lo
	s_waitcnt lgkmcnt(0)
	v_cndmask_b32_e64 v20, 0, 1, vcc_lo
	s_delay_alu instid0(VALU_DEP_1) | instskip(NEXT) | instid1(VALU_DEP_1)
	v_lshlrev_b32_e32 v20, 1, v20
	v_add_lshl_u32 v47, v20, v42, 2
	ds_bpermute_b32 v26, v47, v16
	ds_bpermute_b32 v20, v47, v18
	v_cmpx_le_u32_e64 v48, v15
	s_cbranch_execz .LBB131_58
; %bb.57:
	s_waitcnt lgkmcnt(1)
	v_add_co_u32 v16, vcc_lo, v17, v26
	v_add_co_ci_u32_e32 v18, vcc_lo, 0, v18, vcc_lo
	s_delay_alu instid0(VALU_DEP_2) | instskip(SKIP_1) | instid1(VALU_DEP_2)
	v_add_co_u32 v17, vcc_lo, 0, v16
	s_waitcnt lgkmcnt(0)
	v_add_co_ci_u32_e32 v18, vcc_lo, v20, v18, vcc_lo
.LBB131_58:
	s_or_b32 exec_lo, exec_lo, s11
	v_cmp_gt_u32_e32 vcc_lo, 28, v42
	v_add_nc_u32_e32 v50, 4, v42
	s_mov_b32 s11, exec_lo
	s_waitcnt lgkmcnt(0)
	v_cndmask_b32_e64 v20, 0, 1, vcc_lo
	s_delay_alu instid0(VALU_DEP_1) | instskip(NEXT) | instid1(VALU_DEP_1)
	v_lshlrev_b32_e32 v20, 2, v20
	v_add_lshl_u32 v49, v20, v42, 2
	ds_bpermute_b32 v26, v49, v16
	ds_bpermute_b32 v20, v49, v18
	v_cmpx_le_u32_e64 v50, v15
	;; [unrolled: 22-line block ×4, first 2 shown]
	s_cbranch_execz .LBB131_64
; %bb.63:
	s_waitcnt lgkmcnt(1)
	v_add_co_u32 v15, vcc_lo, v17, v20
	v_add_co_ci_u32_e32 v18, vcc_lo, 0, v18, vcc_lo
	s_delay_alu instid0(VALU_DEP_2) | instskip(SKIP_1) | instid1(VALU_DEP_2)
	v_add_co_u32 v17, vcc_lo, v15, 0
	s_waitcnt lgkmcnt(0)
	v_add_co_ci_u32_e32 v18, vcc_lo, v18, v16, vcc_lo
.LBB131_64:
	s_or_b32 exec_lo, exec_lo, s11
	v_mov_b32_e32 v26, 0
	s_branch .LBB131_66
.LBB131_65:                             ;   in Loop: Header=BB131_66 Depth=1
	s_or_b32 exec_lo, exec_lo, s11
	v_add_co_u32 v17, vcc_lo, v17, v15
	v_subrev_nc_u32_e32 v25, 32, v25
	v_add_co_ci_u32_e32 v18, vcc_lo, v18, v16, vcc_lo
.LBB131_66:                             ; =>This Loop Header: Depth=1
                                        ;     Child Loop BB131_69 Depth 2
                                        ;       Child Loop BB131_70 Depth 3
	v_and_b32_e32 v15, 0xff, v19
	s_delay_alu instid0(VALU_DEP_1) | instskip(SKIP_2) | instid1(VALU_DEP_1)
	v_cmp_ne_u16_e32 vcc_lo, 2, v15
	v_cndmask_b32_e64 v15, 0, 1, vcc_lo
	;;#ASMSTART
	;;#ASMEND
	v_cmp_ne_u32_e32 vcc_lo, 0, v15
	s_waitcnt lgkmcnt(0)
	v_dual_mov_b32 v15, v17 :: v_dual_mov_b32 v16, v18
	s_cmp_lg_u32 vcc_lo, exec_lo
	s_cbranch_scc1 .LBB131_83
; %bb.67:                               ;   in Loop: Header=BB131_66 Depth=1
	v_lshlrev_b64 v[17:18], 4, v[25:26]
	s_mov_b32 s11, exec_lo
	s_delay_alu instid0(VALU_DEP_1) | instskip(NEXT) | instid1(VALU_DEP_2)
	v_add_co_u32 v27, vcc_lo, s14, v17
	v_add_co_ci_u32_e32 v28, vcc_lo, s15, v18, vcc_lo
	;;#ASMSTART
	global_load_dwordx4 v[17:20], v[27:28] off glc	
s_waitcnt vmcnt(0)
	;;#ASMEND
	v_and_b32_e32 v20, 0xff, v18
	v_and_b32_e32 v55, 0xff00, v18
	;; [unrolled: 1-line block ×3, first 2 shown]
	v_or3_b32 v17, v17, 0, 0
	v_and_b32_e32 v18, 0xff000000, v18
	s_delay_alu instid0(VALU_DEP_4) | instskip(SKIP_1) | instid1(VALU_DEP_4)
	v_or3_b32 v20, 0, v20, v55
	v_and_b32_e32 v55, 0xff, v19
	v_or3_b32 v17, v17, 0, 0
	s_delay_alu instid0(VALU_DEP_3) | instskip(NEXT) | instid1(VALU_DEP_3)
	v_or3_b32 v18, v20, v56, v18
	v_cmpx_eq_u16_e32 0, v55
	s_cbranch_execz .LBB131_73
; %bb.68:                               ;   in Loop: Header=BB131_66 Depth=1
	s_mov_b32 s17, 1
	s_mov_b32 s16, 0
	.p2align	6
.LBB131_69:                             ;   Parent Loop BB131_66 Depth=1
                                        ; =>  This Loop Header: Depth=2
                                        ;       Child Loop BB131_70 Depth 3
	s_max_u32 s18, s17, 1
.LBB131_70:                             ;   Parent Loop BB131_66 Depth=1
                                        ;     Parent Loop BB131_69 Depth=2
                                        ; =>    This Inner Loop Header: Depth=3
	s_delay_alu instid0(SALU_CYCLE_1)
	s_add_i32 s18, s18, -1
	s_sleep 1
	s_cmp_eq_u32 s18, 0
	s_cbranch_scc0 .LBB131_70
; %bb.71:                               ;   in Loop: Header=BB131_69 Depth=2
	;;#ASMSTART
	global_load_dwordx4 v[17:20], v[27:28] off glc	
s_waitcnt vmcnt(0)
	;;#ASMEND
	v_and_b32_e32 v20, 0xff, v19
	s_cmp_lt_u32 s17, 32
	s_cselect_b32 s18, -1, 0
	s_delay_alu instid0(SALU_CYCLE_1) | instskip(NEXT) | instid1(VALU_DEP_1)
	s_cmp_lg_u32 s18, 0
	v_cmp_ne_u16_e32 vcc_lo, 0, v20
	s_addc_u32 s17, s17, 0
	s_or_b32 s16, vcc_lo, s16
	s_delay_alu instid0(SALU_CYCLE_1)
	s_and_not1_b32 exec_lo, exec_lo, s16
	s_cbranch_execnz .LBB131_69
; %bb.72:                               ;   in Loop: Header=BB131_66 Depth=1
	s_or_b32 exec_lo, exec_lo, s16
.LBB131_73:                             ;   in Loop: Header=BB131_66 Depth=1
	s_delay_alu instid0(SALU_CYCLE_1)
	s_or_b32 exec_lo, exec_lo, s11
	v_dual_mov_b32 v27, v17 :: v_dual_and_b32 v20, 0xff, v19
	ds_bpermute_b32 v55, v45, v17
	ds_bpermute_b32 v28, v45, v18
	s_mov_b32 s11, exec_lo
	v_cmp_eq_u16_e32 vcc_lo, 2, v20
	v_and_or_b32 v20, vcc_lo, v46, 0x80000000
	s_delay_alu instid0(VALU_DEP_1) | instskip(NEXT) | instid1(VALU_DEP_1)
	v_ctz_i32_b32_e32 v20, v20
	v_cmpx_lt_u32_e64 v42, v20
	s_cbranch_execz .LBB131_75
; %bb.74:                               ;   in Loop: Header=BB131_66 Depth=1
	s_waitcnt lgkmcnt(1)
	v_add_co_u32 v27, vcc_lo, v17, v55
	v_add_co_ci_u32_e32 v18, vcc_lo, 0, v18, vcc_lo
	s_delay_alu instid0(VALU_DEP_2) | instskip(SKIP_1) | instid1(VALU_DEP_2)
	v_add_co_u32 v17, vcc_lo, 0, v27
	s_waitcnt lgkmcnt(0)
	v_add_co_ci_u32_e32 v18, vcc_lo, v28, v18, vcc_lo
.LBB131_75:                             ;   in Loop: Header=BB131_66 Depth=1
	s_or_b32 exec_lo, exec_lo, s11
	s_waitcnt lgkmcnt(1)
	ds_bpermute_b32 v55, v47, v27
	s_waitcnt lgkmcnt(1)
	ds_bpermute_b32 v28, v47, v18
	s_mov_b32 s11, exec_lo
	v_cmpx_le_u32_e64 v48, v20
	s_cbranch_execz .LBB131_77
; %bb.76:                               ;   in Loop: Header=BB131_66 Depth=1
	s_waitcnt lgkmcnt(1)
	v_add_co_u32 v27, vcc_lo, v17, v55
	v_add_co_ci_u32_e32 v18, vcc_lo, 0, v18, vcc_lo
	s_delay_alu instid0(VALU_DEP_2) | instskip(SKIP_1) | instid1(VALU_DEP_2)
	v_add_co_u32 v17, vcc_lo, 0, v27
	s_waitcnt lgkmcnt(0)
	v_add_co_ci_u32_e32 v18, vcc_lo, v28, v18, vcc_lo
.LBB131_77:                             ;   in Loop: Header=BB131_66 Depth=1
	s_or_b32 exec_lo, exec_lo, s11
	s_waitcnt lgkmcnt(1)
	ds_bpermute_b32 v55, v49, v27
	s_waitcnt lgkmcnt(1)
	ds_bpermute_b32 v28, v49, v18
	s_mov_b32 s11, exec_lo
	v_cmpx_le_u32_e64 v50, v20
	;; [unrolled: 17-line block ×3, first 2 shown]
	s_cbranch_execz .LBB131_81
; %bb.80:                               ;   in Loop: Header=BB131_66 Depth=1
	s_waitcnt lgkmcnt(1)
	v_add_co_u32 v27, vcc_lo, v17, v55
	v_add_co_ci_u32_e32 v18, vcc_lo, 0, v18, vcc_lo
	s_delay_alu instid0(VALU_DEP_2) | instskip(SKIP_1) | instid1(VALU_DEP_2)
	v_add_co_u32 v17, vcc_lo, 0, v27
	s_waitcnt lgkmcnt(0)
	v_add_co_ci_u32_e32 v18, vcc_lo, v28, v18, vcc_lo
.LBB131_81:                             ;   in Loop: Header=BB131_66 Depth=1
	s_or_b32 exec_lo, exec_lo, s11
	s_waitcnt lgkmcnt(0)
	ds_bpermute_b32 v28, v53, v27
	ds_bpermute_b32 v27, v53, v18
	s_mov_b32 s11, exec_lo
	v_cmpx_le_u32_e64 v54, v20
	s_cbranch_execz .LBB131_65
; %bb.82:                               ;   in Loop: Header=BB131_66 Depth=1
	s_waitcnt lgkmcnt(1)
	v_add_co_u32 v17, vcc_lo, v17, v28
	v_add_co_ci_u32_e32 v18, vcc_lo, 0, v18, vcc_lo
	s_delay_alu instid0(VALU_DEP_2) | instskip(SKIP_1) | instid1(VALU_DEP_2)
	v_add_co_u32 v17, vcc_lo, v17, 0
	s_waitcnt lgkmcnt(0)
	v_add_co_ci_u32_e32 v18, vcc_lo, v18, v27, vcc_lo
	s_branch .LBB131_65
.LBB131_83:                             ;   in Loop: Header=BB131_66 Depth=1
                                        ; implicit-def: $vgpr17_vgpr18
	s_cbranch_execz .LBB131_66
; %bb.84:
	s_and_saveexec_b32 s11, s1
	s_cbranch_execz .LBB131_86
; %bb.85:
	s_add_i32 s16, s9, 32
	s_mov_b32 s17, 0
	v_add_co_u32 v17, vcc_lo, v15, v13
	s_lshl_b64 s[16:17], s[16:17], 4
	v_dual_mov_b32 v19, 2 :: v_dual_mov_b32 v20, 0
	s_add_u32 s16, s14, s16
	s_addc_u32 s17, s15, s17
	v_add_co_ci_u32_e32 v18, vcc_lo, v16, v14, vcc_lo
	v_dual_mov_b32 v26, s17 :: v_dual_mov_b32 v25, s16
	;;#ASMSTART
	global_store_dwordx4 v[25:26], v[17:20] off	
s_waitcnt vmcnt(0)
	;;#ASMEND
	ds_store_b128 v20, v[13:16] offset:6144
.LBB131_86:
	s_or_b32 exec_lo, exec_lo, s11
	s_delay_alu instid0(SALU_CYCLE_1)
	s_and_b32 exec_lo, exec_lo, s2
	s_cbranch_execz .LBB131_88
; %bb.87:
	v_mov_b32_e32 v13, 0
	ds_store_b64 v13, v[15:16] offset:24
.LBB131_88:
	s_or_b32 exec_lo, exec_lo, s10
	v_mov_b32_e32 v15, 0
	s_waitcnt lgkmcnt(0)
	s_barrier
	buffer_gl0_inv
	v_cndmask_b32_e64 v16, v29, v23, s1
	ds_load_b64 v[13:14], v15 offset:24
	v_cndmask_b32_e64 v17, v30, v24, s1
	s_waitcnt lgkmcnt(0)
	s_barrier
	v_cndmask_b32_e64 v16, v16, 0, s2
	buffer_gl0_inv
	v_cndmask_b32_e64 v17, v17, 0, s2
	v_add_co_u32 v29, vcc_lo, v13, v16
	s_delay_alu instid0(VALU_DEP_2) | instskip(SKIP_3) | instid1(VALU_DEP_2)
	v_add_co_ci_u32_e32 v30, vcc_lo, v14, v17, vcc_lo
	ds_load_b128 v[13:16], v15 offset:6144
	v_add_co_u32 v27, vcc_lo, v29, v41
	v_add_co_ci_u32_e32 v28, vcc_lo, 0, v30, vcc_lo
	v_add_co_u32 v25, vcc_lo, v27, v40
	s_delay_alu instid0(VALU_DEP_2) | instskip(NEXT) | instid1(VALU_DEP_2)
	v_add_co_ci_u32_e32 v26, vcc_lo, 0, v28, vcc_lo
	v_add_co_u32 v23, vcc_lo, v25, v39
	s_delay_alu instid0(VALU_DEP_2) | instskip(NEXT) | instid1(VALU_DEP_2)
	;; [unrolled: 3-line block ×3, first 2 shown]
	v_add_co_ci_u32_e32 v20, vcc_lo, 0, v24, vcc_lo
	v_add_co_u32 v17, vcc_lo, v19, v37
	s_delay_alu instid0(VALU_DEP_2)
	v_add_co_ci_u32_e32 v18, vcc_lo, 0, v20, vcc_lo
.LBB131_89:
	s_waitcnt lgkmcnt(0)
	v_cmp_gt_u64_e32 vcc_lo, 0x81, v[13:14]
	s_mov_b32 s0, -1
	s_cbranch_vccnz .LBB131_117
.LBB131_90:
	s_and_b32 vcc_lo, exec_lo, s0
	s_cbranch_vccnz .LBB131_136
.LBB131_91:
	s_and_b32 s0, s2, s3
	s_delay_alu instid0(SALU_CYCLE_1)
	s_and_saveexec_b32 s1, s0
	s_cbranch_execnz .LBB131_152
.LBB131_92:
	s_nop 0
	s_sendmsg sendmsg(MSG_DEALLOC_VGPRS)
	s_endpgm
.LBB131_93:
                                        ; kill: def $vgpr13_vgpr14 killed $sgpr0_sgpr1 killed $exec
                                        ; implicit-def: $vgpr17_vgpr18
                                        ; implicit-def: $vgpr19_vgpr20
                                        ; implicit-def: $vgpr23_vgpr24
                                        ; implicit-def: $vgpr25_vgpr26
                                        ; implicit-def: $vgpr27_vgpr28
                                        ; implicit-def: $vgpr29_vgpr30
                                        ; implicit-def: $vgpr15_vgpr16
	s_and_b32 vcc_lo, exec_lo, s1
	s_cbranch_vccz .LBB131_89
; %bb.94:
	s_waitcnt lgkmcnt(0)
	v_dual_mov_b32 v14, 0 :: v_dual_mov_b32 v15, v21
	v_mov_b32_dpp v16, v21 row_shr:1 row_mask:0xf bank_mask:0xf
	s_delay_alu instid0(VALU_DEP_2)
	v_mov_b32_dpp v13, v14 row_shr:1 row_mask:0xf bank_mask:0xf
	s_and_saveexec_b32 s1, s0
; %bb.95:
	s_delay_alu instid0(VALU_DEP_2) | instskip(SKIP_1) | instid1(VALU_DEP_2)
	v_add_co_u32 v15, vcc_lo, v21, v16
	v_add_co_ci_u32_e32 v14, vcc_lo, 0, v22, vcc_lo
	v_add_co_u32 v21, vcc_lo, 0, v15
	s_delay_alu instid0(VALU_DEP_2) | instskip(NEXT) | instid1(VALU_DEP_1)
	v_add_co_ci_u32_e32 v22, vcc_lo, v13, v14, vcc_lo
	v_mov_b32_e32 v14, v22
; %bb.96:
	s_or_b32 exec_lo, exec_lo, s1
	v_mov_b32_dpp v13, v15 row_shr:2 row_mask:0xf bank_mask:0xf
	s_delay_alu instid0(VALU_DEP_2)
	v_mov_b32_dpp v16, v14 row_shr:2 row_mask:0xf bank_mask:0xf
	s_mov_b32 s0, exec_lo
	v_cmpx_lt_u32_e32 1, v44
; %bb.97:
	s_delay_alu instid0(VALU_DEP_3) | instskip(SKIP_1) | instid1(VALU_DEP_2)
	v_add_co_u32 v15, vcc_lo, v21, v13
	v_add_co_ci_u32_e32 v14, vcc_lo, 0, v22, vcc_lo
	v_add_co_u32 v13, vcc_lo, 0, v15
	s_delay_alu instid0(VALU_DEP_2) | instskip(NEXT) | instid1(VALU_DEP_1)
	v_add_co_ci_u32_e32 v14, vcc_lo, v16, v14, vcc_lo
	v_dual_mov_b32 v22, v14 :: v_dual_mov_b32 v21, v13
; %bb.98:
	s_or_b32 exec_lo, exec_lo, s0
	v_mov_b32_dpp v13, v15 row_shr:4 row_mask:0xf bank_mask:0xf
	v_mov_b32_dpp v16, v14 row_shr:4 row_mask:0xf bank_mask:0xf
	s_mov_b32 s0, exec_lo
	v_cmpx_lt_u32_e32 3, v44
; %bb.99:
	s_delay_alu instid0(VALU_DEP_3) | instskip(SKIP_1) | instid1(VALU_DEP_2)
	v_add_co_u32 v15, vcc_lo, v21, v13
	v_add_co_ci_u32_e32 v14, vcc_lo, 0, v22, vcc_lo
	v_add_co_u32 v13, vcc_lo, 0, v15
	s_delay_alu instid0(VALU_DEP_2) | instskip(NEXT) | instid1(VALU_DEP_1)
	v_add_co_ci_u32_e32 v14, vcc_lo, v16, v14, vcc_lo
	v_dual_mov_b32 v22, v14 :: v_dual_mov_b32 v21, v13
; %bb.100:
	s_or_b32 exec_lo, exec_lo, s0
	v_mov_b32_dpp v16, v15 row_shr:8 row_mask:0xf bank_mask:0xf
	v_mov_b32_dpp v13, v14 row_shr:8 row_mask:0xf bank_mask:0xf
	s_mov_b32 s0, exec_lo
	v_cmpx_lt_u32_e32 7, v44
; %bb.101:
	s_delay_alu instid0(VALU_DEP_3) | instskip(SKIP_1) | instid1(VALU_DEP_2)
	v_add_co_u32 v15, vcc_lo, v21, v16
	v_add_co_ci_u32_e32 v14, vcc_lo, 0, v22, vcc_lo
	v_add_co_u32 v21, vcc_lo, 0, v15
	s_delay_alu instid0(VALU_DEP_2) | instskip(NEXT) | instid1(VALU_DEP_1)
	v_add_co_ci_u32_e32 v22, vcc_lo, v13, v14, vcc_lo
	v_mov_b32_e32 v14, v22
; %bb.102:
	s_or_b32 exec_lo, exec_lo, s0
	ds_swizzle_b32 v15, v15 offset:swizzle(BROADCAST,32,15)
	ds_swizzle_b32 v13, v14 offset:swizzle(BROADCAST,32,15)
	v_and_b32_e32 v14, 16, v42
	s_mov_b32 s0, exec_lo
	s_delay_alu instid0(VALU_DEP_1)
	v_cmpx_ne_u32_e32 0, v14
	s_cbranch_execz .LBB131_104
; %bb.103:
	s_waitcnt lgkmcnt(1)
	v_add_co_u32 v14, vcc_lo, v21, v15
	v_add_co_ci_u32_e32 v15, vcc_lo, 0, v22, vcc_lo
	s_delay_alu instid0(VALU_DEP_2) | instskip(SKIP_1) | instid1(VALU_DEP_2)
	v_add_co_u32 v21, vcc_lo, v14, 0
	s_waitcnt lgkmcnt(0)
	v_add_co_ci_u32_e32 v22, vcc_lo, v15, v13, vcc_lo
.LBB131_104:
	s_or_b32 exec_lo, exec_lo, s0
	s_waitcnt lgkmcnt(0)
	v_or_b32_e32 v13, 31, v0
	v_lshrrev_b32_e32 v15, 5, v0
	s_mov_b32 s0, exec_lo
	s_delay_alu instid0(VALU_DEP_2)
	v_cmpx_eq_u32_e64 v13, v0
	s_cbranch_execz .LBB131_106
; %bb.105:
	s_delay_alu instid0(VALU_DEP_2)
	v_lshlrev_b32_e32 v13, 3, v15
	ds_store_b64 v13, v[21:22]
.LBB131_106:
	s_or_b32 exec_lo, exec_lo, s0
	s_delay_alu instid0(SALU_CYCLE_1)
	s_mov_b32 s0, exec_lo
	s_waitcnt lgkmcnt(0)
	s_barrier
	buffer_gl0_inv
	v_cmpx_gt_u32_e32 4, v0
	s_cbranch_execz .LBB131_112
; %bb.107:
	v_lshlrev_b32_e32 v13, 1, v0
	s_mov_b32 s1, exec_lo
	s_delay_alu instid0(VALU_DEP_1)
	v_add_nc_u32_e32 v16, v43, v13
	ds_load_b64 v[13:14], v16
	s_waitcnt lgkmcnt(0)
	v_dual_mov_b32 v18, v13 :: v_dual_and_b32 v17, 3, v42
	v_mov_b32_dpp v20, v13 row_shr:1 row_mask:0xf bank_mask:0xf
	v_mov_b32_dpp v19, v14 row_shr:1 row_mask:0xf bank_mask:0xf
	s_delay_alu instid0(VALU_DEP_3)
	v_cmpx_ne_u32_e32 0, v17
; %bb.108:
	s_delay_alu instid0(VALU_DEP_3) | instskip(SKIP_1) | instid1(VALU_DEP_2)
	v_add_co_u32 v18, vcc_lo, v13, v20
	v_add_co_ci_u32_e32 v14, vcc_lo, 0, v14, vcc_lo
	v_add_co_u32 v13, vcc_lo, 0, v18
	s_delay_alu instid0(VALU_DEP_2)
	v_add_co_ci_u32_e32 v14, vcc_lo, v19, v14, vcc_lo
; %bb.109:
	s_or_b32 exec_lo, exec_lo, s1
	v_mov_b32_dpp v19, v18 row_shr:2 row_mask:0xf bank_mask:0xf
	s_delay_alu instid0(VALU_DEP_2)
	v_mov_b32_dpp v18, v14 row_shr:2 row_mask:0xf bank_mask:0xf
	s_mov_b32 s1, exec_lo
	v_cmpx_lt_u32_e32 1, v17
; %bb.110:
	s_delay_alu instid0(VALU_DEP_3) | instskip(SKIP_1) | instid1(VALU_DEP_2)
	v_add_co_u32 v13, vcc_lo, v13, v19
	v_add_co_ci_u32_e32 v14, vcc_lo, 0, v14, vcc_lo
	v_add_co_u32 v13, vcc_lo, v13, 0
	s_delay_alu instid0(VALU_DEP_2)
	v_add_co_ci_u32_e32 v14, vcc_lo, v14, v18, vcc_lo
; %bb.111:
	s_or_b32 exec_lo, exec_lo, s1
	ds_store_b64 v16, v[13:14]
.LBB131_112:
	s_or_b32 exec_lo, exec_lo, s0
	v_mov_b32_e32 v17, 0
	v_mov_b32_e32 v18, 0
	s_mov_b32 s0, exec_lo
	s_waitcnt lgkmcnt(0)
	s_barrier
	buffer_gl0_inv
	v_cmpx_lt_u32_e32 31, v0
	s_cbranch_execz .LBB131_114
; %bb.113:
	v_lshl_add_u32 v13, v15, 3, -8
	ds_load_b64 v[17:18], v13
.LBB131_114:
	s_or_b32 exec_lo, exec_lo, s0
	v_dual_mov_b32 v16, 0 :: v_dual_add_nc_u32 v13, -1, v42
	s_delay_alu instid0(VALU_DEP_1) | instskip(SKIP_4) | instid1(VALU_DEP_3)
	v_cmp_gt_i32_e32 vcc_lo, 0, v13
	v_cndmask_b32_e32 v13, v13, v42, vcc_lo
	s_waitcnt lgkmcnt(0)
	v_add_co_u32 v14, vcc_lo, v17, v21
	v_add_co_ci_u32_e32 v15, vcc_lo, v18, v22, vcc_lo
	v_lshlrev_b32_e32 v13, 2, v13
	ds_bpermute_b32 v19, v13, v14
	ds_bpermute_b32 v20, v13, v15
	ds_load_b64 v[13:14], v16 offset:24
	s_and_saveexec_b32 s0, s2
	s_cbranch_execz .LBB131_116
; %bb.115:
	s_add_u32 s10, s14, 0x200
	s_addc_u32 s11, s15, 0
	s_delay_alu instid0(SALU_CYCLE_1)
	v_dual_mov_b32 v15, 2 :: v_dual_mov_b32 v22, s11
	v_mov_b32_e32 v21, s10
	s_waitcnt lgkmcnt(0)
	;;#ASMSTART
	global_store_dwordx4 v[21:22], v[13:16] off	
s_waitcnt vmcnt(0)
	;;#ASMEND
.LBB131_116:
	s_or_b32 exec_lo, exec_lo, s0
	v_cmp_eq_u32_e32 vcc_lo, 0, v42
	s_waitcnt lgkmcnt(0)
	s_barrier
	buffer_gl0_inv
	v_dual_cndmask_b32 v15, v19, v17 :: v_dual_cndmask_b32 v16, v20, v18
	s_delay_alu instid0(VALU_DEP_1) | instskip(NEXT) | instid1(VALU_DEP_2)
	v_cndmask_b32_e64 v29, v15, 0, s2
	v_cndmask_b32_e64 v30, v16, 0, s2
	v_mov_b32_e32 v15, 0
	v_mov_b32_e32 v16, 0
	s_delay_alu instid0(VALU_DEP_4) | instskip(NEXT) | instid1(VALU_DEP_4)
	v_add_co_u32 v27, vcc_lo, v29, v41
	v_add_co_ci_u32_e32 v28, vcc_lo, 0, v30, vcc_lo
	s_delay_alu instid0(VALU_DEP_2) | instskip(NEXT) | instid1(VALU_DEP_2)
	v_add_co_u32 v25, vcc_lo, v27, v40
	v_add_co_ci_u32_e32 v26, vcc_lo, 0, v28, vcc_lo
	s_delay_alu instid0(VALU_DEP_2) | instskip(NEXT) | instid1(VALU_DEP_2)
	;; [unrolled: 3-line block ×4, first 2 shown]
	v_add_co_u32 v17, vcc_lo, v19, v37
	v_add_co_ci_u32_e32 v18, vcc_lo, 0, v20, vcc_lo
	v_cmp_gt_u64_e32 vcc_lo, 0x81, v[13:14]
	s_mov_b32 s0, -1
	s_cbranch_vccz .LBB131_90
.LBB131_117:
	v_add_co_u32 v21, vcc_lo, v15, v13
	v_add_co_ci_u32_e32 v22, vcc_lo, v16, v14, vcc_lo
	s_delay_alu instid0(VALU_DEP_1) | instskip(SKIP_1) | instid1(SALU_CYCLE_1)
	v_cmp_lt_u64_e32 vcc_lo, v[29:30], v[21:22]
	s_or_b32 s1, s8, vcc_lo
	s_and_saveexec_b32 s0, s1
	s_cbranch_execz .LBB131_120
; %bb.118:
	v_and_b32_e32 v37, 1, v36
	s_delay_alu instid0(VALU_DEP_1)
	v_cmp_eq_u32_e32 vcc_lo, 1, v37
	s_and_b32 exec_lo, exec_lo, vcc_lo
	s_cbranch_execz .LBB131_120
; %bb.119:
	v_lshlrev_b64 v[37:38], 3, v[29:30]
	s_lshl_b64 s[10:11], s[6:7], 3
	s_delay_alu instid0(SALU_CYCLE_1) | instskip(SKIP_1) | instid1(VALU_DEP_1)
	s_add_u32 s1, s12, s10
	s_addc_u32 s9, s13, s11
	v_add_co_u32 v37, vcc_lo, s1, v37
	s_delay_alu instid0(VALU_DEP_2)
	v_add_co_ci_u32_e32 v38, vcc_lo, s9, v38, vcc_lo
	global_store_b64 v[37:38], v[9:10], off
.LBB131_120:
	s_or_b32 exec_lo, exec_lo, s0
	v_cmp_lt_u64_e32 vcc_lo, v[27:28], v[21:22]
	s_or_b32 s1, s8, vcc_lo
	s_delay_alu instid0(SALU_CYCLE_1)
	s_and_saveexec_b32 s0, s1
	s_cbranch_execz .LBB131_123
; %bb.121:
	v_and_b32_e32 v30, 1, v34
	s_delay_alu instid0(VALU_DEP_1)
	v_cmp_eq_u32_e32 vcc_lo, 1, v30
	s_and_b32 exec_lo, exec_lo, vcc_lo
	s_cbranch_execz .LBB131_123
; %bb.122:
	v_lshlrev_b64 v[37:38], 3, v[27:28]
	s_lshl_b64 s[10:11], s[6:7], 3
	s_delay_alu instid0(SALU_CYCLE_1) | instskip(SKIP_1) | instid1(VALU_DEP_1)
	s_add_u32 s1, s12, s10
	s_addc_u32 s9, s13, s11
	v_add_co_u32 v37, vcc_lo, s1, v37
	s_delay_alu instid0(VALU_DEP_2)
	v_add_co_ci_u32_e32 v38, vcc_lo, s9, v38, vcc_lo
	global_store_b64 v[37:38], v[11:12], off
.LBB131_123:
	s_or_b32 exec_lo, exec_lo, s0
	v_cmp_lt_u64_e32 vcc_lo, v[25:26], v[21:22]
	s_or_b32 s1, s8, vcc_lo
	s_delay_alu instid0(SALU_CYCLE_1)
	;; [unrolled: 23-line block ×5, first 2 shown]
	s_and_saveexec_b32 s0, s1
	s_cbranch_execz .LBB131_135
; %bb.133:
	v_and_b32_e32 v20, 1, v32
	s_delay_alu instid0(VALU_DEP_1)
	v_cmp_eq_u32_e32 vcc_lo, 1, v20
	s_and_b32 exec_lo, exec_lo, vcc_lo
	s_cbranch_execz .LBB131_135
; %bb.134:
	v_lshlrev_b64 v[20:21], 3, v[17:18]
	s_lshl_b64 s[8:9], s[6:7], 3
	s_delay_alu instid0(SALU_CYCLE_1) | instskip(SKIP_1) | instid1(VALU_DEP_1)
	s_add_u32 s1, s12, s8
	s_addc_u32 s8, s13, s9
	v_add_co_u32 v20, vcc_lo, s1, v20
	s_delay_alu instid0(VALU_DEP_2)
	v_add_co_ci_u32_e32 v21, vcc_lo, s8, v21, vcc_lo
	global_store_b64 v[20:21], v[3:4], off
.LBB131_135:
	s_or_b32 exec_lo, exec_lo, s0
	s_branch .LBB131_91
.LBB131_136:
	v_and_b32_e32 v18, 1, v36
	s_mov_b32 s0, exec_lo
	s_delay_alu instid0(VALU_DEP_1)
	v_cmpx_eq_u32_e32 1, v18
	s_cbranch_execz .LBB131_138
; %bb.137:
	v_sub_nc_u32_e32 v18, v29, v15
	s_delay_alu instid0(VALU_DEP_1)
	v_lshlrev_b32_e32 v18, 3, v18
	ds_store_b64 v18, v[9:10]
.LBB131_138:
	s_or_b32 exec_lo, exec_lo, s0
	v_and_b32_e32 v9, 1, v34
	s_mov_b32 s0, exec_lo
	s_delay_alu instid0(VALU_DEP_1)
	v_cmpx_eq_u32_e32 1, v9
	s_cbranch_execz .LBB131_140
; %bb.139:
	v_sub_nc_u32_e32 v9, v27, v15
	s_delay_alu instid0(VALU_DEP_1)
	v_lshlrev_b32_e32 v9, 3, v9
	ds_store_b64 v9, v[11:12]
.LBB131_140:
	s_or_b32 exec_lo, exec_lo, s0
	;; [unrolled: 12-line block ×6, first 2 shown]
	v_mov_b32_e32 v1, 0
	s_mov_b32 s1, exec_lo
	s_waitcnt lgkmcnt(0)
	s_waitcnt_vscnt null, 0x0
	s_barrier
	buffer_gl0_inv
	v_cmpx_gt_u64_e64 v[13:14], v[0:1]
	s_cbranch_execz .LBB131_151
; %bb.149:
	v_lshlrev_b64 v[4:5], 3, v[15:16]
	s_lshl_b64 s[8:9], s[6:7], 3
	v_dual_mov_b32 v3, v1 :: v_dual_mov_b32 v2, v0
	v_or_b32_e32 v0, 0x80, v0
	s_delay_alu instid0(VALU_DEP_3) | instskip(NEXT) | instid1(VALU_DEP_4)
	v_add_co_u32 v4, vcc_lo, s12, v4
	v_add_co_ci_u32_e32 v5, vcc_lo, s13, v5, vcc_lo
	s_delay_alu instid0(VALU_DEP_2) | instskip(NEXT) | instid1(VALU_DEP_2)
	v_add_co_u32 v4, vcc_lo, v4, s8
	v_add_co_ci_u32_e32 v5, vcc_lo, s9, v5, vcc_lo
	s_mov_b32 s8, 0
	.p2align	6
.LBB131_150:                            ; =>This Inner Loop Header: Depth=1
	v_lshlrev_b32_e32 v6, 3, v2
	v_lshlrev_b64 v[8:9], 3, v[2:3]
	v_mov_b32_e32 v3, v1
	v_cmp_le_u64_e32 vcc_lo, v[13:14], v[0:1]
	v_mov_b32_e32 v2, v0
	ds_load_b64 v[6:7], v6
	v_add_nc_u32_e32 v0, 0x80, v0
	v_add_co_u32 v8, s0, v4, v8
	s_delay_alu instid0(VALU_DEP_1)
	v_add_co_ci_u32_e64 v9, s0, v5, v9, s0
	s_or_b32 s8, vcc_lo, s8
	s_waitcnt lgkmcnt(0)
	global_store_b64 v[8:9], v[6:7], off
	s_and_not1_b32 exec_lo, exec_lo, s8
	s_cbranch_execnz .LBB131_150
.LBB131_151:
	s_or_b32 exec_lo, exec_lo, s1
	s_and_b32 s0, s2, s3
	s_delay_alu instid0(SALU_CYCLE_1)
	s_and_saveexec_b32 s1, s0
	s_cbranch_execz .LBB131_92
.LBB131_152:
	v_add_co_u32 v0, vcc_lo, v15, v13
	v_add_co_ci_u32_e32 v1, vcc_lo, v16, v14, vcc_lo
	v_mov_b32_e32 v2, 0
	s_delay_alu instid0(VALU_DEP_3) | instskip(NEXT) | instid1(VALU_DEP_3)
	v_add_co_u32 v0, vcc_lo, v0, s6
	v_add_co_ci_u32_e32 v1, vcc_lo, s7, v1, vcc_lo
	global_store_b64 v2, v[0:1], s[4:5]
	s_nop 0
	s_sendmsg sendmsg(MSG_DEALLOC_VGPRS)
	s_endpgm
	.section	.rodata,"a",@progbits
	.p2align	6, 0x0
	.amdhsa_kernel _ZN7rocprim17ROCPRIM_400000_NS6detail17trampoline_kernelINS0_14default_configENS1_25partition_config_selectorILNS1_17partition_subalgoE5ElNS0_10empty_typeEbEEZZNS1_14partition_implILS5_5ELb0ES3_mN6hipcub16HIPCUB_304000_NS21CountingInputIteratorIllEEPS6_NSA_22TransformInputIteratorIb7NonZeroIsEPslEENS0_5tupleIJPlS6_EEENSJ_IJSD_SD_EEES6_SK_JS6_EEE10hipError_tPvRmT3_T4_T5_T6_T7_T9_mT8_P12ihipStream_tbDpT10_ENKUlT_T0_E_clISt17integral_constantIbLb1EES16_EEDaS11_S12_EUlS11_E_NS1_11comp_targetILNS1_3genE9ELNS1_11target_archE1100ELNS1_3gpuE3ELNS1_3repE0EEENS1_30default_config_static_selectorELNS0_4arch9wavefront6targetE0EEEvT1_
		.amdhsa_group_segment_fixed_size 6160
		.amdhsa_private_segment_fixed_size 0
		.amdhsa_kernarg_size 136
		.amdhsa_user_sgpr_count 15
		.amdhsa_user_sgpr_dispatch_ptr 0
		.amdhsa_user_sgpr_queue_ptr 0
		.amdhsa_user_sgpr_kernarg_segment_ptr 1
		.amdhsa_user_sgpr_dispatch_id 0
		.amdhsa_user_sgpr_private_segment_size 0
		.amdhsa_wavefront_size32 1
		.amdhsa_uses_dynamic_stack 0
		.amdhsa_enable_private_segment 0
		.amdhsa_system_sgpr_workgroup_id_x 1
		.amdhsa_system_sgpr_workgroup_id_y 0
		.amdhsa_system_sgpr_workgroup_id_z 0
		.amdhsa_system_sgpr_workgroup_info 0
		.amdhsa_system_vgpr_workitem_id 0
		.amdhsa_next_free_vgpr 57
		.amdhsa_next_free_sgpr 24
		.amdhsa_reserve_vcc 1
		.amdhsa_float_round_mode_32 0
		.amdhsa_float_round_mode_16_64 0
		.amdhsa_float_denorm_mode_32 3
		.amdhsa_float_denorm_mode_16_64 3
		.amdhsa_dx10_clamp 1
		.amdhsa_ieee_mode 1
		.amdhsa_fp16_overflow 0
		.amdhsa_workgroup_processor_mode 1
		.amdhsa_memory_ordered 1
		.amdhsa_forward_progress 0
		.amdhsa_shared_vgpr_count 0
		.amdhsa_exception_fp_ieee_invalid_op 0
		.amdhsa_exception_fp_denorm_src 0
		.amdhsa_exception_fp_ieee_div_zero 0
		.amdhsa_exception_fp_ieee_overflow 0
		.amdhsa_exception_fp_ieee_underflow 0
		.amdhsa_exception_fp_ieee_inexact 0
		.amdhsa_exception_int_div_zero 0
	.end_amdhsa_kernel
	.section	.text._ZN7rocprim17ROCPRIM_400000_NS6detail17trampoline_kernelINS0_14default_configENS1_25partition_config_selectorILNS1_17partition_subalgoE5ElNS0_10empty_typeEbEEZZNS1_14partition_implILS5_5ELb0ES3_mN6hipcub16HIPCUB_304000_NS21CountingInputIteratorIllEEPS6_NSA_22TransformInputIteratorIb7NonZeroIsEPslEENS0_5tupleIJPlS6_EEENSJ_IJSD_SD_EEES6_SK_JS6_EEE10hipError_tPvRmT3_T4_T5_T6_T7_T9_mT8_P12ihipStream_tbDpT10_ENKUlT_T0_E_clISt17integral_constantIbLb1EES16_EEDaS11_S12_EUlS11_E_NS1_11comp_targetILNS1_3genE9ELNS1_11target_archE1100ELNS1_3gpuE3ELNS1_3repE0EEENS1_30default_config_static_selectorELNS0_4arch9wavefront6targetE0EEEvT1_,"axG",@progbits,_ZN7rocprim17ROCPRIM_400000_NS6detail17trampoline_kernelINS0_14default_configENS1_25partition_config_selectorILNS1_17partition_subalgoE5ElNS0_10empty_typeEbEEZZNS1_14partition_implILS5_5ELb0ES3_mN6hipcub16HIPCUB_304000_NS21CountingInputIteratorIllEEPS6_NSA_22TransformInputIteratorIb7NonZeroIsEPslEENS0_5tupleIJPlS6_EEENSJ_IJSD_SD_EEES6_SK_JS6_EEE10hipError_tPvRmT3_T4_T5_T6_T7_T9_mT8_P12ihipStream_tbDpT10_ENKUlT_T0_E_clISt17integral_constantIbLb1EES16_EEDaS11_S12_EUlS11_E_NS1_11comp_targetILNS1_3genE9ELNS1_11target_archE1100ELNS1_3gpuE3ELNS1_3repE0EEENS1_30default_config_static_selectorELNS0_4arch9wavefront6targetE0EEEvT1_,comdat
.Lfunc_end131:
	.size	_ZN7rocprim17ROCPRIM_400000_NS6detail17trampoline_kernelINS0_14default_configENS1_25partition_config_selectorILNS1_17partition_subalgoE5ElNS0_10empty_typeEbEEZZNS1_14partition_implILS5_5ELb0ES3_mN6hipcub16HIPCUB_304000_NS21CountingInputIteratorIllEEPS6_NSA_22TransformInputIteratorIb7NonZeroIsEPslEENS0_5tupleIJPlS6_EEENSJ_IJSD_SD_EEES6_SK_JS6_EEE10hipError_tPvRmT3_T4_T5_T6_T7_T9_mT8_P12ihipStream_tbDpT10_ENKUlT_T0_E_clISt17integral_constantIbLb1EES16_EEDaS11_S12_EUlS11_E_NS1_11comp_targetILNS1_3genE9ELNS1_11target_archE1100ELNS1_3gpuE3ELNS1_3repE0EEENS1_30default_config_static_selectorELNS0_4arch9wavefront6targetE0EEEvT1_, .Lfunc_end131-_ZN7rocprim17ROCPRIM_400000_NS6detail17trampoline_kernelINS0_14default_configENS1_25partition_config_selectorILNS1_17partition_subalgoE5ElNS0_10empty_typeEbEEZZNS1_14partition_implILS5_5ELb0ES3_mN6hipcub16HIPCUB_304000_NS21CountingInputIteratorIllEEPS6_NSA_22TransformInputIteratorIb7NonZeroIsEPslEENS0_5tupleIJPlS6_EEENSJ_IJSD_SD_EEES6_SK_JS6_EEE10hipError_tPvRmT3_T4_T5_T6_T7_T9_mT8_P12ihipStream_tbDpT10_ENKUlT_T0_E_clISt17integral_constantIbLb1EES16_EEDaS11_S12_EUlS11_E_NS1_11comp_targetILNS1_3genE9ELNS1_11target_archE1100ELNS1_3gpuE3ELNS1_3repE0EEENS1_30default_config_static_selectorELNS0_4arch9wavefront6targetE0EEEvT1_
                                        ; -- End function
	.section	.AMDGPU.csdata,"",@progbits
; Kernel info:
; codeLenInByte = 6608
; NumSgprs: 26
; NumVgprs: 57
; ScratchSize: 0
; MemoryBound: 0
; FloatMode: 240
; IeeeMode: 1
; LDSByteSize: 6160 bytes/workgroup (compile time only)
; SGPRBlocks: 3
; VGPRBlocks: 7
; NumSGPRsForWavesPerEU: 26
; NumVGPRsForWavesPerEU: 57
; Occupancy: 16
; WaveLimiterHint : 1
; COMPUTE_PGM_RSRC2:SCRATCH_EN: 0
; COMPUTE_PGM_RSRC2:USER_SGPR: 15
; COMPUTE_PGM_RSRC2:TRAP_HANDLER: 0
; COMPUTE_PGM_RSRC2:TGID_X_EN: 1
; COMPUTE_PGM_RSRC2:TGID_Y_EN: 0
; COMPUTE_PGM_RSRC2:TGID_Z_EN: 0
; COMPUTE_PGM_RSRC2:TIDIG_COMP_CNT: 0
	.section	.text._ZN7rocprim17ROCPRIM_400000_NS6detail17trampoline_kernelINS0_14default_configENS1_25partition_config_selectorILNS1_17partition_subalgoE5ElNS0_10empty_typeEbEEZZNS1_14partition_implILS5_5ELb0ES3_mN6hipcub16HIPCUB_304000_NS21CountingInputIteratorIllEEPS6_NSA_22TransformInputIteratorIb7NonZeroIsEPslEENS0_5tupleIJPlS6_EEENSJ_IJSD_SD_EEES6_SK_JS6_EEE10hipError_tPvRmT3_T4_T5_T6_T7_T9_mT8_P12ihipStream_tbDpT10_ENKUlT_T0_E_clISt17integral_constantIbLb1EES16_EEDaS11_S12_EUlS11_E_NS1_11comp_targetILNS1_3genE8ELNS1_11target_archE1030ELNS1_3gpuE2ELNS1_3repE0EEENS1_30default_config_static_selectorELNS0_4arch9wavefront6targetE0EEEvT1_,"axG",@progbits,_ZN7rocprim17ROCPRIM_400000_NS6detail17trampoline_kernelINS0_14default_configENS1_25partition_config_selectorILNS1_17partition_subalgoE5ElNS0_10empty_typeEbEEZZNS1_14partition_implILS5_5ELb0ES3_mN6hipcub16HIPCUB_304000_NS21CountingInputIteratorIllEEPS6_NSA_22TransformInputIteratorIb7NonZeroIsEPslEENS0_5tupleIJPlS6_EEENSJ_IJSD_SD_EEES6_SK_JS6_EEE10hipError_tPvRmT3_T4_T5_T6_T7_T9_mT8_P12ihipStream_tbDpT10_ENKUlT_T0_E_clISt17integral_constantIbLb1EES16_EEDaS11_S12_EUlS11_E_NS1_11comp_targetILNS1_3genE8ELNS1_11target_archE1030ELNS1_3gpuE2ELNS1_3repE0EEENS1_30default_config_static_selectorELNS0_4arch9wavefront6targetE0EEEvT1_,comdat
	.protected	_ZN7rocprim17ROCPRIM_400000_NS6detail17trampoline_kernelINS0_14default_configENS1_25partition_config_selectorILNS1_17partition_subalgoE5ElNS0_10empty_typeEbEEZZNS1_14partition_implILS5_5ELb0ES3_mN6hipcub16HIPCUB_304000_NS21CountingInputIteratorIllEEPS6_NSA_22TransformInputIteratorIb7NonZeroIsEPslEENS0_5tupleIJPlS6_EEENSJ_IJSD_SD_EEES6_SK_JS6_EEE10hipError_tPvRmT3_T4_T5_T6_T7_T9_mT8_P12ihipStream_tbDpT10_ENKUlT_T0_E_clISt17integral_constantIbLb1EES16_EEDaS11_S12_EUlS11_E_NS1_11comp_targetILNS1_3genE8ELNS1_11target_archE1030ELNS1_3gpuE2ELNS1_3repE0EEENS1_30default_config_static_selectorELNS0_4arch9wavefront6targetE0EEEvT1_ ; -- Begin function _ZN7rocprim17ROCPRIM_400000_NS6detail17trampoline_kernelINS0_14default_configENS1_25partition_config_selectorILNS1_17partition_subalgoE5ElNS0_10empty_typeEbEEZZNS1_14partition_implILS5_5ELb0ES3_mN6hipcub16HIPCUB_304000_NS21CountingInputIteratorIllEEPS6_NSA_22TransformInputIteratorIb7NonZeroIsEPslEENS0_5tupleIJPlS6_EEENSJ_IJSD_SD_EEES6_SK_JS6_EEE10hipError_tPvRmT3_T4_T5_T6_T7_T9_mT8_P12ihipStream_tbDpT10_ENKUlT_T0_E_clISt17integral_constantIbLb1EES16_EEDaS11_S12_EUlS11_E_NS1_11comp_targetILNS1_3genE8ELNS1_11target_archE1030ELNS1_3gpuE2ELNS1_3repE0EEENS1_30default_config_static_selectorELNS0_4arch9wavefront6targetE0EEEvT1_
	.globl	_ZN7rocprim17ROCPRIM_400000_NS6detail17trampoline_kernelINS0_14default_configENS1_25partition_config_selectorILNS1_17partition_subalgoE5ElNS0_10empty_typeEbEEZZNS1_14partition_implILS5_5ELb0ES3_mN6hipcub16HIPCUB_304000_NS21CountingInputIteratorIllEEPS6_NSA_22TransformInputIteratorIb7NonZeroIsEPslEENS0_5tupleIJPlS6_EEENSJ_IJSD_SD_EEES6_SK_JS6_EEE10hipError_tPvRmT3_T4_T5_T6_T7_T9_mT8_P12ihipStream_tbDpT10_ENKUlT_T0_E_clISt17integral_constantIbLb1EES16_EEDaS11_S12_EUlS11_E_NS1_11comp_targetILNS1_3genE8ELNS1_11target_archE1030ELNS1_3gpuE2ELNS1_3repE0EEENS1_30default_config_static_selectorELNS0_4arch9wavefront6targetE0EEEvT1_
	.p2align	8
	.type	_ZN7rocprim17ROCPRIM_400000_NS6detail17trampoline_kernelINS0_14default_configENS1_25partition_config_selectorILNS1_17partition_subalgoE5ElNS0_10empty_typeEbEEZZNS1_14partition_implILS5_5ELb0ES3_mN6hipcub16HIPCUB_304000_NS21CountingInputIteratorIllEEPS6_NSA_22TransformInputIteratorIb7NonZeroIsEPslEENS0_5tupleIJPlS6_EEENSJ_IJSD_SD_EEES6_SK_JS6_EEE10hipError_tPvRmT3_T4_T5_T6_T7_T9_mT8_P12ihipStream_tbDpT10_ENKUlT_T0_E_clISt17integral_constantIbLb1EES16_EEDaS11_S12_EUlS11_E_NS1_11comp_targetILNS1_3genE8ELNS1_11target_archE1030ELNS1_3gpuE2ELNS1_3repE0EEENS1_30default_config_static_selectorELNS0_4arch9wavefront6targetE0EEEvT1_,@function
_ZN7rocprim17ROCPRIM_400000_NS6detail17trampoline_kernelINS0_14default_configENS1_25partition_config_selectorILNS1_17partition_subalgoE5ElNS0_10empty_typeEbEEZZNS1_14partition_implILS5_5ELb0ES3_mN6hipcub16HIPCUB_304000_NS21CountingInputIteratorIllEEPS6_NSA_22TransformInputIteratorIb7NonZeroIsEPslEENS0_5tupleIJPlS6_EEENSJ_IJSD_SD_EEES6_SK_JS6_EEE10hipError_tPvRmT3_T4_T5_T6_T7_T9_mT8_P12ihipStream_tbDpT10_ENKUlT_T0_E_clISt17integral_constantIbLb1EES16_EEDaS11_S12_EUlS11_E_NS1_11comp_targetILNS1_3genE8ELNS1_11target_archE1030ELNS1_3gpuE2ELNS1_3repE0EEENS1_30default_config_static_selectorELNS0_4arch9wavefront6targetE0EEEvT1_: ; @_ZN7rocprim17ROCPRIM_400000_NS6detail17trampoline_kernelINS0_14default_configENS1_25partition_config_selectorILNS1_17partition_subalgoE5ElNS0_10empty_typeEbEEZZNS1_14partition_implILS5_5ELb0ES3_mN6hipcub16HIPCUB_304000_NS21CountingInputIteratorIllEEPS6_NSA_22TransformInputIteratorIb7NonZeroIsEPslEENS0_5tupleIJPlS6_EEENSJ_IJSD_SD_EEES6_SK_JS6_EEE10hipError_tPvRmT3_T4_T5_T6_T7_T9_mT8_P12ihipStream_tbDpT10_ENKUlT_T0_E_clISt17integral_constantIbLb1EES16_EEDaS11_S12_EUlS11_E_NS1_11comp_targetILNS1_3genE8ELNS1_11target_archE1030ELNS1_3gpuE2ELNS1_3repE0EEENS1_30default_config_static_selectorELNS0_4arch9wavefront6targetE0EEEvT1_
; %bb.0:
	.section	.rodata,"a",@progbits
	.p2align	6, 0x0
	.amdhsa_kernel _ZN7rocprim17ROCPRIM_400000_NS6detail17trampoline_kernelINS0_14default_configENS1_25partition_config_selectorILNS1_17partition_subalgoE5ElNS0_10empty_typeEbEEZZNS1_14partition_implILS5_5ELb0ES3_mN6hipcub16HIPCUB_304000_NS21CountingInputIteratorIllEEPS6_NSA_22TransformInputIteratorIb7NonZeroIsEPslEENS0_5tupleIJPlS6_EEENSJ_IJSD_SD_EEES6_SK_JS6_EEE10hipError_tPvRmT3_T4_T5_T6_T7_T9_mT8_P12ihipStream_tbDpT10_ENKUlT_T0_E_clISt17integral_constantIbLb1EES16_EEDaS11_S12_EUlS11_E_NS1_11comp_targetILNS1_3genE8ELNS1_11target_archE1030ELNS1_3gpuE2ELNS1_3repE0EEENS1_30default_config_static_selectorELNS0_4arch9wavefront6targetE0EEEvT1_
		.amdhsa_group_segment_fixed_size 0
		.amdhsa_private_segment_fixed_size 0
		.amdhsa_kernarg_size 136
		.amdhsa_user_sgpr_count 15
		.amdhsa_user_sgpr_dispatch_ptr 0
		.amdhsa_user_sgpr_queue_ptr 0
		.amdhsa_user_sgpr_kernarg_segment_ptr 1
		.amdhsa_user_sgpr_dispatch_id 0
		.amdhsa_user_sgpr_private_segment_size 0
		.amdhsa_wavefront_size32 1
		.amdhsa_uses_dynamic_stack 0
		.amdhsa_enable_private_segment 0
		.amdhsa_system_sgpr_workgroup_id_x 1
		.amdhsa_system_sgpr_workgroup_id_y 0
		.amdhsa_system_sgpr_workgroup_id_z 0
		.amdhsa_system_sgpr_workgroup_info 0
		.amdhsa_system_vgpr_workitem_id 0
		.amdhsa_next_free_vgpr 1
		.amdhsa_next_free_sgpr 1
		.amdhsa_reserve_vcc 0
		.amdhsa_float_round_mode_32 0
		.amdhsa_float_round_mode_16_64 0
		.amdhsa_float_denorm_mode_32 3
		.amdhsa_float_denorm_mode_16_64 3
		.amdhsa_dx10_clamp 1
		.amdhsa_ieee_mode 1
		.amdhsa_fp16_overflow 0
		.amdhsa_workgroup_processor_mode 1
		.amdhsa_memory_ordered 1
		.amdhsa_forward_progress 0
		.amdhsa_shared_vgpr_count 0
		.amdhsa_exception_fp_ieee_invalid_op 0
		.amdhsa_exception_fp_denorm_src 0
		.amdhsa_exception_fp_ieee_div_zero 0
		.amdhsa_exception_fp_ieee_overflow 0
		.amdhsa_exception_fp_ieee_underflow 0
		.amdhsa_exception_fp_ieee_inexact 0
		.amdhsa_exception_int_div_zero 0
	.end_amdhsa_kernel
	.section	.text._ZN7rocprim17ROCPRIM_400000_NS6detail17trampoline_kernelINS0_14default_configENS1_25partition_config_selectorILNS1_17partition_subalgoE5ElNS0_10empty_typeEbEEZZNS1_14partition_implILS5_5ELb0ES3_mN6hipcub16HIPCUB_304000_NS21CountingInputIteratorIllEEPS6_NSA_22TransformInputIteratorIb7NonZeroIsEPslEENS0_5tupleIJPlS6_EEENSJ_IJSD_SD_EEES6_SK_JS6_EEE10hipError_tPvRmT3_T4_T5_T6_T7_T9_mT8_P12ihipStream_tbDpT10_ENKUlT_T0_E_clISt17integral_constantIbLb1EES16_EEDaS11_S12_EUlS11_E_NS1_11comp_targetILNS1_3genE8ELNS1_11target_archE1030ELNS1_3gpuE2ELNS1_3repE0EEENS1_30default_config_static_selectorELNS0_4arch9wavefront6targetE0EEEvT1_,"axG",@progbits,_ZN7rocprim17ROCPRIM_400000_NS6detail17trampoline_kernelINS0_14default_configENS1_25partition_config_selectorILNS1_17partition_subalgoE5ElNS0_10empty_typeEbEEZZNS1_14partition_implILS5_5ELb0ES3_mN6hipcub16HIPCUB_304000_NS21CountingInputIteratorIllEEPS6_NSA_22TransformInputIteratorIb7NonZeroIsEPslEENS0_5tupleIJPlS6_EEENSJ_IJSD_SD_EEES6_SK_JS6_EEE10hipError_tPvRmT3_T4_T5_T6_T7_T9_mT8_P12ihipStream_tbDpT10_ENKUlT_T0_E_clISt17integral_constantIbLb1EES16_EEDaS11_S12_EUlS11_E_NS1_11comp_targetILNS1_3genE8ELNS1_11target_archE1030ELNS1_3gpuE2ELNS1_3repE0EEENS1_30default_config_static_selectorELNS0_4arch9wavefront6targetE0EEEvT1_,comdat
.Lfunc_end132:
	.size	_ZN7rocprim17ROCPRIM_400000_NS6detail17trampoline_kernelINS0_14default_configENS1_25partition_config_selectorILNS1_17partition_subalgoE5ElNS0_10empty_typeEbEEZZNS1_14partition_implILS5_5ELb0ES3_mN6hipcub16HIPCUB_304000_NS21CountingInputIteratorIllEEPS6_NSA_22TransformInputIteratorIb7NonZeroIsEPslEENS0_5tupleIJPlS6_EEENSJ_IJSD_SD_EEES6_SK_JS6_EEE10hipError_tPvRmT3_T4_T5_T6_T7_T9_mT8_P12ihipStream_tbDpT10_ENKUlT_T0_E_clISt17integral_constantIbLb1EES16_EEDaS11_S12_EUlS11_E_NS1_11comp_targetILNS1_3genE8ELNS1_11target_archE1030ELNS1_3gpuE2ELNS1_3repE0EEENS1_30default_config_static_selectorELNS0_4arch9wavefront6targetE0EEEvT1_, .Lfunc_end132-_ZN7rocprim17ROCPRIM_400000_NS6detail17trampoline_kernelINS0_14default_configENS1_25partition_config_selectorILNS1_17partition_subalgoE5ElNS0_10empty_typeEbEEZZNS1_14partition_implILS5_5ELb0ES3_mN6hipcub16HIPCUB_304000_NS21CountingInputIteratorIllEEPS6_NSA_22TransformInputIteratorIb7NonZeroIsEPslEENS0_5tupleIJPlS6_EEENSJ_IJSD_SD_EEES6_SK_JS6_EEE10hipError_tPvRmT3_T4_T5_T6_T7_T9_mT8_P12ihipStream_tbDpT10_ENKUlT_T0_E_clISt17integral_constantIbLb1EES16_EEDaS11_S12_EUlS11_E_NS1_11comp_targetILNS1_3genE8ELNS1_11target_archE1030ELNS1_3gpuE2ELNS1_3repE0EEENS1_30default_config_static_selectorELNS0_4arch9wavefront6targetE0EEEvT1_
                                        ; -- End function
	.section	.AMDGPU.csdata,"",@progbits
; Kernel info:
; codeLenInByte = 0
; NumSgprs: 0
; NumVgprs: 0
; ScratchSize: 0
; MemoryBound: 0
; FloatMode: 240
; IeeeMode: 1
; LDSByteSize: 0 bytes/workgroup (compile time only)
; SGPRBlocks: 0
; VGPRBlocks: 0
; NumSGPRsForWavesPerEU: 1
; NumVGPRsForWavesPerEU: 1
; Occupancy: 16
; WaveLimiterHint : 0
; COMPUTE_PGM_RSRC2:SCRATCH_EN: 0
; COMPUTE_PGM_RSRC2:USER_SGPR: 15
; COMPUTE_PGM_RSRC2:TRAP_HANDLER: 0
; COMPUTE_PGM_RSRC2:TGID_X_EN: 1
; COMPUTE_PGM_RSRC2:TGID_Y_EN: 0
; COMPUTE_PGM_RSRC2:TGID_Z_EN: 0
; COMPUTE_PGM_RSRC2:TIDIG_COMP_CNT: 0
	.section	.text._ZN7rocprim17ROCPRIM_400000_NS6detail17trampoline_kernelINS0_14default_configENS1_25partition_config_selectorILNS1_17partition_subalgoE5ElNS0_10empty_typeEbEEZZNS1_14partition_implILS5_5ELb0ES3_mN6hipcub16HIPCUB_304000_NS21CountingInputIteratorIllEEPS6_NSA_22TransformInputIteratorIb7NonZeroIsEPslEENS0_5tupleIJPlS6_EEENSJ_IJSD_SD_EEES6_SK_JS6_EEE10hipError_tPvRmT3_T4_T5_T6_T7_T9_mT8_P12ihipStream_tbDpT10_ENKUlT_T0_E_clISt17integral_constantIbLb1EES15_IbLb0EEEEDaS11_S12_EUlS11_E_NS1_11comp_targetILNS1_3genE0ELNS1_11target_archE4294967295ELNS1_3gpuE0ELNS1_3repE0EEENS1_30default_config_static_selectorELNS0_4arch9wavefront6targetE0EEEvT1_,"axG",@progbits,_ZN7rocprim17ROCPRIM_400000_NS6detail17trampoline_kernelINS0_14default_configENS1_25partition_config_selectorILNS1_17partition_subalgoE5ElNS0_10empty_typeEbEEZZNS1_14partition_implILS5_5ELb0ES3_mN6hipcub16HIPCUB_304000_NS21CountingInputIteratorIllEEPS6_NSA_22TransformInputIteratorIb7NonZeroIsEPslEENS0_5tupleIJPlS6_EEENSJ_IJSD_SD_EEES6_SK_JS6_EEE10hipError_tPvRmT3_T4_T5_T6_T7_T9_mT8_P12ihipStream_tbDpT10_ENKUlT_T0_E_clISt17integral_constantIbLb1EES15_IbLb0EEEEDaS11_S12_EUlS11_E_NS1_11comp_targetILNS1_3genE0ELNS1_11target_archE4294967295ELNS1_3gpuE0ELNS1_3repE0EEENS1_30default_config_static_selectorELNS0_4arch9wavefront6targetE0EEEvT1_,comdat
	.protected	_ZN7rocprim17ROCPRIM_400000_NS6detail17trampoline_kernelINS0_14default_configENS1_25partition_config_selectorILNS1_17partition_subalgoE5ElNS0_10empty_typeEbEEZZNS1_14partition_implILS5_5ELb0ES3_mN6hipcub16HIPCUB_304000_NS21CountingInputIteratorIllEEPS6_NSA_22TransformInputIteratorIb7NonZeroIsEPslEENS0_5tupleIJPlS6_EEENSJ_IJSD_SD_EEES6_SK_JS6_EEE10hipError_tPvRmT3_T4_T5_T6_T7_T9_mT8_P12ihipStream_tbDpT10_ENKUlT_T0_E_clISt17integral_constantIbLb1EES15_IbLb0EEEEDaS11_S12_EUlS11_E_NS1_11comp_targetILNS1_3genE0ELNS1_11target_archE4294967295ELNS1_3gpuE0ELNS1_3repE0EEENS1_30default_config_static_selectorELNS0_4arch9wavefront6targetE0EEEvT1_ ; -- Begin function _ZN7rocprim17ROCPRIM_400000_NS6detail17trampoline_kernelINS0_14default_configENS1_25partition_config_selectorILNS1_17partition_subalgoE5ElNS0_10empty_typeEbEEZZNS1_14partition_implILS5_5ELb0ES3_mN6hipcub16HIPCUB_304000_NS21CountingInputIteratorIllEEPS6_NSA_22TransformInputIteratorIb7NonZeroIsEPslEENS0_5tupleIJPlS6_EEENSJ_IJSD_SD_EEES6_SK_JS6_EEE10hipError_tPvRmT3_T4_T5_T6_T7_T9_mT8_P12ihipStream_tbDpT10_ENKUlT_T0_E_clISt17integral_constantIbLb1EES15_IbLb0EEEEDaS11_S12_EUlS11_E_NS1_11comp_targetILNS1_3genE0ELNS1_11target_archE4294967295ELNS1_3gpuE0ELNS1_3repE0EEENS1_30default_config_static_selectorELNS0_4arch9wavefront6targetE0EEEvT1_
	.globl	_ZN7rocprim17ROCPRIM_400000_NS6detail17trampoline_kernelINS0_14default_configENS1_25partition_config_selectorILNS1_17partition_subalgoE5ElNS0_10empty_typeEbEEZZNS1_14partition_implILS5_5ELb0ES3_mN6hipcub16HIPCUB_304000_NS21CountingInputIteratorIllEEPS6_NSA_22TransformInputIteratorIb7NonZeroIsEPslEENS0_5tupleIJPlS6_EEENSJ_IJSD_SD_EEES6_SK_JS6_EEE10hipError_tPvRmT3_T4_T5_T6_T7_T9_mT8_P12ihipStream_tbDpT10_ENKUlT_T0_E_clISt17integral_constantIbLb1EES15_IbLb0EEEEDaS11_S12_EUlS11_E_NS1_11comp_targetILNS1_3genE0ELNS1_11target_archE4294967295ELNS1_3gpuE0ELNS1_3repE0EEENS1_30default_config_static_selectorELNS0_4arch9wavefront6targetE0EEEvT1_
	.p2align	8
	.type	_ZN7rocprim17ROCPRIM_400000_NS6detail17trampoline_kernelINS0_14default_configENS1_25partition_config_selectorILNS1_17partition_subalgoE5ElNS0_10empty_typeEbEEZZNS1_14partition_implILS5_5ELb0ES3_mN6hipcub16HIPCUB_304000_NS21CountingInputIteratorIllEEPS6_NSA_22TransformInputIteratorIb7NonZeroIsEPslEENS0_5tupleIJPlS6_EEENSJ_IJSD_SD_EEES6_SK_JS6_EEE10hipError_tPvRmT3_T4_T5_T6_T7_T9_mT8_P12ihipStream_tbDpT10_ENKUlT_T0_E_clISt17integral_constantIbLb1EES15_IbLb0EEEEDaS11_S12_EUlS11_E_NS1_11comp_targetILNS1_3genE0ELNS1_11target_archE4294967295ELNS1_3gpuE0ELNS1_3repE0EEENS1_30default_config_static_selectorELNS0_4arch9wavefront6targetE0EEEvT1_,@function
_ZN7rocprim17ROCPRIM_400000_NS6detail17trampoline_kernelINS0_14default_configENS1_25partition_config_selectorILNS1_17partition_subalgoE5ElNS0_10empty_typeEbEEZZNS1_14partition_implILS5_5ELb0ES3_mN6hipcub16HIPCUB_304000_NS21CountingInputIteratorIllEEPS6_NSA_22TransformInputIteratorIb7NonZeroIsEPslEENS0_5tupleIJPlS6_EEENSJ_IJSD_SD_EEES6_SK_JS6_EEE10hipError_tPvRmT3_T4_T5_T6_T7_T9_mT8_P12ihipStream_tbDpT10_ENKUlT_T0_E_clISt17integral_constantIbLb1EES15_IbLb0EEEEDaS11_S12_EUlS11_E_NS1_11comp_targetILNS1_3genE0ELNS1_11target_archE4294967295ELNS1_3gpuE0ELNS1_3repE0EEENS1_30default_config_static_selectorELNS0_4arch9wavefront6targetE0EEEvT1_: ; @_ZN7rocprim17ROCPRIM_400000_NS6detail17trampoline_kernelINS0_14default_configENS1_25partition_config_selectorILNS1_17partition_subalgoE5ElNS0_10empty_typeEbEEZZNS1_14partition_implILS5_5ELb0ES3_mN6hipcub16HIPCUB_304000_NS21CountingInputIteratorIllEEPS6_NSA_22TransformInputIteratorIb7NonZeroIsEPslEENS0_5tupleIJPlS6_EEENSJ_IJSD_SD_EEES6_SK_JS6_EEE10hipError_tPvRmT3_T4_T5_T6_T7_T9_mT8_P12ihipStream_tbDpT10_ENKUlT_T0_E_clISt17integral_constantIbLb1EES15_IbLb0EEEEDaS11_S12_EUlS11_E_NS1_11comp_targetILNS1_3genE0ELNS1_11target_archE4294967295ELNS1_3gpuE0ELNS1_3repE0EEENS1_30default_config_static_selectorELNS0_4arch9wavefront6targetE0EEEvT1_
; %bb.0:
	.section	.rodata,"a",@progbits
	.p2align	6, 0x0
	.amdhsa_kernel _ZN7rocprim17ROCPRIM_400000_NS6detail17trampoline_kernelINS0_14default_configENS1_25partition_config_selectorILNS1_17partition_subalgoE5ElNS0_10empty_typeEbEEZZNS1_14partition_implILS5_5ELb0ES3_mN6hipcub16HIPCUB_304000_NS21CountingInputIteratorIllEEPS6_NSA_22TransformInputIteratorIb7NonZeroIsEPslEENS0_5tupleIJPlS6_EEENSJ_IJSD_SD_EEES6_SK_JS6_EEE10hipError_tPvRmT3_T4_T5_T6_T7_T9_mT8_P12ihipStream_tbDpT10_ENKUlT_T0_E_clISt17integral_constantIbLb1EES15_IbLb0EEEEDaS11_S12_EUlS11_E_NS1_11comp_targetILNS1_3genE0ELNS1_11target_archE4294967295ELNS1_3gpuE0ELNS1_3repE0EEENS1_30default_config_static_selectorELNS0_4arch9wavefront6targetE0EEEvT1_
		.amdhsa_group_segment_fixed_size 0
		.amdhsa_private_segment_fixed_size 0
		.amdhsa_kernarg_size 120
		.amdhsa_user_sgpr_count 15
		.amdhsa_user_sgpr_dispatch_ptr 0
		.amdhsa_user_sgpr_queue_ptr 0
		.amdhsa_user_sgpr_kernarg_segment_ptr 1
		.amdhsa_user_sgpr_dispatch_id 0
		.amdhsa_user_sgpr_private_segment_size 0
		.amdhsa_wavefront_size32 1
		.amdhsa_uses_dynamic_stack 0
		.amdhsa_enable_private_segment 0
		.amdhsa_system_sgpr_workgroup_id_x 1
		.amdhsa_system_sgpr_workgroup_id_y 0
		.amdhsa_system_sgpr_workgroup_id_z 0
		.amdhsa_system_sgpr_workgroup_info 0
		.amdhsa_system_vgpr_workitem_id 0
		.amdhsa_next_free_vgpr 1
		.amdhsa_next_free_sgpr 1
		.amdhsa_reserve_vcc 0
		.amdhsa_float_round_mode_32 0
		.amdhsa_float_round_mode_16_64 0
		.amdhsa_float_denorm_mode_32 3
		.amdhsa_float_denorm_mode_16_64 3
		.amdhsa_dx10_clamp 1
		.amdhsa_ieee_mode 1
		.amdhsa_fp16_overflow 0
		.amdhsa_workgroup_processor_mode 1
		.amdhsa_memory_ordered 1
		.amdhsa_forward_progress 0
		.amdhsa_shared_vgpr_count 0
		.amdhsa_exception_fp_ieee_invalid_op 0
		.amdhsa_exception_fp_denorm_src 0
		.amdhsa_exception_fp_ieee_div_zero 0
		.amdhsa_exception_fp_ieee_overflow 0
		.amdhsa_exception_fp_ieee_underflow 0
		.amdhsa_exception_fp_ieee_inexact 0
		.amdhsa_exception_int_div_zero 0
	.end_amdhsa_kernel
	.section	.text._ZN7rocprim17ROCPRIM_400000_NS6detail17trampoline_kernelINS0_14default_configENS1_25partition_config_selectorILNS1_17partition_subalgoE5ElNS0_10empty_typeEbEEZZNS1_14partition_implILS5_5ELb0ES3_mN6hipcub16HIPCUB_304000_NS21CountingInputIteratorIllEEPS6_NSA_22TransformInputIteratorIb7NonZeroIsEPslEENS0_5tupleIJPlS6_EEENSJ_IJSD_SD_EEES6_SK_JS6_EEE10hipError_tPvRmT3_T4_T5_T6_T7_T9_mT8_P12ihipStream_tbDpT10_ENKUlT_T0_E_clISt17integral_constantIbLb1EES15_IbLb0EEEEDaS11_S12_EUlS11_E_NS1_11comp_targetILNS1_3genE0ELNS1_11target_archE4294967295ELNS1_3gpuE0ELNS1_3repE0EEENS1_30default_config_static_selectorELNS0_4arch9wavefront6targetE0EEEvT1_,"axG",@progbits,_ZN7rocprim17ROCPRIM_400000_NS6detail17trampoline_kernelINS0_14default_configENS1_25partition_config_selectorILNS1_17partition_subalgoE5ElNS0_10empty_typeEbEEZZNS1_14partition_implILS5_5ELb0ES3_mN6hipcub16HIPCUB_304000_NS21CountingInputIteratorIllEEPS6_NSA_22TransformInputIteratorIb7NonZeroIsEPslEENS0_5tupleIJPlS6_EEENSJ_IJSD_SD_EEES6_SK_JS6_EEE10hipError_tPvRmT3_T4_T5_T6_T7_T9_mT8_P12ihipStream_tbDpT10_ENKUlT_T0_E_clISt17integral_constantIbLb1EES15_IbLb0EEEEDaS11_S12_EUlS11_E_NS1_11comp_targetILNS1_3genE0ELNS1_11target_archE4294967295ELNS1_3gpuE0ELNS1_3repE0EEENS1_30default_config_static_selectorELNS0_4arch9wavefront6targetE0EEEvT1_,comdat
.Lfunc_end133:
	.size	_ZN7rocprim17ROCPRIM_400000_NS6detail17trampoline_kernelINS0_14default_configENS1_25partition_config_selectorILNS1_17partition_subalgoE5ElNS0_10empty_typeEbEEZZNS1_14partition_implILS5_5ELb0ES3_mN6hipcub16HIPCUB_304000_NS21CountingInputIteratorIllEEPS6_NSA_22TransformInputIteratorIb7NonZeroIsEPslEENS0_5tupleIJPlS6_EEENSJ_IJSD_SD_EEES6_SK_JS6_EEE10hipError_tPvRmT3_T4_T5_T6_T7_T9_mT8_P12ihipStream_tbDpT10_ENKUlT_T0_E_clISt17integral_constantIbLb1EES15_IbLb0EEEEDaS11_S12_EUlS11_E_NS1_11comp_targetILNS1_3genE0ELNS1_11target_archE4294967295ELNS1_3gpuE0ELNS1_3repE0EEENS1_30default_config_static_selectorELNS0_4arch9wavefront6targetE0EEEvT1_, .Lfunc_end133-_ZN7rocprim17ROCPRIM_400000_NS6detail17trampoline_kernelINS0_14default_configENS1_25partition_config_selectorILNS1_17partition_subalgoE5ElNS0_10empty_typeEbEEZZNS1_14partition_implILS5_5ELb0ES3_mN6hipcub16HIPCUB_304000_NS21CountingInputIteratorIllEEPS6_NSA_22TransformInputIteratorIb7NonZeroIsEPslEENS0_5tupleIJPlS6_EEENSJ_IJSD_SD_EEES6_SK_JS6_EEE10hipError_tPvRmT3_T4_T5_T6_T7_T9_mT8_P12ihipStream_tbDpT10_ENKUlT_T0_E_clISt17integral_constantIbLb1EES15_IbLb0EEEEDaS11_S12_EUlS11_E_NS1_11comp_targetILNS1_3genE0ELNS1_11target_archE4294967295ELNS1_3gpuE0ELNS1_3repE0EEENS1_30default_config_static_selectorELNS0_4arch9wavefront6targetE0EEEvT1_
                                        ; -- End function
	.section	.AMDGPU.csdata,"",@progbits
; Kernel info:
; codeLenInByte = 0
; NumSgprs: 0
; NumVgprs: 0
; ScratchSize: 0
; MemoryBound: 0
; FloatMode: 240
; IeeeMode: 1
; LDSByteSize: 0 bytes/workgroup (compile time only)
; SGPRBlocks: 0
; VGPRBlocks: 0
; NumSGPRsForWavesPerEU: 1
; NumVGPRsForWavesPerEU: 1
; Occupancy: 16
; WaveLimiterHint : 0
; COMPUTE_PGM_RSRC2:SCRATCH_EN: 0
; COMPUTE_PGM_RSRC2:USER_SGPR: 15
; COMPUTE_PGM_RSRC2:TRAP_HANDLER: 0
; COMPUTE_PGM_RSRC2:TGID_X_EN: 1
; COMPUTE_PGM_RSRC2:TGID_Y_EN: 0
; COMPUTE_PGM_RSRC2:TGID_Z_EN: 0
; COMPUTE_PGM_RSRC2:TIDIG_COMP_CNT: 0
	.section	.text._ZN7rocprim17ROCPRIM_400000_NS6detail17trampoline_kernelINS0_14default_configENS1_25partition_config_selectorILNS1_17partition_subalgoE5ElNS0_10empty_typeEbEEZZNS1_14partition_implILS5_5ELb0ES3_mN6hipcub16HIPCUB_304000_NS21CountingInputIteratorIllEEPS6_NSA_22TransformInputIteratorIb7NonZeroIsEPslEENS0_5tupleIJPlS6_EEENSJ_IJSD_SD_EEES6_SK_JS6_EEE10hipError_tPvRmT3_T4_T5_T6_T7_T9_mT8_P12ihipStream_tbDpT10_ENKUlT_T0_E_clISt17integral_constantIbLb1EES15_IbLb0EEEEDaS11_S12_EUlS11_E_NS1_11comp_targetILNS1_3genE5ELNS1_11target_archE942ELNS1_3gpuE9ELNS1_3repE0EEENS1_30default_config_static_selectorELNS0_4arch9wavefront6targetE0EEEvT1_,"axG",@progbits,_ZN7rocprim17ROCPRIM_400000_NS6detail17trampoline_kernelINS0_14default_configENS1_25partition_config_selectorILNS1_17partition_subalgoE5ElNS0_10empty_typeEbEEZZNS1_14partition_implILS5_5ELb0ES3_mN6hipcub16HIPCUB_304000_NS21CountingInputIteratorIllEEPS6_NSA_22TransformInputIteratorIb7NonZeroIsEPslEENS0_5tupleIJPlS6_EEENSJ_IJSD_SD_EEES6_SK_JS6_EEE10hipError_tPvRmT3_T4_T5_T6_T7_T9_mT8_P12ihipStream_tbDpT10_ENKUlT_T0_E_clISt17integral_constantIbLb1EES15_IbLb0EEEEDaS11_S12_EUlS11_E_NS1_11comp_targetILNS1_3genE5ELNS1_11target_archE942ELNS1_3gpuE9ELNS1_3repE0EEENS1_30default_config_static_selectorELNS0_4arch9wavefront6targetE0EEEvT1_,comdat
	.protected	_ZN7rocprim17ROCPRIM_400000_NS6detail17trampoline_kernelINS0_14default_configENS1_25partition_config_selectorILNS1_17partition_subalgoE5ElNS0_10empty_typeEbEEZZNS1_14partition_implILS5_5ELb0ES3_mN6hipcub16HIPCUB_304000_NS21CountingInputIteratorIllEEPS6_NSA_22TransformInputIteratorIb7NonZeroIsEPslEENS0_5tupleIJPlS6_EEENSJ_IJSD_SD_EEES6_SK_JS6_EEE10hipError_tPvRmT3_T4_T5_T6_T7_T9_mT8_P12ihipStream_tbDpT10_ENKUlT_T0_E_clISt17integral_constantIbLb1EES15_IbLb0EEEEDaS11_S12_EUlS11_E_NS1_11comp_targetILNS1_3genE5ELNS1_11target_archE942ELNS1_3gpuE9ELNS1_3repE0EEENS1_30default_config_static_selectorELNS0_4arch9wavefront6targetE0EEEvT1_ ; -- Begin function _ZN7rocprim17ROCPRIM_400000_NS6detail17trampoline_kernelINS0_14default_configENS1_25partition_config_selectorILNS1_17partition_subalgoE5ElNS0_10empty_typeEbEEZZNS1_14partition_implILS5_5ELb0ES3_mN6hipcub16HIPCUB_304000_NS21CountingInputIteratorIllEEPS6_NSA_22TransformInputIteratorIb7NonZeroIsEPslEENS0_5tupleIJPlS6_EEENSJ_IJSD_SD_EEES6_SK_JS6_EEE10hipError_tPvRmT3_T4_T5_T6_T7_T9_mT8_P12ihipStream_tbDpT10_ENKUlT_T0_E_clISt17integral_constantIbLb1EES15_IbLb0EEEEDaS11_S12_EUlS11_E_NS1_11comp_targetILNS1_3genE5ELNS1_11target_archE942ELNS1_3gpuE9ELNS1_3repE0EEENS1_30default_config_static_selectorELNS0_4arch9wavefront6targetE0EEEvT1_
	.globl	_ZN7rocprim17ROCPRIM_400000_NS6detail17trampoline_kernelINS0_14default_configENS1_25partition_config_selectorILNS1_17partition_subalgoE5ElNS0_10empty_typeEbEEZZNS1_14partition_implILS5_5ELb0ES3_mN6hipcub16HIPCUB_304000_NS21CountingInputIteratorIllEEPS6_NSA_22TransformInputIteratorIb7NonZeroIsEPslEENS0_5tupleIJPlS6_EEENSJ_IJSD_SD_EEES6_SK_JS6_EEE10hipError_tPvRmT3_T4_T5_T6_T7_T9_mT8_P12ihipStream_tbDpT10_ENKUlT_T0_E_clISt17integral_constantIbLb1EES15_IbLb0EEEEDaS11_S12_EUlS11_E_NS1_11comp_targetILNS1_3genE5ELNS1_11target_archE942ELNS1_3gpuE9ELNS1_3repE0EEENS1_30default_config_static_selectorELNS0_4arch9wavefront6targetE0EEEvT1_
	.p2align	8
	.type	_ZN7rocprim17ROCPRIM_400000_NS6detail17trampoline_kernelINS0_14default_configENS1_25partition_config_selectorILNS1_17partition_subalgoE5ElNS0_10empty_typeEbEEZZNS1_14partition_implILS5_5ELb0ES3_mN6hipcub16HIPCUB_304000_NS21CountingInputIteratorIllEEPS6_NSA_22TransformInputIteratorIb7NonZeroIsEPslEENS0_5tupleIJPlS6_EEENSJ_IJSD_SD_EEES6_SK_JS6_EEE10hipError_tPvRmT3_T4_T5_T6_T7_T9_mT8_P12ihipStream_tbDpT10_ENKUlT_T0_E_clISt17integral_constantIbLb1EES15_IbLb0EEEEDaS11_S12_EUlS11_E_NS1_11comp_targetILNS1_3genE5ELNS1_11target_archE942ELNS1_3gpuE9ELNS1_3repE0EEENS1_30default_config_static_selectorELNS0_4arch9wavefront6targetE0EEEvT1_,@function
_ZN7rocprim17ROCPRIM_400000_NS6detail17trampoline_kernelINS0_14default_configENS1_25partition_config_selectorILNS1_17partition_subalgoE5ElNS0_10empty_typeEbEEZZNS1_14partition_implILS5_5ELb0ES3_mN6hipcub16HIPCUB_304000_NS21CountingInputIteratorIllEEPS6_NSA_22TransformInputIteratorIb7NonZeroIsEPslEENS0_5tupleIJPlS6_EEENSJ_IJSD_SD_EEES6_SK_JS6_EEE10hipError_tPvRmT3_T4_T5_T6_T7_T9_mT8_P12ihipStream_tbDpT10_ENKUlT_T0_E_clISt17integral_constantIbLb1EES15_IbLb0EEEEDaS11_S12_EUlS11_E_NS1_11comp_targetILNS1_3genE5ELNS1_11target_archE942ELNS1_3gpuE9ELNS1_3repE0EEENS1_30default_config_static_selectorELNS0_4arch9wavefront6targetE0EEEvT1_: ; @_ZN7rocprim17ROCPRIM_400000_NS6detail17trampoline_kernelINS0_14default_configENS1_25partition_config_selectorILNS1_17partition_subalgoE5ElNS0_10empty_typeEbEEZZNS1_14partition_implILS5_5ELb0ES3_mN6hipcub16HIPCUB_304000_NS21CountingInputIteratorIllEEPS6_NSA_22TransformInputIteratorIb7NonZeroIsEPslEENS0_5tupleIJPlS6_EEENSJ_IJSD_SD_EEES6_SK_JS6_EEE10hipError_tPvRmT3_T4_T5_T6_T7_T9_mT8_P12ihipStream_tbDpT10_ENKUlT_T0_E_clISt17integral_constantIbLb1EES15_IbLb0EEEEDaS11_S12_EUlS11_E_NS1_11comp_targetILNS1_3genE5ELNS1_11target_archE942ELNS1_3gpuE9ELNS1_3repE0EEENS1_30default_config_static_selectorELNS0_4arch9wavefront6targetE0EEEvT1_
; %bb.0:
	.section	.rodata,"a",@progbits
	.p2align	6, 0x0
	.amdhsa_kernel _ZN7rocprim17ROCPRIM_400000_NS6detail17trampoline_kernelINS0_14default_configENS1_25partition_config_selectorILNS1_17partition_subalgoE5ElNS0_10empty_typeEbEEZZNS1_14partition_implILS5_5ELb0ES3_mN6hipcub16HIPCUB_304000_NS21CountingInputIteratorIllEEPS6_NSA_22TransformInputIteratorIb7NonZeroIsEPslEENS0_5tupleIJPlS6_EEENSJ_IJSD_SD_EEES6_SK_JS6_EEE10hipError_tPvRmT3_T4_T5_T6_T7_T9_mT8_P12ihipStream_tbDpT10_ENKUlT_T0_E_clISt17integral_constantIbLb1EES15_IbLb0EEEEDaS11_S12_EUlS11_E_NS1_11comp_targetILNS1_3genE5ELNS1_11target_archE942ELNS1_3gpuE9ELNS1_3repE0EEENS1_30default_config_static_selectorELNS0_4arch9wavefront6targetE0EEEvT1_
		.amdhsa_group_segment_fixed_size 0
		.amdhsa_private_segment_fixed_size 0
		.amdhsa_kernarg_size 120
		.amdhsa_user_sgpr_count 15
		.amdhsa_user_sgpr_dispatch_ptr 0
		.amdhsa_user_sgpr_queue_ptr 0
		.amdhsa_user_sgpr_kernarg_segment_ptr 1
		.amdhsa_user_sgpr_dispatch_id 0
		.amdhsa_user_sgpr_private_segment_size 0
		.amdhsa_wavefront_size32 1
		.amdhsa_uses_dynamic_stack 0
		.amdhsa_enable_private_segment 0
		.amdhsa_system_sgpr_workgroup_id_x 1
		.amdhsa_system_sgpr_workgroup_id_y 0
		.amdhsa_system_sgpr_workgroup_id_z 0
		.amdhsa_system_sgpr_workgroup_info 0
		.amdhsa_system_vgpr_workitem_id 0
		.amdhsa_next_free_vgpr 1
		.amdhsa_next_free_sgpr 1
		.amdhsa_reserve_vcc 0
		.amdhsa_float_round_mode_32 0
		.amdhsa_float_round_mode_16_64 0
		.amdhsa_float_denorm_mode_32 3
		.amdhsa_float_denorm_mode_16_64 3
		.amdhsa_dx10_clamp 1
		.amdhsa_ieee_mode 1
		.amdhsa_fp16_overflow 0
		.amdhsa_workgroup_processor_mode 1
		.amdhsa_memory_ordered 1
		.amdhsa_forward_progress 0
		.amdhsa_shared_vgpr_count 0
		.amdhsa_exception_fp_ieee_invalid_op 0
		.amdhsa_exception_fp_denorm_src 0
		.amdhsa_exception_fp_ieee_div_zero 0
		.amdhsa_exception_fp_ieee_overflow 0
		.amdhsa_exception_fp_ieee_underflow 0
		.amdhsa_exception_fp_ieee_inexact 0
		.amdhsa_exception_int_div_zero 0
	.end_amdhsa_kernel
	.section	.text._ZN7rocprim17ROCPRIM_400000_NS6detail17trampoline_kernelINS0_14default_configENS1_25partition_config_selectorILNS1_17partition_subalgoE5ElNS0_10empty_typeEbEEZZNS1_14partition_implILS5_5ELb0ES3_mN6hipcub16HIPCUB_304000_NS21CountingInputIteratorIllEEPS6_NSA_22TransformInputIteratorIb7NonZeroIsEPslEENS0_5tupleIJPlS6_EEENSJ_IJSD_SD_EEES6_SK_JS6_EEE10hipError_tPvRmT3_T4_T5_T6_T7_T9_mT8_P12ihipStream_tbDpT10_ENKUlT_T0_E_clISt17integral_constantIbLb1EES15_IbLb0EEEEDaS11_S12_EUlS11_E_NS1_11comp_targetILNS1_3genE5ELNS1_11target_archE942ELNS1_3gpuE9ELNS1_3repE0EEENS1_30default_config_static_selectorELNS0_4arch9wavefront6targetE0EEEvT1_,"axG",@progbits,_ZN7rocprim17ROCPRIM_400000_NS6detail17trampoline_kernelINS0_14default_configENS1_25partition_config_selectorILNS1_17partition_subalgoE5ElNS0_10empty_typeEbEEZZNS1_14partition_implILS5_5ELb0ES3_mN6hipcub16HIPCUB_304000_NS21CountingInputIteratorIllEEPS6_NSA_22TransformInputIteratorIb7NonZeroIsEPslEENS0_5tupleIJPlS6_EEENSJ_IJSD_SD_EEES6_SK_JS6_EEE10hipError_tPvRmT3_T4_T5_T6_T7_T9_mT8_P12ihipStream_tbDpT10_ENKUlT_T0_E_clISt17integral_constantIbLb1EES15_IbLb0EEEEDaS11_S12_EUlS11_E_NS1_11comp_targetILNS1_3genE5ELNS1_11target_archE942ELNS1_3gpuE9ELNS1_3repE0EEENS1_30default_config_static_selectorELNS0_4arch9wavefront6targetE0EEEvT1_,comdat
.Lfunc_end134:
	.size	_ZN7rocprim17ROCPRIM_400000_NS6detail17trampoline_kernelINS0_14default_configENS1_25partition_config_selectorILNS1_17partition_subalgoE5ElNS0_10empty_typeEbEEZZNS1_14partition_implILS5_5ELb0ES3_mN6hipcub16HIPCUB_304000_NS21CountingInputIteratorIllEEPS6_NSA_22TransformInputIteratorIb7NonZeroIsEPslEENS0_5tupleIJPlS6_EEENSJ_IJSD_SD_EEES6_SK_JS6_EEE10hipError_tPvRmT3_T4_T5_T6_T7_T9_mT8_P12ihipStream_tbDpT10_ENKUlT_T0_E_clISt17integral_constantIbLb1EES15_IbLb0EEEEDaS11_S12_EUlS11_E_NS1_11comp_targetILNS1_3genE5ELNS1_11target_archE942ELNS1_3gpuE9ELNS1_3repE0EEENS1_30default_config_static_selectorELNS0_4arch9wavefront6targetE0EEEvT1_, .Lfunc_end134-_ZN7rocprim17ROCPRIM_400000_NS6detail17trampoline_kernelINS0_14default_configENS1_25partition_config_selectorILNS1_17partition_subalgoE5ElNS0_10empty_typeEbEEZZNS1_14partition_implILS5_5ELb0ES3_mN6hipcub16HIPCUB_304000_NS21CountingInputIteratorIllEEPS6_NSA_22TransformInputIteratorIb7NonZeroIsEPslEENS0_5tupleIJPlS6_EEENSJ_IJSD_SD_EEES6_SK_JS6_EEE10hipError_tPvRmT3_T4_T5_T6_T7_T9_mT8_P12ihipStream_tbDpT10_ENKUlT_T0_E_clISt17integral_constantIbLb1EES15_IbLb0EEEEDaS11_S12_EUlS11_E_NS1_11comp_targetILNS1_3genE5ELNS1_11target_archE942ELNS1_3gpuE9ELNS1_3repE0EEENS1_30default_config_static_selectorELNS0_4arch9wavefront6targetE0EEEvT1_
                                        ; -- End function
	.section	.AMDGPU.csdata,"",@progbits
; Kernel info:
; codeLenInByte = 0
; NumSgprs: 0
; NumVgprs: 0
; ScratchSize: 0
; MemoryBound: 0
; FloatMode: 240
; IeeeMode: 1
; LDSByteSize: 0 bytes/workgroup (compile time only)
; SGPRBlocks: 0
; VGPRBlocks: 0
; NumSGPRsForWavesPerEU: 1
; NumVGPRsForWavesPerEU: 1
; Occupancy: 16
; WaveLimiterHint : 0
; COMPUTE_PGM_RSRC2:SCRATCH_EN: 0
; COMPUTE_PGM_RSRC2:USER_SGPR: 15
; COMPUTE_PGM_RSRC2:TRAP_HANDLER: 0
; COMPUTE_PGM_RSRC2:TGID_X_EN: 1
; COMPUTE_PGM_RSRC2:TGID_Y_EN: 0
; COMPUTE_PGM_RSRC2:TGID_Z_EN: 0
; COMPUTE_PGM_RSRC2:TIDIG_COMP_CNT: 0
	.section	.text._ZN7rocprim17ROCPRIM_400000_NS6detail17trampoline_kernelINS0_14default_configENS1_25partition_config_selectorILNS1_17partition_subalgoE5ElNS0_10empty_typeEbEEZZNS1_14partition_implILS5_5ELb0ES3_mN6hipcub16HIPCUB_304000_NS21CountingInputIteratorIllEEPS6_NSA_22TransformInputIteratorIb7NonZeroIsEPslEENS0_5tupleIJPlS6_EEENSJ_IJSD_SD_EEES6_SK_JS6_EEE10hipError_tPvRmT3_T4_T5_T6_T7_T9_mT8_P12ihipStream_tbDpT10_ENKUlT_T0_E_clISt17integral_constantIbLb1EES15_IbLb0EEEEDaS11_S12_EUlS11_E_NS1_11comp_targetILNS1_3genE4ELNS1_11target_archE910ELNS1_3gpuE8ELNS1_3repE0EEENS1_30default_config_static_selectorELNS0_4arch9wavefront6targetE0EEEvT1_,"axG",@progbits,_ZN7rocprim17ROCPRIM_400000_NS6detail17trampoline_kernelINS0_14default_configENS1_25partition_config_selectorILNS1_17partition_subalgoE5ElNS0_10empty_typeEbEEZZNS1_14partition_implILS5_5ELb0ES3_mN6hipcub16HIPCUB_304000_NS21CountingInputIteratorIllEEPS6_NSA_22TransformInputIteratorIb7NonZeroIsEPslEENS0_5tupleIJPlS6_EEENSJ_IJSD_SD_EEES6_SK_JS6_EEE10hipError_tPvRmT3_T4_T5_T6_T7_T9_mT8_P12ihipStream_tbDpT10_ENKUlT_T0_E_clISt17integral_constantIbLb1EES15_IbLb0EEEEDaS11_S12_EUlS11_E_NS1_11comp_targetILNS1_3genE4ELNS1_11target_archE910ELNS1_3gpuE8ELNS1_3repE0EEENS1_30default_config_static_selectorELNS0_4arch9wavefront6targetE0EEEvT1_,comdat
	.protected	_ZN7rocprim17ROCPRIM_400000_NS6detail17trampoline_kernelINS0_14default_configENS1_25partition_config_selectorILNS1_17partition_subalgoE5ElNS0_10empty_typeEbEEZZNS1_14partition_implILS5_5ELb0ES3_mN6hipcub16HIPCUB_304000_NS21CountingInputIteratorIllEEPS6_NSA_22TransformInputIteratorIb7NonZeroIsEPslEENS0_5tupleIJPlS6_EEENSJ_IJSD_SD_EEES6_SK_JS6_EEE10hipError_tPvRmT3_T4_T5_T6_T7_T9_mT8_P12ihipStream_tbDpT10_ENKUlT_T0_E_clISt17integral_constantIbLb1EES15_IbLb0EEEEDaS11_S12_EUlS11_E_NS1_11comp_targetILNS1_3genE4ELNS1_11target_archE910ELNS1_3gpuE8ELNS1_3repE0EEENS1_30default_config_static_selectorELNS0_4arch9wavefront6targetE0EEEvT1_ ; -- Begin function _ZN7rocprim17ROCPRIM_400000_NS6detail17trampoline_kernelINS0_14default_configENS1_25partition_config_selectorILNS1_17partition_subalgoE5ElNS0_10empty_typeEbEEZZNS1_14partition_implILS5_5ELb0ES3_mN6hipcub16HIPCUB_304000_NS21CountingInputIteratorIllEEPS6_NSA_22TransformInputIteratorIb7NonZeroIsEPslEENS0_5tupleIJPlS6_EEENSJ_IJSD_SD_EEES6_SK_JS6_EEE10hipError_tPvRmT3_T4_T5_T6_T7_T9_mT8_P12ihipStream_tbDpT10_ENKUlT_T0_E_clISt17integral_constantIbLb1EES15_IbLb0EEEEDaS11_S12_EUlS11_E_NS1_11comp_targetILNS1_3genE4ELNS1_11target_archE910ELNS1_3gpuE8ELNS1_3repE0EEENS1_30default_config_static_selectorELNS0_4arch9wavefront6targetE0EEEvT1_
	.globl	_ZN7rocprim17ROCPRIM_400000_NS6detail17trampoline_kernelINS0_14default_configENS1_25partition_config_selectorILNS1_17partition_subalgoE5ElNS0_10empty_typeEbEEZZNS1_14partition_implILS5_5ELb0ES3_mN6hipcub16HIPCUB_304000_NS21CountingInputIteratorIllEEPS6_NSA_22TransformInputIteratorIb7NonZeroIsEPslEENS0_5tupleIJPlS6_EEENSJ_IJSD_SD_EEES6_SK_JS6_EEE10hipError_tPvRmT3_T4_T5_T6_T7_T9_mT8_P12ihipStream_tbDpT10_ENKUlT_T0_E_clISt17integral_constantIbLb1EES15_IbLb0EEEEDaS11_S12_EUlS11_E_NS1_11comp_targetILNS1_3genE4ELNS1_11target_archE910ELNS1_3gpuE8ELNS1_3repE0EEENS1_30default_config_static_selectorELNS0_4arch9wavefront6targetE0EEEvT1_
	.p2align	8
	.type	_ZN7rocprim17ROCPRIM_400000_NS6detail17trampoline_kernelINS0_14default_configENS1_25partition_config_selectorILNS1_17partition_subalgoE5ElNS0_10empty_typeEbEEZZNS1_14partition_implILS5_5ELb0ES3_mN6hipcub16HIPCUB_304000_NS21CountingInputIteratorIllEEPS6_NSA_22TransformInputIteratorIb7NonZeroIsEPslEENS0_5tupleIJPlS6_EEENSJ_IJSD_SD_EEES6_SK_JS6_EEE10hipError_tPvRmT3_T4_T5_T6_T7_T9_mT8_P12ihipStream_tbDpT10_ENKUlT_T0_E_clISt17integral_constantIbLb1EES15_IbLb0EEEEDaS11_S12_EUlS11_E_NS1_11comp_targetILNS1_3genE4ELNS1_11target_archE910ELNS1_3gpuE8ELNS1_3repE0EEENS1_30default_config_static_selectorELNS0_4arch9wavefront6targetE0EEEvT1_,@function
_ZN7rocprim17ROCPRIM_400000_NS6detail17trampoline_kernelINS0_14default_configENS1_25partition_config_selectorILNS1_17partition_subalgoE5ElNS0_10empty_typeEbEEZZNS1_14partition_implILS5_5ELb0ES3_mN6hipcub16HIPCUB_304000_NS21CountingInputIteratorIllEEPS6_NSA_22TransformInputIteratorIb7NonZeroIsEPslEENS0_5tupleIJPlS6_EEENSJ_IJSD_SD_EEES6_SK_JS6_EEE10hipError_tPvRmT3_T4_T5_T6_T7_T9_mT8_P12ihipStream_tbDpT10_ENKUlT_T0_E_clISt17integral_constantIbLb1EES15_IbLb0EEEEDaS11_S12_EUlS11_E_NS1_11comp_targetILNS1_3genE4ELNS1_11target_archE910ELNS1_3gpuE8ELNS1_3repE0EEENS1_30default_config_static_selectorELNS0_4arch9wavefront6targetE0EEEvT1_: ; @_ZN7rocprim17ROCPRIM_400000_NS6detail17trampoline_kernelINS0_14default_configENS1_25partition_config_selectorILNS1_17partition_subalgoE5ElNS0_10empty_typeEbEEZZNS1_14partition_implILS5_5ELb0ES3_mN6hipcub16HIPCUB_304000_NS21CountingInputIteratorIllEEPS6_NSA_22TransformInputIteratorIb7NonZeroIsEPslEENS0_5tupleIJPlS6_EEENSJ_IJSD_SD_EEES6_SK_JS6_EEE10hipError_tPvRmT3_T4_T5_T6_T7_T9_mT8_P12ihipStream_tbDpT10_ENKUlT_T0_E_clISt17integral_constantIbLb1EES15_IbLb0EEEEDaS11_S12_EUlS11_E_NS1_11comp_targetILNS1_3genE4ELNS1_11target_archE910ELNS1_3gpuE8ELNS1_3repE0EEENS1_30default_config_static_selectorELNS0_4arch9wavefront6targetE0EEEvT1_
; %bb.0:
	.section	.rodata,"a",@progbits
	.p2align	6, 0x0
	.amdhsa_kernel _ZN7rocprim17ROCPRIM_400000_NS6detail17trampoline_kernelINS0_14default_configENS1_25partition_config_selectorILNS1_17partition_subalgoE5ElNS0_10empty_typeEbEEZZNS1_14partition_implILS5_5ELb0ES3_mN6hipcub16HIPCUB_304000_NS21CountingInputIteratorIllEEPS6_NSA_22TransformInputIteratorIb7NonZeroIsEPslEENS0_5tupleIJPlS6_EEENSJ_IJSD_SD_EEES6_SK_JS6_EEE10hipError_tPvRmT3_T4_T5_T6_T7_T9_mT8_P12ihipStream_tbDpT10_ENKUlT_T0_E_clISt17integral_constantIbLb1EES15_IbLb0EEEEDaS11_S12_EUlS11_E_NS1_11comp_targetILNS1_3genE4ELNS1_11target_archE910ELNS1_3gpuE8ELNS1_3repE0EEENS1_30default_config_static_selectorELNS0_4arch9wavefront6targetE0EEEvT1_
		.amdhsa_group_segment_fixed_size 0
		.amdhsa_private_segment_fixed_size 0
		.amdhsa_kernarg_size 120
		.amdhsa_user_sgpr_count 15
		.amdhsa_user_sgpr_dispatch_ptr 0
		.amdhsa_user_sgpr_queue_ptr 0
		.amdhsa_user_sgpr_kernarg_segment_ptr 1
		.amdhsa_user_sgpr_dispatch_id 0
		.amdhsa_user_sgpr_private_segment_size 0
		.amdhsa_wavefront_size32 1
		.amdhsa_uses_dynamic_stack 0
		.amdhsa_enable_private_segment 0
		.amdhsa_system_sgpr_workgroup_id_x 1
		.amdhsa_system_sgpr_workgroup_id_y 0
		.amdhsa_system_sgpr_workgroup_id_z 0
		.amdhsa_system_sgpr_workgroup_info 0
		.amdhsa_system_vgpr_workitem_id 0
		.amdhsa_next_free_vgpr 1
		.amdhsa_next_free_sgpr 1
		.amdhsa_reserve_vcc 0
		.amdhsa_float_round_mode_32 0
		.amdhsa_float_round_mode_16_64 0
		.amdhsa_float_denorm_mode_32 3
		.amdhsa_float_denorm_mode_16_64 3
		.amdhsa_dx10_clamp 1
		.amdhsa_ieee_mode 1
		.amdhsa_fp16_overflow 0
		.amdhsa_workgroup_processor_mode 1
		.amdhsa_memory_ordered 1
		.amdhsa_forward_progress 0
		.amdhsa_shared_vgpr_count 0
		.amdhsa_exception_fp_ieee_invalid_op 0
		.amdhsa_exception_fp_denorm_src 0
		.amdhsa_exception_fp_ieee_div_zero 0
		.amdhsa_exception_fp_ieee_overflow 0
		.amdhsa_exception_fp_ieee_underflow 0
		.amdhsa_exception_fp_ieee_inexact 0
		.amdhsa_exception_int_div_zero 0
	.end_amdhsa_kernel
	.section	.text._ZN7rocprim17ROCPRIM_400000_NS6detail17trampoline_kernelINS0_14default_configENS1_25partition_config_selectorILNS1_17partition_subalgoE5ElNS0_10empty_typeEbEEZZNS1_14partition_implILS5_5ELb0ES3_mN6hipcub16HIPCUB_304000_NS21CountingInputIteratorIllEEPS6_NSA_22TransformInputIteratorIb7NonZeroIsEPslEENS0_5tupleIJPlS6_EEENSJ_IJSD_SD_EEES6_SK_JS6_EEE10hipError_tPvRmT3_T4_T5_T6_T7_T9_mT8_P12ihipStream_tbDpT10_ENKUlT_T0_E_clISt17integral_constantIbLb1EES15_IbLb0EEEEDaS11_S12_EUlS11_E_NS1_11comp_targetILNS1_3genE4ELNS1_11target_archE910ELNS1_3gpuE8ELNS1_3repE0EEENS1_30default_config_static_selectorELNS0_4arch9wavefront6targetE0EEEvT1_,"axG",@progbits,_ZN7rocprim17ROCPRIM_400000_NS6detail17trampoline_kernelINS0_14default_configENS1_25partition_config_selectorILNS1_17partition_subalgoE5ElNS0_10empty_typeEbEEZZNS1_14partition_implILS5_5ELb0ES3_mN6hipcub16HIPCUB_304000_NS21CountingInputIteratorIllEEPS6_NSA_22TransformInputIteratorIb7NonZeroIsEPslEENS0_5tupleIJPlS6_EEENSJ_IJSD_SD_EEES6_SK_JS6_EEE10hipError_tPvRmT3_T4_T5_T6_T7_T9_mT8_P12ihipStream_tbDpT10_ENKUlT_T0_E_clISt17integral_constantIbLb1EES15_IbLb0EEEEDaS11_S12_EUlS11_E_NS1_11comp_targetILNS1_3genE4ELNS1_11target_archE910ELNS1_3gpuE8ELNS1_3repE0EEENS1_30default_config_static_selectorELNS0_4arch9wavefront6targetE0EEEvT1_,comdat
.Lfunc_end135:
	.size	_ZN7rocprim17ROCPRIM_400000_NS6detail17trampoline_kernelINS0_14default_configENS1_25partition_config_selectorILNS1_17partition_subalgoE5ElNS0_10empty_typeEbEEZZNS1_14partition_implILS5_5ELb0ES3_mN6hipcub16HIPCUB_304000_NS21CountingInputIteratorIllEEPS6_NSA_22TransformInputIteratorIb7NonZeroIsEPslEENS0_5tupleIJPlS6_EEENSJ_IJSD_SD_EEES6_SK_JS6_EEE10hipError_tPvRmT3_T4_T5_T6_T7_T9_mT8_P12ihipStream_tbDpT10_ENKUlT_T0_E_clISt17integral_constantIbLb1EES15_IbLb0EEEEDaS11_S12_EUlS11_E_NS1_11comp_targetILNS1_3genE4ELNS1_11target_archE910ELNS1_3gpuE8ELNS1_3repE0EEENS1_30default_config_static_selectorELNS0_4arch9wavefront6targetE0EEEvT1_, .Lfunc_end135-_ZN7rocprim17ROCPRIM_400000_NS6detail17trampoline_kernelINS0_14default_configENS1_25partition_config_selectorILNS1_17partition_subalgoE5ElNS0_10empty_typeEbEEZZNS1_14partition_implILS5_5ELb0ES3_mN6hipcub16HIPCUB_304000_NS21CountingInputIteratorIllEEPS6_NSA_22TransformInputIteratorIb7NonZeroIsEPslEENS0_5tupleIJPlS6_EEENSJ_IJSD_SD_EEES6_SK_JS6_EEE10hipError_tPvRmT3_T4_T5_T6_T7_T9_mT8_P12ihipStream_tbDpT10_ENKUlT_T0_E_clISt17integral_constantIbLb1EES15_IbLb0EEEEDaS11_S12_EUlS11_E_NS1_11comp_targetILNS1_3genE4ELNS1_11target_archE910ELNS1_3gpuE8ELNS1_3repE0EEENS1_30default_config_static_selectorELNS0_4arch9wavefront6targetE0EEEvT1_
                                        ; -- End function
	.section	.AMDGPU.csdata,"",@progbits
; Kernel info:
; codeLenInByte = 0
; NumSgprs: 0
; NumVgprs: 0
; ScratchSize: 0
; MemoryBound: 0
; FloatMode: 240
; IeeeMode: 1
; LDSByteSize: 0 bytes/workgroup (compile time only)
; SGPRBlocks: 0
; VGPRBlocks: 0
; NumSGPRsForWavesPerEU: 1
; NumVGPRsForWavesPerEU: 1
; Occupancy: 15
; WaveLimiterHint : 0
; COMPUTE_PGM_RSRC2:SCRATCH_EN: 0
; COMPUTE_PGM_RSRC2:USER_SGPR: 15
; COMPUTE_PGM_RSRC2:TRAP_HANDLER: 0
; COMPUTE_PGM_RSRC2:TGID_X_EN: 1
; COMPUTE_PGM_RSRC2:TGID_Y_EN: 0
; COMPUTE_PGM_RSRC2:TGID_Z_EN: 0
; COMPUTE_PGM_RSRC2:TIDIG_COMP_CNT: 0
	.section	.text._ZN7rocprim17ROCPRIM_400000_NS6detail17trampoline_kernelINS0_14default_configENS1_25partition_config_selectorILNS1_17partition_subalgoE5ElNS0_10empty_typeEbEEZZNS1_14partition_implILS5_5ELb0ES3_mN6hipcub16HIPCUB_304000_NS21CountingInputIteratorIllEEPS6_NSA_22TransformInputIteratorIb7NonZeroIsEPslEENS0_5tupleIJPlS6_EEENSJ_IJSD_SD_EEES6_SK_JS6_EEE10hipError_tPvRmT3_T4_T5_T6_T7_T9_mT8_P12ihipStream_tbDpT10_ENKUlT_T0_E_clISt17integral_constantIbLb1EES15_IbLb0EEEEDaS11_S12_EUlS11_E_NS1_11comp_targetILNS1_3genE3ELNS1_11target_archE908ELNS1_3gpuE7ELNS1_3repE0EEENS1_30default_config_static_selectorELNS0_4arch9wavefront6targetE0EEEvT1_,"axG",@progbits,_ZN7rocprim17ROCPRIM_400000_NS6detail17trampoline_kernelINS0_14default_configENS1_25partition_config_selectorILNS1_17partition_subalgoE5ElNS0_10empty_typeEbEEZZNS1_14partition_implILS5_5ELb0ES3_mN6hipcub16HIPCUB_304000_NS21CountingInputIteratorIllEEPS6_NSA_22TransformInputIteratorIb7NonZeroIsEPslEENS0_5tupleIJPlS6_EEENSJ_IJSD_SD_EEES6_SK_JS6_EEE10hipError_tPvRmT3_T4_T5_T6_T7_T9_mT8_P12ihipStream_tbDpT10_ENKUlT_T0_E_clISt17integral_constantIbLb1EES15_IbLb0EEEEDaS11_S12_EUlS11_E_NS1_11comp_targetILNS1_3genE3ELNS1_11target_archE908ELNS1_3gpuE7ELNS1_3repE0EEENS1_30default_config_static_selectorELNS0_4arch9wavefront6targetE0EEEvT1_,comdat
	.protected	_ZN7rocprim17ROCPRIM_400000_NS6detail17trampoline_kernelINS0_14default_configENS1_25partition_config_selectorILNS1_17partition_subalgoE5ElNS0_10empty_typeEbEEZZNS1_14partition_implILS5_5ELb0ES3_mN6hipcub16HIPCUB_304000_NS21CountingInputIteratorIllEEPS6_NSA_22TransformInputIteratorIb7NonZeroIsEPslEENS0_5tupleIJPlS6_EEENSJ_IJSD_SD_EEES6_SK_JS6_EEE10hipError_tPvRmT3_T4_T5_T6_T7_T9_mT8_P12ihipStream_tbDpT10_ENKUlT_T0_E_clISt17integral_constantIbLb1EES15_IbLb0EEEEDaS11_S12_EUlS11_E_NS1_11comp_targetILNS1_3genE3ELNS1_11target_archE908ELNS1_3gpuE7ELNS1_3repE0EEENS1_30default_config_static_selectorELNS0_4arch9wavefront6targetE0EEEvT1_ ; -- Begin function _ZN7rocprim17ROCPRIM_400000_NS6detail17trampoline_kernelINS0_14default_configENS1_25partition_config_selectorILNS1_17partition_subalgoE5ElNS0_10empty_typeEbEEZZNS1_14partition_implILS5_5ELb0ES3_mN6hipcub16HIPCUB_304000_NS21CountingInputIteratorIllEEPS6_NSA_22TransformInputIteratorIb7NonZeroIsEPslEENS0_5tupleIJPlS6_EEENSJ_IJSD_SD_EEES6_SK_JS6_EEE10hipError_tPvRmT3_T4_T5_T6_T7_T9_mT8_P12ihipStream_tbDpT10_ENKUlT_T0_E_clISt17integral_constantIbLb1EES15_IbLb0EEEEDaS11_S12_EUlS11_E_NS1_11comp_targetILNS1_3genE3ELNS1_11target_archE908ELNS1_3gpuE7ELNS1_3repE0EEENS1_30default_config_static_selectorELNS0_4arch9wavefront6targetE0EEEvT1_
	.globl	_ZN7rocprim17ROCPRIM_400000_NS6detail17trampoline_kernelINS0_14default_configENS1_25partition_config_selectorILNS1_17partition_subalgoE5ElNS0_10empty_typeEbEEZZNS1_14partition_implILS5_5ELb0ES3_mN6hipcub16HIPCUB_304000_NS21CountingInputIteratorIllEEPS6_NSA_22TransformInputIteratorIb7NonZeroIsEPslEENS0_5tupleIJPlS6_EEENSJ_IJSD_SD_EEES6_SK_JS6_EEE10hipError_tPvRmT3_T4_T5_T6_T7_T9_mT8_P12ihipStream_tbDpT10_ENKUlT_T0_E_clISt17integral_constantIbLb1EES15_IbLb0EEEEDaS11_S12_EUlS11_E_NS1_11comp_targetILNS1_3genE3ELNS1_11target_archE908ELNS1_3gpuE7ELNS1_3repE0EEENS1_30default_config_static_selectorELNS0_4arch9wavefront6targetE0EEEvT1_
	.p2align	8
	.type	_ZN7rocprim17ROCPRIM_400000_NS6detail17trampoline_kernelINS0_14default_configENS1_25partition_config_selectorILNS1_17partition_subalgoE5ElNS0_10empty_typeEbEEZZNS1_14partition_implILS5_5ELb0ES3_mN6hipcub16HIPCUB_304000_NS21CountingInputIteratorIllEEPS6_NSA_22TransformInputIteratorIb7NonZeroIsEPslEENS0_5tupleIJPlS6_EEENSJ_IJSD_SD_EEES6_SK_JS6_EEE10hipError_tPvRmT3_T4_T5_T6_T7_T9_mT8_P12ihipStream_tbDpT10_ENKUlT_T0_E_clISt17integral_constantIbLb1EES15_IbLb0EEEEDaS11_S12_EUlS11_E_NS1_11comp_targetILNS1_3genE3ELNS1_11target_archE908ELNS1_3gpuE7ELNS1_3repE0EEENS1_30default_config_static_selectorELNS0_4arch9wavefront6targetE0EEEvT1_,@function
_ZN7rocprim17ROCPRIM_400000_NS6detail17trampoline_kernelINS0_14default_configENS1_25partition_config_selectorILNS1_17partition_subalgoE5ElNS0_10empty_typeEbEEZZNS1_14partition_implILS5_5ELb0ES3_mN6hipcub16HIPCUB_304000_NS21CountingInputIteratorIllEEPS6_NSA_22TransformInputIteratorIb7NonZeroIsEPslEENS0_5tupleIJPlS6_EEENSJ_IJSD_SD_EEES6_SK_JS6_EEE10hipError_tPvRmT3_T4_T5_T6_T7_T9_mT8_P12ihipStream_tbDpT10_ENKUlT_T0_E_clISt17integral_constantIbLb1EES15_IbLb0EEEEDaS11_S12_EUlS11_E_NS1_11comp_targetILNS1_3genE3ELNS1_11target_archE908ELNS1_3gpuE7ELNS1_3repE0EEENS1_30default_config_static_selectorELNS0_4arch9wavefront6targetE0EEEvT1_: ; @_ZN7rocprim17ROCPRIM_400000_NS6detail17trampoline_kernelINS0_14default_configENS1_25partition_config_selectorILNS1_17partition_subalgoE5ElNS0_10empty_typeEbEEZZNS1_14partition_implILS5_5ELb0ES3_mN6hipcub16HIPCUB_304000_NS21CountingInputIteratorIllEEPS6_NSA_22TransformInputIteratorIb7NonZeroIsEPslEENS0_5tupleIJPlS6_EEENSJ_IJSD_SD_EEES6_SK_JS6_EEE10hipError_tPvRmT3_T4_T5_T6_T7_T9_mT8_P12ihipStream_tbDpT10_ENKUlT_T0_E_clISt17integral_constantIbLb1EES15_IbLb0EEEEDaS11_S12_EUlS11_E_NS1_11comp_targetILNS1_3genE3ELNS1_11target_archE908ELNS1_3gpuE7ELNS1_3repE0EEENS1_30default_config_static_selectorELNS0_4arch9wavefront6targetE0EEEvT1_
; %bb.0:
	.section	.rodata,"a",@progbits
	.p2align	6, 0x0
	.amdhsa_kernel _ZN7rocprim17ROCPRIM_400000_NS6detail17trampoline_kernelINS0_14default_configENS1_25partition_config_selectorILNS1_17partition_subalgoE5ElNS0_10empty_typeEbEEZZNS1_14partition_implILS5_5ELb0ES3_mN6hipcub16HIPCUB_304000_NS21CountingInputIteratorIllEEPS6_NSA_22TransformInputIteratorIb7NonZeroIsEPslEENS0_5tupleIJPlS6_EEENSJ_IJSD_SD_EEES6_SK_JS6_EEE10hipError_tPvRmT3_T4_T5_T6_T7_T9_mT8_P12ihipStream_tbDpT10_ENKUlT_T0_E_clISt17integral_constantIbLb1EES15_IbLb0EEEEDaS11_S12_EUlS11_E_NS1_11comp_targetILNS1_3genE3ELNS1_11target_archE908ELNS1_3gpuE7ELNS1_3repE0EEENS1_30default_config_static_selectorELNS0_4arch9wavefront6targetE0EEEvT1_
		.amdhsa_group_segment_fixed_size 0
		.amdhsa_private_segment_fixed_size 0
		.amdhsa_kernarg_size 120
		.amdhsa_user_sgpr_count 15
		.amdhsa_user_sgpr_dispatch_ptr 0
		.amdhsa_user_sgpr_queue_ptr 0
		.amdhsa_user_sgpr_kernarg_segment_ptr 1
		.amdhsa_user_sgpr_dispatch_id 0
		.amdhsa_user_sgpr_private_segment_size 0
		.amdhsa_wavefront_size32 1
		.amdhsa_uses_dynamic_stack 0
		.amdhsa_enable_private_segment 0
		.amdhsa_system_sgpr_workgroup_id_x 1
		.amdhsa_system_sgpr_workgroup_id_y 0
		.amdhsa_system_sgpr_workgroup_id_z 0
		.amdhsa_system_sgpr_workgroup_info 0
		.amdhsa_system_vgpr_workitem_id 0
		.amdhsa_next_free_vgpr 1
		.amdhsa_next_free_sgpr 1
		.amdhsa_reserve_vcc 0
		.amdhsa_float_round_mode_32 0
		.amdhsa_float_round_mode_16_64 0
		.amdhsa_float_denorm_mode_32 3
		.amdhsa_float_denorm_mode_16_64 3
		.amdhsa_dx10_clamp 1
		.amdhsa_ieee_mode 1
		.amdhsa_fp16_overflow 0
		.amdhsa_workgroup_processor_mode 1
		.amdhsa_memory_ordered 1
		.amdhsa_forward_progress 0
		.amdhsa_shared_vgpr_count 0
		.amdhsa_exception_fp_ieee_invalid_op 0
		.amdhsa_exception_fp_denorm_src 0
		.amdhsa_exception_fp_ieee_div_zero 0
		.amdhsa_exception_fp_ieee_overflow 0
		.amdhsa_exception_fp_ieee_underflow 0
		.amdhsa_exception_fp_ieee_inexact 0
		.amdhsa_exception_int_div_zero 0
	.end_amdhsa_kernel
	.section	.text._ZN7rocprim17ROCPRIM_400000_NS6detail17trampoline_kernelINS0_14default_configENS1_25partition_config_selectorILNS1_17partition_subalgoE5ElNS0_10empty_typeEbEEZZNS1_14partition_implILS5_5ELb0ES3_mN6hipcub16HIPCUB_304000_NS21CountingInputIteratorIllEEPS6_NSA_22TransformInputIteratorIb7NonZeroIsEPslEENS0_5tupleIJPlS6_EEENSJ_IJSD_SD_EEES6_SK_JS6_EEE10hipError_tPvRmT3_T4_T5_T6_T7_T9_mT8_P12ihipStream_tbDpT10_ENKUlT_T0_E_clISt17integral_constantIbLb1EES15_IbLb0EEEEDaS11_S12_EUlS11_E_NS1_11comp_targetILNS1_3genE3ELNS1_11target_archE908ELNS1_3gpuE7ELNS1_3repE0EEENS1_30default_config_static_selectorELNS0_4arch9wavefront6targetE0EEEvT1_,"axG",@progbits,_ZN7rocprim17ROCPRIM_400000_NS6detail17trampoline_kernelINS0_14default_configENS1_25partition_config_selectorILNS1_17partition_subalgoE5ElNS0_10empty_typeEbEEZZNS1_14partition_implILS5_5ELb0ES3_mN6hipcub16HIPCUB_304000_NS21CountingInputIteratorIllEEPS6_NSA_22TransformInputIteratorIb7NonZeroIsEPslEENS0_5tupleIJPlS6_EEENSJ_IJSD_SD_EEES6_SK_JS6_EEE10hipError_tPvRmT3_T4_T5_T6_T7_T9_mT8_P12ihipStream_tbDpT10_ENKUlT_T0_E_clISt17integral_constantIbLb1EES15_IbLb0EEEEDaS11_S12_EUlS11_E_NS1_11comp_targetILNS1_3genE3ELNS1_11target_archE908ELNS1_3gpuE7ELNS1_3repE0EEENS1_30default_config_static_selectorELNS0_4arch9wavefront6targetE0EEEvT1_,comdat
.Lfunc_end136:
	.size	_ZN7rocprim17ROCPRIM_400000_NS6detail17trampoline_kernelINS0_14default_configENS1_25partition_config_selectorILNS1_17partition_subalgoE5ElNS0_10empty_typeEbEEZZNS1_14partition_implILS5_5ELb0ES3_mN6hipcub16HIPCUB_304000_NS21CountingInputIteratorIllEEPS6_NSA_22TransformInputIteratorIb7NonZeroIsEPslEENS0_5tupleIJPlS6_EEENSJ_IJSD_SD_EEES6_SK_JS6_EEE10hipError_tPvRmT3_T4_T5_T6_T7_T9_mT8_P12ihipStream_tbDpT10_ENKUlT_T0_E_clISt17integral_constantIbLb1EES15_IbLb0EEEEDaS11_S12_EUlS11_E_NS1_11comp_targetILNS1_3genE3ELNS1_11target_archE908ELNS1_3gpuE7ELNS1_3repE0EEENS1_30default_config_static_selectorELNS0_4arch9wavefront6targetE0EEEvT1_, .Lfunc_end136-_ZN7rocprim17ROCPRIM_400000_NS6detail17trampoline_kernelINS0_14default_configENS1_25partition_config_selectorILNS1_17partition_subalgoE5ElNS0_10empty_typeEbEEZZNS1_14partition_implILS5_5ELb0ES3_mN6hipcub16HIPCUB_304000_NS21CountingInputIteratorIllEEPS6_NSA_22TransformInputIteratorIb7NonZeroIsEPslEENS0_5tupleIJPlS6_EEENSJ_IJSD_SD_EEES6_SK_JS6_EEE10hipError_tPvRmT3_T4_T5_T6_T7_T9_mT8_P12ihipStream_tbDpT10_ENKUlT_T0_E_clISt17integral_constantIbLb1EES15_IbLb0EEEEDaS11_S12_EUlS11_E_NS1_11comp_targetILNS1_3genE3ELNS1_11target_archE908ELNS1_3gpuE7ELNS1_3repE0EEENS1_30default_config_static_selectorELNS0_4arch9wavefront6targetE0EEEvT1_
                                        ; -- End function
	.section	.AMDGPU.csdata,"",@progbits
; Kernel info:
; codeLenInByte = 0
; NumSgprs: 0
; NumVgprs: 0
; ScratchSize: 0
; MemoryBound: 0
; FloatMode: 240
; IeeeMode: 1
; LDSByteSize: 0 bytes/workgroup (compile time only)
; SGPRBlocks: 0
; VGPRBlocks: 0
; NumSGPRsForWavesPerEU: 1
; NumVGPRsForWavesPerEU: 1
; Occupancy: 16
; WaveLimiterHint : 0
; COMPUTE_PGM_RSRC2:SCRATCH_EN: 0
; COMPUTE_PGM_RSRC2:USER_SGPR: 15
; COMPUTE_PGM_RSRC2:TRAP_HANDLER: 0
; COMPUTE_PGM_RSRC2:TGID_X_EN: 1
; COMPUTE_PGM_RSRC2:TGID_Y_EN: 0
; COMPUTE_PGM_RSRC2:TGID_Z_EN: 0
; COMPUTE_PGM_RSRC2:TIDIG_COMP_CNT: 0
	.section	.text._ZN7rocprim17ROCPRIM_400000_NS6detail17trampoline_kernelINS0_14default_configENS1_25partition_config_selectorILNS1_17partition_subalgoE5ElNS0_10empty_typeEbEEZZNS1_14partition_implILS5_5ELb0ES3_mN6hipcub16HIPCUB_304000_NS21CountingInputIteratorIllEEPS6_NSA_22TransformInputIteratorIb7NonZeroIsEPslEENS0_5tupleIJPlS6_EEENSJ_IJSD_SD_EEES6_SK_JS6_EEE10hipError_tPvRmT3_T4_T5_T6_T7_T9_mT8_P12ihipStream_tbDpT10_ENKUlT_T0_E_clISt17integral_constantIbLb1EES15_IbLb0EEEEDaS11_S12_EUlS11_E_NS1_11comp_targetILNS1_3genE2ELNS1_11target_archE906ELNS1_3gpuE6ELNS1_3repE0EEENS1_30default_config_static_selectorELNS0_4arch9wavefront6targetE0EEEvT1_,"axG",@progbits,_ZN7rocprim17ROCPRIM_400000_NS6detail17trampoline_kernelINS0_14default_configENS1_25partition_config_selectorILNS1_17partition_subalgoE5ElNS0_10empty_typeEbEEZZNS1_14partition_implILS5_5ELb0ES3_mN6hipcub16HIPCUB_304000_NS21CountingInputIteratorIllEEPS6_NSA_22TransformInputIteratorIb7NonZeroIsEPslEENS0_5tupleIJPlS6_EEENSJ_IJSD_SD_EEES6_SK_JS6_EEE10hipError_tPvRmT3_T4_T5_T6_T7_T9_mT8_P12ihipStream_tbDpT10_ENKUlT_T0_E_clISt17integral_constantIbLb1EES15_IbLb0EEEEDaS11_S12_EUlS11_E_NS1_11comp_targetILNS1_3genE2ELNS1_11target_archE906ELNS1_3gpuE6ELNS1_3repE0EEENS1_30default_config_static_selectorELNS0_4arch9wavefront6targetE0EEEvT1_,comdat
	.protected	_ZN7rocprim17ROCPRIM_400000_NS6detail17trampoline_kernelINS0_14default_configENS1_25partition_config_selectorILNS1_17partition_subalgoE5ElNS0_10empty_typeEbEEZZNS1_14partition_implILS5_5ELb0ES3_mN6hipcub16HIPCUB_304000_NS21CountingInputIteratorIllEEPS6_NSA_22TransformInputIteratorIb7NonZeroIsEPslEENS0_5tupleIJPlS6_EEENSJ_IJSD_SD_EEES6_SK_JS6_EEE10hipError_tPvRmT3_T4_T5_T6_T7_T9_mT8_P12ihipStream_tbDpT10_ENKUlT_T0_E_clISt17integral_constantIbLb1EES15_IbLb0EEEEDaS11_S12_EUlS11_E_NS1_11comp_targetILNS1_3genE2ELNS1_11target_archE906ELNS1_3gpuE6ELNS1_3repE0EEENS1_30default_config_static_selectorELNS0_4arch9wavefront6targetE0EEEvT1_ ; -- Begin function _ZN7rocprim17ROCPRIM_400000_NS6detail17trampoline_kernelINS0_14default_configENS1_25partition_config_selectorILNS1_17partition_subalgoE5ElNS0_10empty_typeEbEEZZNS1_14partition_implILS5_5ELb0ES3_mN6hipcub16HIPCUB_304000_NS21CountingInputIteratorIllEEPS6_NSA_22TransformInputIteratorIb7NonZeroIsEPslEENS0_5tupleIJPlS6_EEENSJ_IJSD_SD_EEES6_SK_JS6_EEE10hipError_tPvRmT3_T4_T5_T6_T7_T9_mT8_P12ihipStream_tbDpT10_ENKUlT_T0_E_clISt17integral_constantIbLb1EES15_IbLb0EEEEDaS11_S12_EUlS11_E_NS1_11comp_targetILNS1_3genE2ELNS1_11target_archE906ELNS1_3gpuE6ELNS1_3repE0EEENS1_30default_config_static_selectorELNS0_4arch9wavefront6targetE0EEEvT1_
	.globl	_ZN7rocprim17ROCPRIM_400000_NS6detail17trampoline_kernelINS0_14default_configENS1_25partition_config_selectorILNS1_17partition_subalgoE5ElNS0_10empty_typeEbEEZZNS1_14partition_implILS5_5ELb0ES3_mN6hipcub16HIPCUB_304000_NS21CountingInputIteratorIllEEPS6_NSA_22TransformInputIteratorIb7NonZeroIsEPslEENS0_5tupleIJPlS6_EEENSJ_IJSD_SD_EEES6_SK_JS6_EEE10hipError_tPvRmT3_T4_T5_T6_T7_T9_mT8_P12ihipStream_tbDpT10_ENKUlT_T0_E_clISt17integral_constantIbLb1EES15_IbLb0EEEEDaS11_S12_EUlS11_E_NS1_11comp_targetILNS1_3genE2ELNS1_11target_archE906ELNS1_3gpuE6ELNS1_3repE0EEENS1_30default_config_static_selectorELNS0_4arch9wavefront6targetE0EEEvT1_
	.p2align	8
	.type	_ZN7rocprim17ROCPRIM_400000_NS6detail17trampoline_kernelINS0_14default_configENS1_25partition_config_selectorILNS1_17partition_subalgoE5ElNS0_10empty_typeEbEEZZNS1_14partition_implILS5_5ELb0ES3_mN6hipcub16HIPCUB_304000_NS21CountingInputIteratorIllEEPS6_NSA_22TransformInputIteratorIb7NonZeroIsEPslEENS0_5tupleIJPlS6_EEENSJ_IJSD_SD_EEES6_SK_JS6_EEE10hipError_tPvRmT3_T4_T5_T6_T7_T9_mT8_P12ihipStream_tbDpT10_ENKUlT_T0_E_clISt17integral_constantIbLb1EES15_IbLb0EEEEDaS11_S12_EUlS11_E_NS1_11comp_targetILNS1_3genE2ELNS1_11target_archE906ELNS1_3gpuE6ELNS1_3repE0EEENS1_30default_config_static_selectorELNS0_4arch9wavefront6targetE0EEEvT1_,@function
_ZN7rocprim17ROCPRIM_400000_NS6detail17trampoline_kernelINS0_14default_configENS1_25partition_config_selectorILNS1_17partition_subalgoE5ElNS0_10empty_typeEbEEZZNS1_14partition_implILS5_5ELb0ES3_mN6hipcub16HIPCUB_304000_NS21CountingInputIteratorIllEEPS6_NSA_22TransformInputIteratorIb7NonZeroIsEPslEENS0_5tupleIJPlS6_EEENSJ_IJSD_SD_EEES6_SK_JS6_EEE10hipError_tPvRmT3_T4_T5_T6_T7_T9_mT8_P12ihipStream_tbDpT10_ENKUlT_T0_E_clISt17integral_constantIbLb1EES15_IbLb0EEEEDaS11_S12_EUlS11_E_NS1_11comp_targetILNS1_3genE2ELNS1_11target_archE906ELNS1_3gpuE6ELNS1_3repE0EEENS1_30default_config_static_selectorELNS0_4arch9wavefront6targetE0EEEvT1_: ; @_ZN7rocprim17ROCPRIM_400000_NS6detail17trampoline_kernelINS0_14default_configENS1_25partition_config_selectorILNS1_17partition_subalgoE5ElNS0_10empty_typeEbEEZZNS1_14partition_implILS5_5ELb0ES3_mN6hipcub16HIPCUB_304000_NS21CountingInputIteratorIllEEPS6_NSA_22TransformInputIteratorIb7NonZeroIsEPslEENS0_5tupleIJPlS6_EEENSJ_IJSD_SD_EEES6_SK_JS6_EEE10hipError_tPvRmT3_T4_T5_T6_T7_T9_mT8_P12ihipStream_tbDpT10_ENKUlT_T0_E_clISt17integral_constantIbLb1EES15_IbLb0EEEEDaS11_S12_EUlS11_E_NS1_11comp_targetILNS1_3genE2ELNS1_11target_archE906ELNS1_3gpuE6ELNS1_3repE0EEENS1_30default_config_static_selectorELNS0_4arch9wavefront6targetE0EEEvT1_
; %bb.0:
	.section	.rodata,"a",@progbits
	.p2align	6, 0x0
	.amdhsa_kernel _ZN7rocprim17ROCPRIM_400000_NS6detail17trampoline_kernelINS0_14default_configENS1_25partition_config_selectorILNS1_17partition_subalgoE5ElNS0_10empty_typeEbEEZZNS1_14partition_implILS5_5ELb0ES3_mN6hipcub16HIPCUB_304000_NS21CountingInputIteratorIllEEPS6_NSA_22TransformInputIteratorIb7NonZeroIsEPslEENS0_5tupleIJPlS6_EEENSJ_IJSD_SD_EEES6_SK_JS6_EEE10hipError_tPvRmT3_T4_T5_T6_T7_T9_mT8_P12ihipStream_tbDpT10_ENKUlT_T0_E_clISt17integral_constantIbLb1EES15_IbLb0EEEEDaS11_S12_EUlS11_E_NS1_11comp_targetILNS1_3genE2ELNS1_11target_archE906ELNS1_3gpuE6ELNS1_3repE0EEENS1_30default_config_static_selectorELNS0_4arch9wavefront6targetE0EEEvT1_
		.amdhsa_group_segment_fixed_size 0
		.amdhsa_private_segment_fixed_size 0
		.amdhsa_kernarg_size 120
		.amdhsa_user_sgpr_count 15
		.amdhsa_user_sgpr_dispatch_ptr 0
		.amdhsa_user_sgpr_queue_ptr 0
		.amdhsa_user_sgpr_kernarg_segment_ptr 1
		.amdhsa_user_sgpr_dispatch_id 0
		.amdhsa_user_sgpr_private_segment_size 0
		.amdhsa_wavefront_size32 1
		.amdhsa_uses_dynamic_stack 0
		.amdhsa_enable_private_segment 0
		.amdhsa_system_sgpr_workgroup_id_x 1
		.amdhsa_system_sgpr_workgroup_id_y 0
		.amdhsa_system_sgpr_workgroup_id_z 0
		.amdhsa_system_sgpr_workgroup_info 0
		.amdhsa_system_vgpr_workitem_id 0
		.amdhsa_next_free_vgpr 1
		.amdhsa_next_free_sgpr 1
		.amdhsa_reserve_vcc 0
		.amdhsa_float_round_mode_32 0
		.amdhsa_float_round_mode_16_64 0
		.amdhsa_float_denorm_mode_32 3
		.amdhsa_float_denorm_mode_16_64 3
		.amdhsa_dx10_clamp 1
		.amdhsa_ieee_mode 1
		.amdhsa_fp16_overflow 0
		.amdhsa_workgroup_processor_mode 1
		.amdhsa_memory_ordered 1
		.amdhsa_forward_progress 0
		.amdhsa_shared_vgpr_count 0
		.amdhsa_exception_fp_ieee_invalid_op 0
		.amdhsa_exception_fp_denorm_src 0
		.amdhsa_exception_fp_ieee_div_zero 0
		.amdhsa_exception_fp_ieee_overflow 0
		.amdhsa_exception_fp_ieee_underflow 0
		.amdhsa_exception_fp_ieee_inexact 0
		.amdhsa_exception_int_div_zero 0
	.end_amdhsa_kernel
	.section	.text._ZN7rocprim17ROCPRIM_400000_NS6detail17trampoline_kernelINS0_14default_configENS1_25partition_config_selectorILNS1_17partition_subalgoE5ElNS0_10empty_typeEbEEZZNS1_14partition_implILS5_5ELb0ES3_mN6hipcub16HIPCUB_304000_NS21CountingInputIteratorIllEEPS6_NSA_22TransformInputIteratorIb7NonZeroIsEPslEENS0_5tupleIJPlS6_EEENSJ_IJSD_SD_EEES6_SK_JS6_EEE10hipError_tPvRmT3_T4_T5_T6_T7_T9_mT8_P12ihipStream_tbDpT10_ENKUlT_T0_E_clISt17integral_constantIbLb1EES15_IbLb0EEEEDaS11_S12_EUlS11_E_NS1_11comp_targetILNS1_3genE2ELNS1_11target_archE906ELNS1_3gpuE6ELNS1_3repE0EEENS1_30default_config_static_selectorELNS0_4arch9wavefront6targetE0EEEvT1_,"axG",@progbits,_ZN7rocprim17ROCPRIM_400000_NS6detail17trampoline_kernelINS0_14default_configENS1_25partition_config_selectorILNS1_17partition_subalgoE5ElNS0_10empty_typeEbEEZZNS1_14partition_implILS5_5ELb0ES3_mN6hipcub16HIPCUB_304000_NS21CountingInputIteratorIllEEPS6_NSA_22TransformInputIteratorIb7NonZeroIsEPslEENS0_5tupleIJPlS6_EEENSJ_IJSD_SD_EEES6_SK_JS6_EEE10hipError_tPvRmT3_T4_T5_T6_T7_T9_mT8_P12ihipStream_tbDpT10_ENKUlT_T0_E_clISt17integral_constantIbLb1EES15_IbLb0EEEEDaS11_S12_EUlS11_E_NS1_11comp_targetILNS1_3genE2ELNS1_11target_archE906ELNS1_3gpuE6ELNS1_3repE0EEENS1_30default_config_static_selectorELNS0_4arch9wavefront6targetE0EEEvT1_,comdat
.Lfunc_end137:
	.size	_ZN7rocprim17ROCPRIM_400000_NS6detail17trampoline_kernelINS0_14default_configENS1_25partition_config_selectorILNS1_17partition_subalgoE5ElNS0_10empty_typeEbEEZZNS1_14partition_implILS5_5ELb0ES3_mN6hipcub16HIPCUB_304000_NS21CountingInputIteratorIllEEPS6_NSA_22TransformInputIteratorIb7NonZeroIsEPslEENS0_5tupleIJPlS6_EEENSJ_IJSD_SD_EEES6_SK_JS6_EEE10hipError_tPvRmT3_T4_T5_T6_T7_T9_mT8_P12ihipStream_tbDpT10_ENKUlT_T0_E_clISt17integral_constantIbLb1EES15_IbLb0EEEEDaS11_S12_EUlS11_E_NS1_11comp_targetILNS1_3genE2ELNS1_11target_archE906ELNS1_3gpuE6ELNS1_3repE0EEENS1_30default_config_static_selectorELNS0_4arch9wavefront6targetE0EEEvT1_, .Lfunc_end137-_ZN7rocprim17ROCPRIM_400000_NS6detail17trampoline_kernelINS0_14default_configENS1_25partition_config_selectorILNS1_17partition_subalgoE5ElNS0_10empty_typeEbEEZZNS1_14partition_implILS5_5ELb0ES3_mN6hipcub16HIPCUB_304000_NS21CountingInputIteratorIllEEPS6_NSA_22TransformInputIteratorIb7NonZeroIsEPslEENS0_5tupleIJPlS6_EEENSJ_IJSD_SD_EEES6_SK_JS6_EEE10hipError_tPvRmT3_T4_T5_T6_T7_T9_mT8_P12ihipStream_tbDpT10_ENKUlT_T0_E_clISt17integral_constantIbLb1EES15_IbLb0EEEEDaS11_S12_EUlS11_E_NS1_11comp_targetILNS1_3genE2ELNS1_11target_archE906ELNS1_3gpuE6ELNS1_3repE0EEENS1_30default_config_static_selectorELNS0_4arch9wavefront6targetE0EEEvT1_
                                        ; -- End function
	.section	.AMDGPU.csdata,"",@progbits
; Kernel info:
; codeLenInByte = 0
; NumSgprs: 0
; NumVgprs: 0
; ScratchSize: 0
; MemoryBound: 0
; FloatMode: 240
; IeeeMode: 1
; LDSByteSize: 0 bytes/workgroup (compile time only)
; SGPRBlocks: 0
; VGPRBlocks: 0
; NumSGPRsForWavesPerEU: 1
; NumVGPRsForWavesPerEU: 1
; Occupancy: 16
; WaveLimiterHint : 0
; COMPUTE_PGM_RSRC2:SCRATCH_EN: 0
; COMPUTE_PGM_RSRC2:USER_SGPR: 15
; COMPUTE_PGM_RSRC2:TRAP_HANDLER: 0
; COMPUTE_PGM_RSRC2:TGID_X_EN: 1
; COMPUTE_PGM_RSRC2:TGID_Y_EN: 0
; COMPUTE_PGM_RSRC2:TGID_Z_EN: 0
; COMPUTE_PGM_RSRC2:TIDIG_COMP_CNT: 0
	.section	.text._ZN7rocprim17ROCPRIM_400000_NS6detail17trampoline_kernelINS0_14default_configENS1_25partition_config_selectorILNS1_17partition_subalgoE5ElNS0_10empty_typeEbEEZZNS1_14partition_implILS5_5ELb0ES3_mN6hipcub16HIPCUB_304000_NS21CountingInputIteratorIllEEPS6_NSA_22TransformInputIteratorIb7NonZeroIsEPslEENS0_5tupleIJPlS6_EEENSJ_IJSD_SD_EEES6_SK_JS6_EEE10hipError_tPvRmT3_T4_T5_T6_T7_T9_mT8_P12ihipStream_tbDpT10_ENKUlT_T0_E_clISt17integral_constantIbLb1EES15_IbLb0EEEEDaS11_S12_EUlS11_E_NS1_11comp_targetILNS1_3genE10ELNS1_11target_archE1200ELNS1_3gpuE4ELNS1_3repE0EEENS1_30default_config_static_selectorELNS0_4arch9wavefront6targetE0EEEvT1_,"axG",@progbits,_ZN7rocprim17ROCPRIM_400000_NS6detail17trampoline_kernelINS0_14default_configENS1_25partition_config_selectorILNS1_17partition_subalgoE5ElNS0_10empty_typeEbEEZZNS1_14partition_implILS5_5ELb0ES3_mN6hipcub16HIPCUB_304000_NS21CountingInputIteratorIllEEPS6_NSA_22TransformInputIteratorIb7NonZeroIsEPslEENS0_5tupleIJPlS6_EEENSJ_IJSD_SD_EEES6_SK_JS6_EEE10hipError_tPvRmT3_T4_T5_T6_T7_T9_mT8_P12ihipStream_tbDpT10_ENKUlT_T0_E_clISt17integral_constantIbLb1EES15_IbLb0EEEEDaS11_S12_EUlS11_E_NS1_11comp_targetILNS1_3genE10ELNS1_11target_archE1200ELNS1_3gpuE4ELNS1_3repE0EEENS1_30default_config_static_selectorELNS0_4arch9wavefront6targetE0EEEvT1_,comdat
	.protected	_ZN7rocprim17ROCPRIM_400000_NS6detail17trampoline_kernelINS0_14default_configENS1_25partition_config_selectorILNS1_17partition_subalgoE5ElNS0_10empty_typeEbEEZZNS1_14partition_implILS5_5ELb0ES3_mN6hipcub16HIPCUB_304000_NS21CountingInputIteratorIllEEPS6_NSA_22TransformInputIteratorIb7NonZeroIsEPslEENS0_5tupleIJPlS6_EEENSJ_IJSD_SD_EEES6_SK_JS6_EEE10hipError_tPvRmT3_T4_T5_T6_T7_T9_mT8_P12ihipStream_tbDpT10_ENKUlT_T0_E_clISt17integral_constantIbLb1EES15_IbLb0EEEEDaS11_S12_EUlS11_E_NS1_11comp_targetILNS1_3genE10ELNS1_11target_archE1200ELNS1_3gpuE4ELNS1_3repE0EEENS1_30default_config_static_selectorELNS0_4arch9wavefront6targetE0EEEvT1_ ; -- Begin function _ZN7rocprim17ROCPRIM_400000_NS6detail17trampoline_kernelINS0_14default_configENS1_25partition_config_selectorILNS1_17partition_subalgoE5ElNS0_10empty_typeEbEEZZNS1_14partition_implILS5_5ELb0ES3_mN6hipcub16HIPCUB_304000_NS21CountingInputIteratorIllEEPS6_NSA_22TransformInputIteratorIb7NonZeroIsEPslEENS0_5tupleIJPlS6_EEENSJ_IJSD_SD_EEES6_SK_JS6_EEE10hipError_tPvRmT3_T4_T5_T6_T7_T9_mT8_P12ihipStream_tbDpT10_ENKUlT_T0_E_clISt17integral_constantIbLb1EES15_IbLb0EEEEDaS11_S12_EUlS11_E_NS1_11comp_targetILNS1_3genE10ELNS1_11target_archE1200ELNS1_3gpuE4ELNS1_3repE0EEENS1_30default_config_static_selectorELNS0_4arch9wavefront6targetE0EEEvT1_
	.globl	_ZN7rocprim17ROCPRIM_400000_NS6detail17trampoline_kernelINS0_14default_configENS1_25partition_config_selectorILNS1_17partition_subalgoE5ElNS0_10empty_typeEbEEZZNS1_14partition_implILS5_5ELb0ES3_mN6hipcub16HIPCUB_304000_NS21CountingInputIteratorIllEEPS6_NSA_22TransformInputIteratorIb7NonZeroIsEPslEENS0_5tupleIJPlS6_EEENSJ_IJSD_SD_EEES6_SK_JS6_EEE10hipError_tPvRmT3_T4_T5_T6_T7_T9_mT8_P12ihipStream_tbDpT10_ENKUlT_T0_E_clISt17integral_constantIbLb1EES15_IbLb0EEEEDaS11_S12_EUlS11_E_NS1_11comp_targetILNS1_3genE10ELNS1_11target_archE1200ELNS1_3gpuE4ELNS1_3repE0EEENS1_30default_config_static_selectorELNS0_4arch9wavefront6targetE0EEEvT1_
	.p2align	8
	.type	_ZN7rocprim17ROCPRIM_400000_NS6detail17trampoline_kernelINS0_14default_configENS1_25partition_config_selectorILNS1_17partition_subalgoE5ElNS0_10empty_typeEbEEZZNS1_14partition_implILS5_5ELb0ES3_mN6hipcub16HIPCUB_304000_NS21CountingInputIteratorIllEEPS6_NSA_22TransformInputIteratorIb7NonZeroIsEPslEENS0_5tupleIJPlS6_EEENSJ_IJSD_SD_EEES6_SK_JS6_EEE10hipError_tPvRmT3_T4_T5_T6_T7_T9_mT8_P12ihipStream_tbDpT10_ENKUlT_T0_E_clISt17integral_constantIbLb1EES15_IbLb0EEEEDaS11_S12_EUlS11_E_NS1_11comp_targetILNS1_3genE10ELNS1_11target_archE1200ELNS1_3gpuE4ELNS1_3repE0EEENS1_30default_config_static_selectorELNS0_4arch9wavefront6targetE0EEEvT1_,@function
_ZN7rocprim17ROCPRIM_400000_NS6detail17trampoline_kernelINS0_14default_configENS1_25partition_config_selectorILNS1_17partition_subalgoE5ElNS0_10empty_typeEbEEZZNS1_14partition_implILS5_5ELb0ES3_mN6hipcub16HIPCUB_304000_NS21CountingInputIteratorIllEEPS6_NSA_22TransformInputIteratorIb7NonZeroIsEPslEENS0_5tupleIJPlS6_EEENSJ_IJSD_SD_EEES6_SK_JS6_EEE10hipError_tPvRmT3_T4_T5_T6_T7_T9_mT8_P12ihipStream_tbDpT10_ENKUlT_T0_E_clISt17integral_constantIbLb1EES15_IbLb0EEEEDaS11_S12_EUlS11_E_NS1_11comp_targetILNS1_3genE10ELNS1_11target_archE1200ELNS1_3gpuE4ELNS1_3repE0EEENS1_30default_config_static_selectorELNS0_4arch9wavefront6targetE0EEEvT1_: ; @_ZN7rocprim17ROCPRIM_400000_NS6detail17trampoline_kernelINS0_14default_configENS1_25partition_config_selectorILNS1_17partition_subalgoE5ElNS0_10empty_typeEbEEZZNS1_14partition_implILS5_5ELb0ES3_mN6hipcub16HIPCUB_304000_NS21CountingInputIteratorIllEEPS6_NSA_22TransformInputIteratorIb7NonZeroIsEPslEENS0_5tupleIJPlS6_EEENSJ_IJSD_SD_EEES6_SK_JS6_EEE10hipError_tPvRmT3_T4_T5_T6_T7_T9_mT8_P12ihipStream_tbDpT10_ENKUlT_T0_E_clISt17integral_constantIbLb1EES15_IbLb0EEEEDaS11_S12_EUlS11_E_NS1_11comp_targetILNS1_3genE10ELNS1_11target_archE1200ELNS1_3gpuE4ELNS1_3repE0EEENS1_30default_config_static_selectorELNS0_4arch9wavefront6targetE0EEEvT1_
; %bb.0:
	.section	.rodata,"a",@progbits
	.p2align	6, 0x0
	.amdhsa_kernel _ZN7rocprim17ROCPRIM_400000_NS6detail17trampoline_kernelINS0_14default_configENS1_25partition_config_selectorILNS1_17partition_subalgoE5ElNS0_10empty_typeEbEEZZNS1_14partition_implILS5_5ELb0ES3_mN6hipcub16HIPCUB_304000_NS21CountingInputIteratorIllEEPS6_NSA_22TransformInputIteratorIb7NonZeroIsEPslEENS0_5tupleIJPlS6_EEENSJ_IJSD_SD_EEES6_SK_JS6_EEE10hipError_tPvRmT3_T4_T5_T6_T7_T9_mT8_P12ihipStream_tbDpT10_ENKUlT_T0_E_clISt17integral_constantIbLb1EES15_IbLb0EEEEDaS11_S12_EUlS11_E_NS1_11comp_targetILNS1_3genE10ELNS1_11target_archE1200ELNS1_3gpuE4ELNS1_3repE0EEENS1_30default_config_static_selectorELNS0_4arch9wavefront6targetE0EEEvT1_
		.amdhsa_group_segment_fixed_size 0
		.amdhsa_private_segment_fixed_size 0
		.amdhsa_kernarg_size 120
		.amdhsa_user_sgpr_count 15
		.amdhsa_user_sgpr_dispatch_ptr 0
		.amdhsa_user_sgpr_queue_ptr 0
		.amdhsa_user_sgpr_kernarg_segment_ptr 1
		.amdhsa_user_sgpr_dispatch_id 0
		.amdhsa_user_sgpr_private_segment_size 0
		.amdhsa_wavefront_size32 1
		.amdhsa_uses_dynamic_stack 0
		.amdhsa_enable_private_segment 0
		.amdhsa_system_sgpr_workgroup_id_x 1
		.amdhsa_system_sgpr_workgroup_id_y 0
		.amdhsa_system_sgpr_workgroup_id_z 0
		.amdhsa_system_sgpr_workgroup_info 0
		.amdhsa_system_vgpr_workitem_id 0
		.amdhsa_next_free_vgpr 1
		.amdhsa_next_free_sgpr 1
		.amdhsa_reserve_vcc 0
		.amdhsa_float_round_mode_32 0
		.amdhsa_float_round_mode_16_64 0
		.amdhsa_float_denorm_mode_32 3
		.amdhsa_float_denorm_mode_16_64 3
		.amdhsa_dx10_clamp 1
		.amdhsa_ieee_mode 1
		.amdhsa_fp16_overflow 0
		.amdhsa_workgroup_processor_mode 1
		.amdhsa_memory_ordered 1
		.amdhsa_forward_progress 0
		.amdhsa_shared_vgpr_count 0
		.amdhsa_exception_fp_ieee_invalid_op 0
		.amdhsa_exception_fp_denorm_src 0
		.amdhsa_exception_fp_ieee_div_zero 0
		.amdhsa_exception_fp_ieee_overflow 0
		.amdhsa_exception_fp_ieee_underflow 0
		.amdhsa_exception_fp_ieee_inexact 0
		.amdhsa_exception_int_div_zero 0
	.end_amdhsa_kernel
	.section	.text._ZN7rocprim17ROCPRIM_400000_NS6detail17trampoline_kernelINS0_14default_configENS1_25partition_config_selectorILNS1_17partition_subalgoE5ElNS0_10empty_typeEbEEZZNS1_14partition_implILS5_5ELb0ES3_mN6hipcub16HIPCUB_304000_NS21CountingInputIteratorIllEEPS6_NSA_22TransformInputIteratorIb7NonZeroIsEPslEENS0_5tupleIJPlS6_EEENSJ_IJSD_SD_EEES6_SK_JS6_EEE10hipError_tPvRmT3_T4_T5_T6_T7_T9_mT8_P12ihipStream_tbDpT10_ENKUlT_T0_E_clISt17integral_constantIbLb1EES15_IbLb0EEEEDaS11_S12_EUlS11_E_NS1_11comp_targetILNS1_3genE10ELNS1_11target_archE1200ELNS1_3gpuE4ELNS1_3repE0EEENS1_30default_config_static_selectorELNS0_4arch9wavefront6targetE0EEEvT1_,"axG",@progbits,_ZN7rocprim17ROCPRIM_400000_NS6detail17trampoline_kernelINS0_14default_configENS1_25partition_config_selectorILNS1_17partition_subalgoE5ElNS0_10empty_typeEbEEZZNS1_14partition_implILS5_5ELb0ES3_mN6hipcub16HIPCUB_304000_NS21CountingInputIteratorIllEEPS6_NSA_22TransformInputIteratorIb7NonZeroIsEPslEENS0_5tupleIJPlS6_EEENSJ_IJSD_SD_EEES6_SK_JS6_EEE10hipError_tPvRmT3_T4_T5_T6_T7_T9_mT8_P12ihipStream_tbDpT10_ENKUlT_T0_E_clISt17integral_constantIbLb1EES15_IbLb0EEEEDaS11_S12_EUlS11_E_NS1_11comp_targetILNS1_3genE10ELNS1_11target_archE1200ELNS1_3gpuE4ELNS1_3repE0EEENS1_30default_config_static_selectorELNS0_4arch9wavefront6targetE0EEEvT1_,comdat
.Lfunc_end138:
	.size	_ZN7rocprim17ROCPRIM_400000_NS6detail17trampoline_kernelINS0_14default_configENS1_25partition_config_selectorILNS1_17partition_subalgoE5ElNS0_10empty_typeEbEEZZNS1_14partition_implILS5_5ELb0ES3_mN6hipcub16HIPCUB_304000_NS21CountingInputIteratorIllEEPS6_NSA_22TransformInputIteratorIb7NonZeroIsEPslEENS0_5tupleIJPlS6_EEENSJ_IJSD_SD_EEES6_SK_JS6_EEE10hipError_tPvRmT3_T4_T5_T6_T7_T9_mT8_P12ihipStream_tbDpT10_ENKUlT_T0_E_clISt17integral_constantIbLb1EES15_IbLb0EEEEDaS11_S12_EUlS11_E_NS1_11comp_targetILNS1_3genE10ELNS1_11target_archE1200ELNS1_3gpuE4ELNS1_3repE0EEENS1_30default_config_static_selectorELNS0_4arch9wavefront6targetE0EEEvT1_, .Lfunc_end138-_ZN7rocprim17ROCPRIM_400000_NS6detail17trampoline_kernelINS0_14default_configENS1_25partition_config_selectorILNS1_17partition_subalgoE5ElNS0_10empty_typeEbEEZZNS1_14partition_implILS5_5ELb0ES3_mN6hipcub16HIPCUB_304000_NS21CountingInputIteratorIllEEPS6_NSA_22TransformInputIteratorIb7NonZeroIsEPslEENS0_5tupleIJPlS6_EEENSJ_IJSD_SD_EEES6_SK_JS6_EEE10hipError_tPvRmT3_T4_T5_T6_T7_T9_mT8_P12ihipStream_tbDpT10_ENKUlT_T0_E_clISt17integral_constantIbLb1EES15_IbLb0EEEEDaS11_S12_EUlS11_E_NS1_11comp_targetILNS1_3genE10ELNS1_11target_archE1200ELNS1_3gpuE4ELNS1_3repE0EEENS1_30default_config_static_selectorELNS0_4arch9wavefront6targetE0EEEvT1_
                                        ; -- End function
	.section	.AMDGPU.csdata,"",@progbits
; Kernel info:
; codeLenInByte = 0
; NumSgprs: 0
; NumVgprs: 0
; ScratchSize: 0
; MemoryBound: 0
; FloatMode: 240
; IeeeMode: 1
; LDSByteSize: 0 bytes/workgroup (compile time only)
; SGPRBlocks: 0
; VGPRBlocks: 0
; NumSGPRsForWavesPerEU: 1
; NumVGPRsForWavesPerEU: 1
; Occupancy: 16
; WaveLimiterHint : 0
; COMPUTE_PGM_RSRC2:SCRATCH_EN: 0
; COMPUTE_PGM_RSRC2:USER_SGPR: 15
; COMPUTE_PGM_RSRC2:TRAP_HANDLER: 0
; COMPUTE_PGM_RSRC2:TGID_X_EN: 1
; COMPUTE_PGM_RSRC2:TGID_Y_EN: 0
; COMPUTE_PGM_RSRC2:TGID_Z_EN: 0
; COMPUTE_PGM_RSRC2:TIDIG_COMP_CNT: 0
	.section	.text._ZN7rocprim17ROCPRIM_400000_NS6detail17trampoline_kernelINS0_14default_configENS1_25partition_config_selectorILNS1_17partition_subalgoE5ElNS0_10empty_typeEbEEZZNS1_14partition_implILS5_5ELb0ES3_mN6hipcub16HIPCUB_304000_NS21CountingInputIteratorIllEEPS6_NSA_22TransformInputIteratorIb7NonZeroIsEPslEENS0_5tupleIJPlS6_EEENSJ_IJSD_SD_EEES6_SK_JS6_EEE10hipError_tPvRmT3_T4_T5_T6_T7_T9_mT8_P12ihipStream_tbDpT10_ENKUlT_T0_E_clISt17integral_constantIbLb1EES15_IbLb0EEEEDaS11_S12_EUlS11_E_NS1_11comp_targetILNS1_3genE9ELNS1_11target_archE1100ELNS1_3gpuE3ELNS1_3repE0EEENS1_30default_config_static_selectorELNS0_4arch9wavefront6targetE0EEEvT1_,"axG",@progbits,_ZN7rocprim17ROCPRIM_400000_NS6detail17trampoline_kernelINS0_14default_configENS1_25partition_config_selectorILNS1_17partition_subalgoE5ElNS0_10empty_typeEbEEZZNS1_14partition_implILS5_5ELb0ES3_mN6hipcub16HIPCUB_304000_NS21CountingInputIteratorIllEEPS6_NSA_22TransformInputIteratorIb7NonZeroIsEPslEENS0_5tupleIJPlS6_EEENSJ_IJSD_SD_EEES6_SK_JS6_EEE10hipError_tPvRmT3_T4_T5_T6_T7_T9_mT8_P12ihipStream_tbDpT10_ENKUlT_T0_E_clISt17integral_constantIbLb1EES15_IbLb0EEEEDaS11_S12_EUlS11_E_NS1_11comp_targetILNS1_3genE9ELNS1_11target_archE1100ELNS1_3gpuE3ELNS1_3repE0EEENS1_30default_config_static_selectorELNS0_4arch9wavefront6targetE0EEEvT1_,comdat
	.protected	_ZN7rocprim17ROCPRIM_400000_NS6detail17trampoline_kernelINS0_14default_configENS1_25partition_config_selectorILNS1_17partition_subalgoE5ElNS0_10empty_typeEbEEZZNS1_14partition_implILS5_5ELb0ES3_mN6hipcub16HIPCUB_304000_NS21CountingInputIteratorIllEEPS6_NSA_22TransformInputIteratorIb7NonZeroIsEPslEENS0_5tupleIJPlS6_EEENSJ_IJSD_SD_EEES6_SK_JS6_EEE10hipError_tPvRmT3_T4_T5_T6_T7_T9_mT8_P12ihipStream_tbDpT10_ENKUlT_T0_E_clISt17integral_constantIbLb1EES15_IbLb0EEEEDaS11_S12_EUlS11_E_NS1_11comp_targetILNS1_3genE9ELNS1_11target_archE1100ELNS1_3gpuE3ELNS1_3repE0EEENS1_30default_config_static_selectorELNS0_4arch9wavefront6targetE0EEEvT1_ ; -- Begin function _ZN7rocprim17ROCPRIM_400000_NS6detail17trampoline_kernelINS0_14default_configENS1_25partition_config_selectorILNS1_17partition_subalgoE5ElNS0_10empty_typeEbEEZZNS1_14partition_implILS5_5ELb0ES3_mN6hipcub16HIPCUB_304000_NS21CountingInputIteratorIllEEPS6_NSA_22TransformInputIteratorIb7NonZeroIsEPslEENS0_5tupleIJPlS6_EEENSJ_IJSD_SD_EEES6_SK_JS6_EEE10hipError_tPvRmT3_T4_T5_T6_T7_T9_mT8_P12ihipStream_tbDpT10_ENKUlT_T0_E_clISt17integral_constantIbLb1EES15_IbLb0EEEEDaS11_S12_EUlS11_E_NS1_11comp_targetILNS1_3genE9ELNS1_11target_archE1100ELNS1_3gpuE3ELNS1_3repE0EEENS1_30default_config_static_selectorELNS0_4arch9wavefront6targetE0EEEvT1_
	.globl	_ZN7rocprim17ROCPRIM_400000_NS6detail17trampoline_kernelINS0_14default_configENS1_25partition_config_selectorILNS1_17partition_subalgoE5ElNS0_10empty_typeEbEEZZNS1_14partition_implILS5_5ELb0ES3_mN6hipcub16HIPCUB_304000_NS21CountingInputIteratorIllEEPS6_NSA_22TransformInputIteratorIb7NonZeroIsEPslEENS0_5tupleIJPlS6_EEENSJ_IJSD_SD_EEES6_SK_JS6_EEE10hipError_tPvRmT3_T4_T5_T6_T7_T9_mT8_P12ihipStream_tbDpT10_ENKUlT_T0_E_clISt17integral_constantIbLb1EES15_IbLb0EEEEDaS11_S12_EUlS11_E_NS1_11comp_targetILNS1_3genE9ELNS1_11target_archE1100ELNS1_3gpuE3ELNS1_3repE0EEENS1_30default_config_static_selectorELNS0_4arch9wavefront6targetE0EEEvT1_
	.p2align	8
	.type	_ZN7rocprim17ROCPRIM_400000_NS6detail17trampoline_kernelINS0_14default_configENS1_25partition_config_selectorILNS1_17partition_subalgoE5ElNS0_10empty_typeEbEEZZNS1_14partition_implILS5_5ELb0ES3_mN6hipcub16HIPCUB_304000_NS21CountingInputIteratorIllEEPS6_NSA_22TransformInputIteratorIb7NonZeroIsEPslEENS0_5tupleIJPlS6_EEENSJ_IJSD_SD_EEES6_SK_JS6_EEE10hipError_tPvRmT3_T4_T5_T6_T7_T9_mT8_P12ihipStream_tbDpT10_ENKUlT_T0_E_clISt17integral_constantIbLb1EES15_IbLb0EEEEDaS11_S12_EUlS11_E_NS1_11comp_targetILNS1_3genE9ELNS1_11target_archE1100ELNS1_3gpuE3ELNS1_3repE0EEENS1_30default_config_static_selectorELNS0_4arch9wavefront6targetE0EEEvT1_,@function
_ZN7rocprim17ROCPRIM_400000_NS6detail17trampoline_kernelINS0_14default_configENS1_25partition_config_selectorILNS1_17partition_subalgoE5ElNS0_10empty_typeEbEEZZNS1_14partition_implILS5_5ELb0ES3_mN6hipcub16HIPCUB_304000_NS21CountingInputIteratorIllEEPS6_NSA_22TransformInputIteratorIb7NonZeroIsEPslEENS0_5tupleIJPlS6_EEENSJ_IJSD_SD_EEES6_SK_JS6_EEE10hipError_tPvRmT3_T4_T5_T6_T7_T9_mT8_P12ihipStream_tbDpT10_ENKUlT_T0_E_clISt17integral_constantIbLb1EES15_IbLb0EEEEDaS11_S12_EUlS11_E_NS1_11comp_targetILNS1_3genE9ELNS1_11target_archE1100ELNS1_3gpuE3ELNS1_3repE0EEENS1_30default_config_static_selectorELNS0_4arch9wavefront6targetE0EEEvT1_: ; @_ZN7rocprim17ROCPRIM_400000_NS6detail17trampoline_kernelINS0_14default_configENS1_25partition_config_selectorILNS1_17partition_subalgoE5ElNS0_10empty_typeEbEEZZNS1_14partition_implILS5_5ELb0ES3_mN6hipcub16HIPCUB_304000_NS21CountingInputIteratorIllEEPS6_NSA_22TransformInputIteratorIb7NonZeroIsEPslEENS0_5tupleIJPlS6_EEENSJ_IJSD_SD_EEES6_SK_JS6_EEE10hipError_tPvRmT3_T4_T5_T6_T7_T9_mT8_P12ihipStream_tbDpT10_ENKUlT_T0_E_clISt17integral_constantIbLb1EES15_IbLb0EEEEDaS11_S12_EUlS11_E_NS1_11comp_targetILNS1_3genE9ELNS1_11target_archE1100ELNS1_3gpuE3ELNS1_3repE0EEENS1_30default_config_static_selectorELNS0_4arch9wavefront6targetE0EEEvT1_
; %bb.0:
	s_clause 0x4
	s_load_b128 s[8:11], s[0:1], 0x8
	s_load_b128 s[4:7], s[0:1], 0x48
	s_load_b32 s14, s[0:1], 0x70
	s_load_b64 s[2:3], s[0:1], 0x58
	s_load_b64 s[12:13], s[0:1], 0x20
	s_waitcnt lgkmcnt(0)
	s_add_u32 s18, s10, s8
	s_load_b64 s[6:7], s[6:7], 0x0
	s_mul_i32 s17, s14, 0x300
	s_addc_u32 s19, s11, s9
	s_add_i32 s14, s14, -1
	s_add_u32 s8, s10, s17
	s_addc_u32 s9, s11, 0
	s_cmp_eq_u32 s15, s14
	v_cmp_ge_u64_e64 s3, s[8:9], s[2:3]
	s_cselect_b32 s14, -1, 0
	s_mul_i32 s8, s15, 0x300
	s_mov_b32 s9, 0
	s_delay_alu instid0(VALU_DEP_1) | instskip(NEXT) | instid1(SALU_CYCLE_1)
	s_and_b32 s3, s14, s3
	s_xor_b32 s16, s3, -1
	s_mov_b32 s3, -1
	s_and_b32 vcc_lo, exec_lo, s16
	s_cbranch_vccz .LBB139_2
; %bb.1:
	s_add_u32 s3, s18, s8
	s_addc_u32 s20, s19, 0
	v_add_co_u32 v1, s3, s3, v0
	s_delay_alu instid0(VALU_DEP_1) | instskip(SKIP_1) | instid1(VALU_DEP_3)
	v_add_co_ci_u32_e64 v2, null, s20, 0, s3
	v_lshlrev_b32_e32 v13, 3, v0
	v_add_co_u32 v3, vcc_lo, 0x80, v1
	s_delay_alu instid0(VALU_DEP_3)
	v_add_co_ci_u32_e32 v4, vcc_lo, 0, v2, vcc_lo
	v_add_co_u32 v5, vcc_lo, 0x100, v1
	v_add_co_ci_u32_e32 v6, vcc_lo, 0, v2, vcc_lo
	v_add_co_u32 v7, vcc_lo, 0x180, v1
	;; [unrolled: 2-line block ×4, first 2 shown]
	v_add_co_ci_u32_e32 v12, vcc_lo, 0, v2, vcc_lo
	ds_store_2addr_stride64_b64 v13, v[1:2], v[3:4] offset1:2
	ds_store_2addr_stride64_b64 v13, v[5:6], v[7:8] offset0:4 offset1:6
	ds_store_2addr_stride64_b64 v13, v[9:10], v[11:12] offset0:8 offset1:10
	s_waitcnt lgkmcnt(0)
	s_mov_b32 s3, s9
	s_barrier
.LBB139_2:
	v_or_b32_e32 v17, 0x100, v0
	v_or_b32_e32 v16, 0x180, v0
	;; [unrolled: 1-line block ×4, first 2 shown]
	s_and_not1_b32 vcc_lo, exec_lo, s3
	s_cbranch_vccnz .LBB139_4
; %bb.3:
	v_or_b32_e32 v3, 0x80, v0
	s_add_u32 s3, s18, s8
	s_addc_u32 s18, s19, 0
	v_add_co_u32 v1, s19, s3, v0
	s_delay_alu instid0(VALU_DEP_1) | instskip(SKIP_1) | instid1(VALU_DEP_1)
	v_add_co_ci_u32_e64 v2, null, s18, 0, s19
	v_add_co_u32 v3, s19, s3, v3
	v_add_co_ci_u32_e64 v4, null, s18, 0, s19
	v_add_co_u32 v5, s19, s3, v17
	s_delay_alu instid0(VALU_DEP_1) | instskip(SKIP_1) | instid1(VALU_DEP_1)
	v_add_co_ci_u32_e64 v6, null, s18, 0, s19
	v_add_co_u32 v7, s19, s3, v16
	v_add_co_ci_u32_e64 v8, null, s18, 0, s19
	v_add_co_u32 v9, s19, s3, v14
	v_lshlrev_b32_e32 v15, 3, v0
	v_add_co_u32 v11, s3, s3, v13
	v_add_co_ci_u32_e64 v10, null, s18, 0, s19
	v_add_co_ci_u32_e64 v12, null, s18, 0, s3
	ds_store_2addr_stride64_b64 v15, v[1:2], v[3:4] offset1:2
	ds_store_2addr_stride64_b64 v15, v[5:6], v[7:8] offset0:4 offset1:6
	ds_store_2addr_stride64_b64 v15, v[9:10], v[11:12] offset0:8 offset1:10
	s_waitcnt lgkmcnt(0)
	s_barrier
.LBB139_4:
	v_mul_u32_u24_e32 v1, 6, v0
	s_waitcnt lgkmcnt(0)
	buffer_gl0_inv
	s_lshl_b64 s[18:19], s[10:11], 1
	s_delay_alu instid0(SALU_CYCLE_1)
	s_add_u32 s3, s12, s18
	v_lshlrev_b32_e32 v15, 3, v1
	s_addc_u32 s11, s13, s19
	s_lshl_b64 s[8:9], s[8:9], 1
	ds_load_b128 v[9:12], v15
	ds_load_b128 v[5:8], v15 offset:16
	ds_load_b128 v[1:4], v15 offset:32
	s_add_u32 s12, s3, s8
	s_addc_u32 s13, s11, s9
	s_and_b32 vcc_lo, exec_lo, s16
	s_mov_b32 s3, -1
	s_waitcnt lgkmcnt(0)
	s_barrier
	buffer_gl0_inv
	s_cbranch_vccz .LBB139_6
; %bb.5:
	v_lshlrev_b32_e32 v18, 1, v0
	s_mov_b32 s3, 0
	s_clause 0x5
	global_load_u16 v19, v18, s[12:13]
	global_load_u16 v20, v18, s[12:13] offset:256
	global_load_u16 v21, v18, s[12:13] offset:512
	;; [unrolled: 1-line block ×5, first 2 shown]
	s_waitcnt vmcnt(5)
	v_cmp_ne_u16_e32 vcc_lo, 0, v19
	v_cndmask_b32_e64 v19, 0, 1, vcc_lo
	s_waitcnt vmcnt(4)
	v_cmp_ne_u16_e32 vcc_lo, 0, v20
	v_cndmask_b32_e64 v20, 0, 1, vcc_lo
	;; [unrolled: 3-line block ×6, first 2 shown]
	ds_store_b8 v0, v19
	ds_store_b8 v0, v20 offset:128
	ds_store_b8 v0, v21 offset:256
	;; [unrolled: 1-line block ×5, first 2 shown]
	s_waitcnt lgkmcnt(0)
	s_barrier
.LBB139_6:
	s_load_b64 s[8:9], s[0:1], 0x68
	s_and_not1_b32 vcc_lo, exec_lo, s3
	s_cbranch_vccnz .LBB139_20
; %bb.7:
	s_add_i32 s17, s17, s10
	v_dual_mov_b32 v18, 0 :: v_dual_mov_b32 v19, 0
	s_sub_i32 s2, s2, s17
	s_mov_b32 s3, exec_lo
	s_addk_i32 s2, 0x300
	s_delay_alu instid0(SALU_CYCLE_1)
	v_cmpx_gt_u32_e64 s2, v0
	s_cbranch_execz .LBB139_9
; %bb.8:
	v_lshlrev_b32_e32 v19, 1, v0
	global_load_u16 v19, v19, s[12:13]
	s_waitcnt vmcnt(0)
	v_cmp_ne_u16_e32 vcc_lo, 0, v19
	v_cndmask_b32_e64 v19, 0, 1, vcc_lo
.LBB139_9:
	s_or_b32 exec_lo, exec_lo, s3
	v_or_b32_e32 v20, 0x80, v0
	s_mov_b32 s3, exec_lo
	s_delay_alu instid0(VALU_DEP_1)
	v_cmpx_gt_u32_e64 s2, v20
	s_cbranch_execz .LBB139_11
; %bb.10:
	v_lshlrev_b32_e32 v18, 1, v0
	global_load_u16 v18, v18, s[12:13] offset:256
	s_waitcnt vmcnt(0)
	v_cmp_ne_u16_e32 vcc_lo, 0, v18
	v_cndmask_b32_e64 v18, 0, 1, vcc_lo
.LBB139_11:
	s_or_b32 exec_lo, exec_lo, s3
	v_cmp_gt_u32_e32 vcc_lo, s2, v17
	v_dual_mov_b32 v17, 0 :: v_dual_mov_b32 v20, 0
	s_and_saveexec_b32 s3, vcc_lo
	s_cbranch_execz .LBB139_13
; %bb.12:
	v_lshlrev_b32_e32 v20, 1, v0
	global_load_u16 v20, v20, s[12:13] offset:512
	s_waitcnt vmcnt(0)
	v_cmp_ne_u16_e32 vcc_lo, 0, v20
	v_cndmask_b32_e64 v20, 0, 1, vcc_lo
.LBB139_13:
	s_or_b32 exec_lo, exec_lo, s3
	s_delay_alu instid0(SALU_CYCLE_1)
	s_mov_b32 s3, exec_lo
	v_cmpx_gt_u32_e64 s2, v16
	s_cbranch_execz .LBB139_15
; %bb.14:
	v_lshlrev_b32_e32 v16, 1, v0
	global_load_u16 v16, v16, s[12:13] offset:768
	s_waitcnt vmcnt(0)
	v_cmp_ne_u16_e32 vcc_lo, 0, v16
	v_cndmask_b32_e64 v17, 0, 1, vcc_lo
.LBB139_15:
	s_or_b32 exec_lo, exec_lo, s3
	v_cmp_gt_u32_e32 vcc_lo, s2, v14
	v_mov_b32_e32 v14, 0
	v_mov_b32_e32 v16, 0
	s_and_saveexec_b32 s3, vcc_lo
	s_cbranch_execz .LBB139_17
; %bb.16:
	v_lshlrev_b32_e32 v16, 1, v0
	global_load_u16 v16, v16, s[12:13] offset:1024
	s_waitcnt vmcnt(0)
	v_cmp_ne_u16_e32 vcc_lo, 0, v16
	v_cndmask_b32_e64 v16, 0, 1, vcc_lo
.LBB139_17:
	s_or_b32 exec_lo, exec_lo, s3
	v_cmp_gt_u32_e32 vcc_lo, s2, v13
	s_and_saveexec_b32 s2, vcc_lo
	s_cbranch_execz .LBB139_19
; %bb.18:
	v_lshlrev_b32_e32 v13, 1, v0
	global_load_u16 v13, v13, s[12:13] offset:1280
	s_waitcnt vmcnt(0)
	v_cmp_ne_u16_e32 vcc_lo, 0, v13
	v_cndmask_b32_e64 v14, 0, 1, vcc_lo
.LBB139_19:
	s_or_b32 exec_lo, exec_lo, s2
	ds_store_b8 v0, v19
	ds_store_b8 v0, v18 offset:128
	ds_store_b8 v0, v20 offset:256
	;; [unrolled: 1-line block ×5, first 2 shown]
	s_waitcnt lgkmcnt(0)
	s_barrier
.LBB139_20:
	v_mad_i32_i24 v43, 0xffffffd6, v0, v15
	s_waitcnt lgkmcnt(0)
	buffer_gl0_inv
	v_mbcnt_lo_u32_b32 v42, -1, 0
	s_cmp_lg_u32 s15, 0
	s_mov_b32 s3, -1
	ds_load_u16 v36, v43
	ds_load_u16 v33, v43 offset:2
	ds_load_u16 v31, v43 offset:4
	v_mov_b32_e32 v14, 0
	v_and_b32_e32 v44, 15, v42
	s_waitcnt lgkmcnt(0)
	s_barrier
	buffer_gl0_inv
	v_and_b32_e32 v41, 0xff, v36
	v_lshrrev_b16 v34, 8, v36
	v_lshrrev_b16 v35, 8, v33
	v_and_b32_e32 v39, 0xff, v33
	v_lshrrev_b16 v32, 8, v31
	v_and_b32_e32 v37, 0xff, v31
	v_and_b32_e32 v40, 0xffff, v34
	;; [unrolled: 1-line block ×3, first 2 shown]
	s_delay_alu instid0(VALU_DEP_4) | instskip(NEXT) | instid1(VALU_DEP_3)
	v_and_b32_e32 v16, 0xffff, v32
	v_add_co_u32 v13, s2, v40, v41
	s_delay_alu instid0(VALU_DEP_1) | instskip(SKIP_1) | instid1(VALU_DEP_3)
	v_add_co_ci_u32_e64 v15, null, 0, 0, s2
	v_cmp_ne_u32_e64 s2, 0, v44
	v_add_co_u32 v13, vcc_lo, v13, v39
	s_delay_alu instid0(VALU_DEP_3) | instskip(NEXT) | instid1(VALU_DEP_2)
	v_add_co_ci_u32_e32 v15, vcc_lo, 0, v15, vcc_lo
	v_add_co_u32 v13, vcc_lo, v13, v38
	s_delay_alu instid0(VALU_DEP_2) | instskip(NEXT) | instid1(VALU_DEP_2)
	v_add_co_ci_u32_e32 v15, vcc_lo, 0, v15, vcc_lo
	v_add_co_u32 v13, vcc_lo, v13, v37
	s_delay_alu instid0(VALU_DEP_2) | instskip(NEXT) | instid1(VALU_DEP_2)
	v_add_co_ci_u32_e32 v15, vcc_lo, 0, v15, vcc_lo
	v_add_co_u32 v21, vcc_lo, v13, v16
	s_delay_alu instid0(VALU_DEP_2)
	v_add_co_ci_u32_e32 v22, vcc_lo, 0, v15, vcc_lo
	s_cbranch_scc0 .LBB139_89
; %bb.21:
	s_delay_alu instid0(VALU_DEP_2)
	v_mov_b32_e32 v15, v21
	v_mov_b32_dpp v13, v21 row_shr:1 row_mask:0xf bank_mask:0xf
	v_mov_b32_dpp v18, v14 row_shr:1 row_mask:0xf bank_mask:0xf
	v_dual_mov_b32 v17, v21 :: v_dual_mov_b32 v16, v22
	s_and_saveexec_b32 s3, s2
; %bb.22:
	s_delay_alu instid0(VALU_DEP_3) | instskip(SKIP_1) | instid1(VALU_DEP_2)
	v_add_co_u32 v17, vcc_lo, v21, v13
	v_add_co_ci_u32_e32 v14, vcc_lo, 0, v22, vcc_lo
	v_add_co_u32 v13, vcc_lo, 0, v17
	s_delay_alu instid0(VALU_DEP_2) | instskip(NEXT) | instid1(VALU_DEP_1)
	v_add_co_ci_u32_e32 v14, vcc_lo, v18, v14, vcc_lo
	v_dual_mov_b32 v16, v14 :: v_dual_mov_b32 v15, v13
; %bb.23:
	s_or_b32 exec_lo, exec_lo, s3
	v_mov_b32_dpp v13, v17 row_shr:2 row_mask:0xf bank_mask:0xf
	v_mov_b32_dpp v18, v14 row_shr:2 row_mask:0xf bank_mask:0xf
	s_mov_b32 s3, exec_lo
	v_cmpx_lt_u32_e32 1, v44
; %bb.24:
	s_delay_alu instid0(VALU_DEP_3) | instskip(SKIP_1) | instid1(VALU_DEP_2)
	v_add_co_u32 v17, vcc_lo, v15, v13
	v_add_co_ci_u32_e32 v14, vcc_lo, 0, v16, vcc_lo
	v_add_co_u32 v13, vcc_lo, 0, v17
	s_delay_alu instid0(VALU_DEP_2) | instskip(NEXT) | instid1(VALU_DEP_1)
	v_add_co_ci_u32_e32 v14, vcc_lo, v18, v14, vcc_lo
	v_dual_mov_b32 v16, v14 :: v_dual_mov_b32 v15, v13
; %bb.25:
	s_or_b32 exec_lo, exec_lo, s3
	v_mov_b32_dpp v13, v17 row_shr:4 row_mask:0xf bank_mask:0xf
	v_mov_b32_dpp v18, v14 row_shr:4 row_mask:0xf bank_mask:0xf
	s_mov_b32 s3, exec_lo
	v_cmpx_lt_u32_e32 3, v44
	;; [unrolled: 14-line block ×3, first 2 shown]
; %bb.28:
	s_delay_alu instid0(VALU_DEP_3) | instskip(SKIP_1) | instid1(VALU_DEP_2)
	v_add_co_u32 v17, vcc_lo, v15, v18
	v_add_co_ci_u32_e32 v14, vcc_lo, 0, v16, vcc_lo
	v_add_co_u32 v15, vcc_lo, 0, v17
	s_delay_alu instid0(VALU_DEP_2) | instskip(NEXT) | instid1(VALU_DEP_1)
	v_add_co_ci_u32_e32 v16, vcc_lo, v13, v14, vcc_lo
	v_mov_b32_e32 v14, v16
; %bb.29:
	s_or_b32 exec_lo, exec_lo, s3
	ds_swizzle_b32 v13, v17 offset:swizzle(BROADCAST,32,15)
	ds_swizzle_b32 v18, v14 offset:swizzle(BROADCAST,32,15)
	v_and_b32_e32 v19, 16, v42
	s_mov_b32 s3, exec_lo
	s_delay_alu instid0(VALU_DEP_1)
	v_cmpx_ne_u32_e32 0, v19
	s_cbranch_execz .LBB139_31
; %bb.30:
	s_waitcnt lgkmcnt(1)
	v_add_co_u32 v17, vcc_lo, v15, v13
	v_add_co_ci_u32_e32 v14, vcc_lo, 0, v16, vcc_lo
	s_delay_alu instid0(VALU_DEP_2) | instskip(SKIP_1) | instid1(VALU_DEP_2)
	v_add_co_u32 v13, vcc_lo, 0, v17
	s_waitcnt lgkmcnt(0)
	v_add_co_ci_u32_e32 v14, vcc_lo, v18, v14, vcc_lo
	s_delay_alu instid0(VALU_DEP_1)
	v_dual_mov_b32 v16, v14 :: v_dual_mov_b32 v15, v13
.LBB139_31:
	s_or_b32 exec_lo, exec_lo, s3
	s_waitcnt lgkmcnt(0)
	v_or_b32_e32 v18, 31, v0
	v_lshrrev_b32_e32 v13, 5, v0
	s_mov_b32 s3, exec_lo
	s_delay_alu instid0(VALU_DEP_2)
	v_cmpx_eq_u32_e64 v18, v0
	s_cbranch_execz .LBB139_33
; %bb.32:
	s_delay_alu instid0(VALU_DEP_2)
	v_lshlrev_b32_e32 v18, 3, v13
	ds_store_b64 v18, v[15:16]
.LBB139_33:
	s_or_b32 exec_lo, exec_lo, s3
	s_delay_alu instid0(SALU_CYCLE_1)
	s_mov_b32 s3, exec_lo
	s_waitcnt lgkmcnt(0)
	s_barrier
	buffer_gl0_inv
	v_cmpx_gt_u32_e32 4, v0
	s_cbranch_execz .LBB139_39
; %bb.34:
	v_lshlrev_b32_e32 v18, 3, v0
	s_mov_b32 s10, exec_lo
	ds_load_b64 v[15:16], v18
	s_waitcnt lgkmcnt(0)
	v_dual_mov_b32 v20, v15 :: v_dual_and_b32 v19, 3, v42
	v_mov_b32_dpp v24, v15 row_shr:1 row_mask:0xf bank_mask:0xf
	v_mov_b32_dpp v23, v16 row_shr:1 row_mask:0xf bank_mask:0xf
	s_delay_alu instid0(VALU_DEP_3)
	v_cmpx_ne_u32_e32 0, v19
; %bb.35:
	s_delay_alu instid0(VALU_DEP_3) | instskip(SKIP_1) | instid1(VALU_DEP_2)
	v_add_co_u32 v20, vcc_lo, v15, v24
	v_add_co_ci_u32_e32 v16, vcc_lo, 0, v16, vcc_lo
	v_add_co_u32 v15, vcc_lo, 0, v20
	s_delay_alu instid0(VALU_DEP_2)
	v_add_co_ci_u32_e32 v16, vcc_lo, v23, v16, vcc_lo
; %bb.36:
	s_or_b32 exec_lo, exec_lo, s10
	v_mov_b32_dpp v23, v20 row_shr:2 row_mask:0xf bank_mask:0xf
	s_delay_alu instid0(VALU_DEP_2)
	v_mov_b32_dpp v20, v16 row_shr:2 row_mask:0xf bank_mask:0xf
	s_mov_b32 s10, exec_lo
	v_cmpx_lt_u32_e32 1, v19
; %bb.37:
	s_delay_alu instid0(VALU_DEP_3) | instskip(SKIP_1) | instid1(VALU_DEP_2)
	v_add_co_u32 v15, vcc_lo, v15, v23
	v_add_co_ci_u32_e32 v16, vcc_lo, 0, v16, vcc_lo
	v_add_co_u32 v15, vcc_lo, v15, 0
	s_delay_alu instid0(VALU_DEP_2)
	v_add_co_ci_u32_e32 v16, vcc_lo, v16, v20, vcc_lo
; %bb.38:
	s_or_b32 exec_lo, exec_lo, s10
	ds_store_b64 v18, v[15:16]
.LBB139_39:
	s_or_b32 exec_lo, exec_lo, s3
	v_cmp_gt_u32_e32 vcc_lo, 32, v0
	s_mov_b32 s10, exec_lo
	s_waitcnt lgkmcnt(0)
	s_barrier
	buffer_gl0_inv
                                        ; implicit-def: $vgpr23_vgpr24
	v_cmpx_lt_u32_e32 31, v0
	s_cbranch_execz .LBB139_41
; %bb.40:
	v_lshl_add_u32 v13, v13, 3, -8
	ds_load_b64 v[23:24], v13
	s_waitcnt lgkmcnt(0)
	v_add_co_u32 v17, s3, v17, v23
	s_delay_alu instid0(VALU_DEP_1)
	v_add_co_ci_u32_e64 v14, s3, v14, v24, s3
.LBB139_41:
	s_or_b32 exec_lo, exec_lo, s10
	v_add_nc_u32_e32 v13, -1, v42
	s_delay_alu instid0(VALU_DEP_1) | instskip(NEXT) | instid1(VALU_DEP_1)
	v_cmp_gt_i32_e64 s3, 0, v13
	v_cndmask_b32_e64 v13, v13, v42, s3
	v_cmp_eq_u32_e64 s3, 0, v42
	s_delay_alu instid0(VALU_DEP_2)
	v_lshlrev_b32_e32 v13, 2, v13
	ds_bpermute_b32 v29, v13, v17
	ds_bpermute_b32 v30, v13, v14
	s_and_saveexec_b32 s10, vcc_lo
	s_cbranch_execz .LBB139_84
; %bb.42:
	v_mov_b32_e32 v16, 0
	ds_load_b64 v[13:14], v16 offset:24
	s_and_saveexec_b32 s11, s3
	s_cbranch_execz .LBB139_44
; %bb.43:
	s_add_i32 s12, s15, 32
	s_mov_b32 s13, 0
	s_delay_alu instid0(SALU_CYCLE_1) | instskip(NEXT) | instid1(SALU_CYCLE_1)
	s_lshl_b64 s[12:13], s[12:13], 4
	s_add_u32 s12, s8, s12
	s_addc_u32 s13, s9, s13
	s_delay_alu instid0(SALU_CYCLE_1)
	v_dual_mov_b32 v15, 1 :: v_dual_mov_b32 v18, s13
	v_mov_b32_e32 v17, s12
	s_waitcnt lgkmcnt(0)
	;;#ASMSTART
	global_store_dwordx4 v[17:18], v[13:16] off	
s_waitcnt vmcnt(0)
	;;#ASMEND
.LBB139_44:
	s_or_b32 exec_lo, exec_lo, s11
	v_xad_u32 v25, v42, -1, s15
	s_mov_b32 s12, 0
	s_mov_b32 s11, exec_lo
	s_delay_alu instid0(VALU_DEP_1) | instskip(NEXT) | instid1(VALU_DEP_1)
	v_add_nc_u32_e32 v15, 32, v25
	v_lshlrev_b64 v[15:16], 4, v[15:16]
	s_delay_alu instid0(VALU_DEP_1) | instskip(NEXT) | instid1(VALU_DEP_2)
	v_add_co_u32 v15, vcc_lo, s8, v15
	v_add_co_ci_u32_e32 v16, vcc_lo, s9, v16, vcc_lo
	;;#ASMSTART
	global_load_dwordx4 v[17:20], v[15:16] off glc	
s_waitcnt vmcnt(0)
	;;#ASMEND
	v_and_b32_e32 v20, 0xff, v18
	v_and_b32_e32 v26, 0xff00, v18
	;; [unrolled: 1-line block ×3, first 2 shown]
	v_or3_b32 v17, v17, 0, 0
	v_and_b32_e32 v18, 0xff000000, v18
	s_delay_alu instid0(VALU_DEP_4) | instskip(SKIP_1) | instid1(VALU_DEP_4)
	v_or3_b32 v20, 0, v20, v26
	v_and_b32_e32 v26, 0xff, v19
	v_or3_b32 v17, v17, 0, 0
	s_delay_alu instid0(VALU_DEP_3) | instskip(NEXT) | instid1(VALU_DEP_3)
	v_or3_b32 v18, v20, v27, v18
	v_cmpx_eq_u16_e32 0, v26
	s_cbranch_execz .LBB139_50
; %bb.45:
	s_mov_b32 s13, 1
	.p2align	6
.LBB139_46:                             ; =>This Loop Header: Depth=1
                                        ;     Child Loop BB139_47 Depth 2
	s_delay_alu instid0(SALU_CYCLE_1)
	s_max_u32 s17, s13, 1
.LBB139_47:                             ;   Parent Loop BB139_46 Depth=1
                                        ; =>  This Inner Loop Header: Depth=2
	s_delay_alu instid0(SALU_CYCLE_1)
	s_add_i32 s17, s17, -1
	s_sleep 1
	s_cmp_eq_u32 s17, 0
	s_cbranch_scc0 .LBB139_47
; %bb.48:                               ;   in Loop: Header=BB139_46 Depth=1
	;;#ASMSTART
	global_load_dwordx4 v[17:20], v[15:16] off glc	
s_waitcnt vmcnt(0)
	;;#ASMEND
	v_and_b32_e32 v20, 0xff, v19
	s_cmp_lt_u32 s13, 32
	s_cselect_b32 s17, -1, 0
	s_delay_alu instid0(SALU_CYCLE_1) | instskip(NEXT) | instid1(VALU_DEP_1)
	s_cmp_lg_u32 s17, 0
	v_cmp_ne_u16_e32 vcc_lo, 0, v20
	s_addc_u32 s13, s13, 0
	s_or_b32 s12, vcc_lo, s12
	s_delay_alu instid0(SALU_CYCLE_1)
	s_and_not1_b32 exec_lo, exec_lo, s12
	s_cbranch_execnz .LBB139_46
; %bb.49:
	s_or_b32 exec_lo, exec_lo, s12
.LBB139_50:
	s_delay_alu instid0(SALU_CYCLE_1)
	s_or_b32 exec_lo, exec_lo, s11
	v_cmp_ne_u32_e32 vcc_lo, 31, v42
	v_and_b32_e32 v16, 0xff, v19
	v_lshlrev_b32_e64 v46, v42, -1
	s_mov_b32 s11, exec_lo
	v_add_co_ci_u32_e32 v15, vcc_lo, 0, v42, vcc_lo
	s_delay_alu instid0(VALU_DEP_3) | instskip(NEXT) | instid1(VALU_DEP_2)
	v_cmp_eq_u16_e32 vcc_lo, 2, v16
	v_dual_mov_b32 v16, v17 :: v_dual_lshlrev_b32 v45, 2, v15
	v_and_or_b32 v15, vcc_lo, v46, 0x80000000
	ds_bpermute_b32 v26, v45, v17
	ds_bpermute_b32 v20, v45, v18
	v_ctz_i32_b32_e32 v15, v15
	s_delay_alu instid0(VALU_DEP_1)
	v_cmpx_lt_u32_e64 v42, v15
	s_cbranch_execz .LBB139_52
; %bb.51:
	s_waitcnt lgkmcnt(1)
	v_add_co_u32 v16, vcc_lo, v17, v26
	v_add_co_ci_u32_e32 v18, vcc_lo, 0, v18, vcc_lo
	s_delay_alu instid0(VALU_DEP_2) | instskip(SKIP_1) | instid1(VALU_DEP_2)
	v_add_co_u32 v17, vcc_lo, 0, v16
	s_waitcnt lgkmcnt(0)
	v_add_co_ci_u32_e32 v18, vcc_lo, v20, v18, vcc_lo
.LBB139_52:
	s_or_b32 exec_lo, exec_lo, s11
	v_cmp_gt_u32_e32 vcc_lo, 30, v42
	v_add_nc_u32_e32 v48, 2, v42
	s_mov_b32 s11, exec_lo
	s_waitcnt lgkmcnt(0)
	v_cndmask_b32_e64 v20, 0, 1, vcc_lo
	s_delay_alu instid0(VALU_DEP_1) | instskip(NEXT) | instid1(VALU_DEP_1)
	v_lshlrev_b32_e32 v20, 1, v20
	v_add_lshl_u32 v47, v20, v42, 2
	ds_bpermute_b32 v26, v47, v16
	ds_bpermute_b32 v20, v47, v18
	v_cmpx_le_u32_e64 v48, v15
	s_cbranch_execz .LBB139_54
; %bb.53:
	s_waitcnt lgkmcnt(1)
	v_add_co_u32 v16, vcc_lo, v17, v26
	v_add_co_ci_u32_e32 v18, vcc_lo, 0, v18, vcc_lo
	s_delay_alu instid0(VALU_DEP_2) | instskip(SKIP_1) | instid1(VALU_DEP_2)
	v_add_co_u32 v17, vcc_lo, 0, v16
	s_waitcnt lgkmcnt(0)
	v_add_co_ci_u32_e32 v18, vcc_lo, v20, v18, vcc_lo
.LBB139_54:
	s_or_b32 exec_lo, exec_lo, s11
	v_cmp_gt_u32_e32 vcc_lo, 28, v42
	v_add_nc_u32_e32 v50, 4, v42
	s_mov_b32 s11, exec_lo
	s_waitcnt lgkmcnt(0)
	v_cndmask_b32_e64 v20, 0, 1, vcc_lo
	s_delay_alu instid0(VALU_DEP_1) | instskip(NEXT) | instid1(VALU_DEP_1)
	v_lshlrev_b32_e32 v20, 2, v20
	v_add_lshl_u32 v49, v20, v42, 2
	ds_bpermute_b32 v26, v49, v16
	ds_bpermute_b32 v20, v49, v18
	v_cmpx_le_u32_e64 v50, v15
	;; [unrolled: 22-line block ×4, first 2 shown]
	s_cbranch_execz .LBB139_60
; %bb.59:
	s_waitcnt lgkmcnt(1)
	v_add_co_u32 v15, vcc_lo, v17, v20
	v_add_co_ci_u32_e32 v18, vcc_lo, 0, v18, vcc_lo
	s_delay_alu instid0(VALU_DEP_2) | instskip(SKIP_1) | instid1(VALU_DEP_2)
	v_add_co_u32 v17, vcc_lo, v15, 0
	s_waitcnt lgkmcnt(0)
	v_add_co_ci_u32_e32 v18, vcc_lo, v18, v16, vcc_lo
.LBB139_60:
	s_or_b32 exec_lo, exec_lo, s11
	v_mov_b32_e32 v26, 0
	s_branch .LBB139_62
.LBB139_61:                             ;   in Loop: Header=BB139_62 Depth=1
	s_or_b32 exec_lo, exec_lo, s11
	v_add_co_u32 v17, vcc_lo, v17, v15
	v_subrev_nc_u32_e32 v25, 32, v25
	v_add_co_ci_u32_e32 v18, vcc_lo, v18, v16, vcc_lo
.LBB139_62:                             ; =>This Loop Header: Depth=1
                                        ;     Child Loop BB139_65 Depth 2
                                        ;       Child Loop BB139_66 Depth 3
	v_and_b32_e32 v15, 0xff, v19
	s_delay_alu instid0(VALU_DEP_1) | instskip(SKIP_2) | instid1(VALU_DEP_1)
	v_cmp_ne_u16_e32 vcc_lo, 2, v15
	v_cndmask_b32_e64 v15, 0, 1, vcc_lo
	;;#ASMSTART
	;;#ASMEND
	v_cmp_ne_u32_e32 vcc_lo, 0, v15
	s_waitcnt lgkmcnt(0)
	v_dual_mov_b32 v15, v17 :: v_dual_mov_b32 v16, v18
	s_cmp_lg_u32 vcc_lo, exec_lo
	s_cbranch_scc1 .LBB139_79
; %bb.63:                               ;   in Loop: Header=BB139_62 Depth=1
	v_lshlrev_b64 v[17:18], 4, v[25:26]
	s_mov_b32 s11, exec_lo
	s_delay_alu instid0(VALU_DEP_1) | instskip(NEXT) | instid1(VALU_DEP_2)
	v_add_co_u32 v27, vcc_lo, s8, v17
	v_add_co_ci_u32_e32 v28, vcc_lo, s9, v18, vcc_lo
	;;#ASMSTART
	global_load_dwordx4 v[17:20], v[27:28] off glc	
s_waitcnt vmcnt(0)
	;;#ASMEND
	v_and_b32_e32 v20, 0xff, v18
	v_and_b32_e32 v55, 0xff00, v18
	;; [unrolled: 1-line block ×3, first 2 shown]
	v_or3_b32 v17, v17, 0, 0
	v_and_b32_e32 v18, 0xff000000, v18
	s_delay_alu instid0(VALU_DEP_4) | instskip(SKIP_1) | instid1(VALU_DEP_4)
	v_or3_b32 v20, 0, v20, v55
	v_and_b32_e32 v55, 0xff, v19
	v_or3_b32 v17, v17, 0, 0
	s_delay_alu instid0(VALU_DEP_3) | instskip(NEXT) | instid1(VALU_DEP_3)
	v_or3_b32 v18, v20, v56, v18
	v_cmpx_eq_u16_e32 0, v55
	s_cbranch_execz .LBB139_69
; %bb.64:                               ;   in Loop: Header=BB139_62 Depth=1
	s_mov_b32 s13, 1
	s_mov_b32 s12, 0
	.p2align	6
.LBB139_65:                             ;   Parent Loop BB139_62 Depth=1
                                        ; =>  This Loop Header: Depth=2
                                        ;       Child Loop BB139_66 Depth 3
	s_max_u32 s17, s13, 1
.LBB139_66:                             ;   Parent Loop BB139_62 Depth=1
                                        ;     Parent Loop BB139_65 Depth=2
                                        ; =>    This Inner Loop Header: Depth=3
	s_delay_alu instid0(SALU_CYCLE_1)
	s_add_i32 s17, s17, -1
	s_sleep 1
	s_cmp_eq_u32 s17, 0
	s_cbranch_scc0 .LBB139_66
; %bb.67:                               ;   in Loop: Header=BB139_65 Depth=2
	;;#ASMSTART
	global_load_dwordx4 v[17:20], v[27:28] off glc	
s_waitcnt vmcnt(0)
	;;#ASMEND
	v_and_b32_e32 v20, 0xff, v19
	s_cmp_lt_u32 s13, 32
	s_cselect_b32 s17, -1, 0
	s_delay_alu instid0(SALU_CYCLE_1) | instskip(NEXT) | instid1(VALU_DEP_1)
	s_cmp_lg_u32 s17, 0
	v_cmp_ne_u16_e32 vcc_lo, 0, v20
	s_addc_u32 s13, s13, 0
	s_or_b32 s12, vcc_lo, s12
	s_delay_alu instid0(SALU_CYCLE_1)
	s_and_not1_b32 exec_lo, exec_lo, s12
	s_cbranch_execnz .LBB139_65
; %bb.68:                               ;   in Loop: Header=BB139_62 Depth=1
	s_or_b32 exec_lo, exec_lo, s12
.LBB139_69:                             ;   in Loop: Header=BB139_62 Depth=1
	s_delay_alu instid0(SALU_CYCLE_1)
	s_or_b32 exec_lo, exec_lo, s11
	v_dual_mov_b32 v27, v17 :: v_dual_and_b32 v20, 0xff, v19
	ds_bpermute_b32 v55, v45, v17
	ds_bpermute_b32 v28, v45, v18
	s_mov_b32 s11, exec_lo
	v_cmp_eq_u16_e32 vcc_lo, 2, v20
	v_and_or_b32 v20, vcc_lo, v46, 0x80000000
	s_delay_alu instid0(VALU_DEP_1) | instskip(NEXT) | instid1(VALU_DEP_1)
	v_ctz_i32_b32_e32 v20, v20
	v_cmpx_lt_u32_e64 v42, v20
	s_cbranch_execz .LBB139_71
; %bb.70:                               ;   in Loop: Header=BB139_62 Depth=1
	s_waitcnt lgkmcnt(1)
	v_add_co_u32 v27, vcc_lo, v17, v55
	v_add_co_ci_u32_e32 v18, vcc_lo, 0, v18, vcc_lo
	s_delay_alu instid0(VALU_DEP_2) | instskip(SKIP_1) | instid1(VALU_DEP_2)
	v_add_co_u32 v17, vcc_lo, 0, v27
	s_waitcnt lgkmcnt(0)
	v_add_co_ci_u32_e32 v18, vcc_lo, v28, v18, vcc_lo
.LBB139_71:                             ;   in Loop: Header=BB139_62 Depth=1
	s_or_b32 exec_lo, exec_lo, s11
	s_waitcnt lgkmcnt(1)
	ds_bpermute_b32 v55, v47, v27
	s_waitcnt lgkmcnt(1)
	ds_bpermute_b32 v28, v47, v18
	s_mov_b32 s11, exec_lo
	v_cmpx_le_u32_e64 v48, v20
	s_cbranch_execz .LBB139_73
; %bb.72:                               ;   in Loop: Header=BB139_62 Depth=1
	s_waitcnt lgkmcnt(1)
	v_add_co_u32 v27, vcc_lo, v17, v55
	v_add_co_ci_u32_e32 v18, vcc_lo, 0, v18, vcc_lo
	s_delay_alu instid0(VALU_DEP_2) | instskip(SKIP_1) | instid1(VALU_DEP_2)
	v_add_co_u32 v17, vcc_lo, 0, v27
	s_waitcnt lgkmcnt(0)
	v_add_co_ci_u32_e32 v18, vcc_lo, v28, v18, vcc_lo
.LBB139_73:                             ;   in Loop: Header=BB139_62 Depth=1
	s_or_b32 exec_lo, exec_lo, s11
	s_waitcnt lgkmcnt(1)
	ds_bpermute_b32 v55, v49, v27
	s_waitcnt lgkmcnt(1)
	ds_bpermute_b32 v28, v49, v18
	s_mov_b32 s11, exec_lo
	v_cmpx_le_u32_e64 v50, v20
	;; [unrolled: 17-line block ×3, first 2 shown]
	s_cbranch_execz .LBB139_77
; %bb.76:                               ;   in Loop: Header=BB139_62 Depth=1
	s_waitcnt lgkmcnt(1)
	v_add_co_u32 v27, vcc_lo, v17, v55
	v_add_co_ci_u32_e32 v18, vcc_lo, 0, v18, vcc_lo
	s_delay_alu instid0(VALU_DEP_2) | instskip(SKIP_1) | instid1(VALU_DEP_2)
	v_add_co_u32 v17, vcc_lo, 0, v27
	s_waitcnt lgkmcnt(0)
	v_add_co_ci_u32_e32 v18, vcc_lo, v28, v18, vcc_lo
.LBB139_77:                             ;   in Loop: Header=BB139_62 Depth=1
	s_or_b32 exec_lo, exec_lo, s11
	s_waitcnt lgkmcnt(0)
	ds_bpermute_b32 v28, v53, v27
	ds_bpermute_b32 v27, v53, v18
	s_mov_b32 s11, exec_lo
	v_cmpx_le_u32_e64 v54, v20
	s_cbranch_execz .LBB139_61
; %bb.78:                               ;   in Loop: Header=BB139_62 Depth=1
	s_waitcnt lgkmcnt(1)
	v_add_co_u32 v17, vcc_lo, v17, v28
	v_add_co_ci_u32_e32 v18, vcc_lo, 0, v18, vcc_lo
	s_delay_alu instid0(VALU_DEP_2) | instskip(SKIP_1) | instid1(VALU_DEP_2)
	v_add_co_u32 v17, vcc_lo, v17, 0
	s_waitcnt lgkmcnt(0)
	v_add_co_ci_u32_e32 v18, vcc_lo, v18, v27, vcc_lo
	s_branch .LBB139_61
.LBB139_79:                             ;   in Loop: Header=BB139_62 Depth=1
                                        ; implicit-def: $vgpr17_vgpr18
	s_cbranch_execz .LBB139_62
; %bb.80:
	s_and_saveexec_b32 s11, s3
	s_cbranch_execz .LBB139_82
; %bb.81:
	s_add_i32 s12, s15, 32
	s_mov_b32 s13, 0
	v_add_co_u32 v17, vcc_lo, v15, v13
	s_lshl_b64 s[12:13], s[12:13], 4
	v_dual_mov_b32 v19, 2 :: v_dual_mov_b32 v20, 0
	s_add_u32 s12, s8, s12
	s_addc_u32 s13, s9, s13
	v_add_co_ci_u32_e32 v18, vcc_lo, v16, v14, vcc_lo
	v_dual_mov_b32 v26, s13 :: v_dual_mov_b32 v25, s12
	;;#ASMSTART
	global_store_dwordx4 v[25:26], v[17:20] off	
s_waitcnt vmcnt(0)
	;;#ASMEND
	ds_store_b128 v20, v[13:16] offset:6144
.LBB139_82:
	s_or_b32 exec_lo, exec_lo, s11
	v_cmp_eq_u32_e32 vcc_lo, 0, v0
	s_and_b32 exec_lo, exec_lo, vcc_lo
	s_cbranch_execz .LBB139_84
; %bb.83:
	v_mov_b32_e32 v13, 0
	ds_store_b64 v13, v[15:16] offset:24
.LBB139_84:
	s_or_b32 exec_lo, exec_lo, s10
	s_waitcnt lgkmcnt(1)
	v_cndmask_b32_e64 v16, v29, v23, s3
	v_cmp_ne_u32_e32 vcc_lo, 0, v0
	v_mov_b32_e32 v15, 0
	s_waitcnt lgkmcnt(0)
	s_barrier
	buffer_gl0_inv
	v_cndmask_b32_e32 v16, 0, v16, vcc_lo
	ds_load_b64 v[13:14], v15 offset:24
	v_cndmask_b32_e64 v17, v30, v24, s3
	s_waitcnt lgkmcnt(0)
	s_barrier
	buffer_gl0_inv
	v_cndmask_b32_e32 v17, 0, v17, vcc_lo
	v_add_co_u32 v29, vcc_lo, v13, v16
	s_delay_alu instid0(VALU_DEP_2) | instskip(SKIP_3) | instid1(VALU_DEP_2)
	v_add_co_ci_u32_e32 v30, vcc_lo, v14, v17, vcc_lo
	ds_load_b128 v[13:16], v15 offset:6144
	v_add_co_u32 v27, vcc_lo, v29, v41
	v_add_co_ci_u32_e32 v28, vcc_lo, 0, v30, vcc_lo
	v_add_co_u32 v25, vcc_lo, v27, v40
	s_delay_alu instid0(VALU_DEP_2) | instskip(NEXT) | instid1(VALU_DEP_2)
	v_add_co_ci_u32_e32 v26, vcc_lo, 0, v28, vcc_lo
	v_add_co_u32 v23, vcc_lo, v25, v39
	s_delay_alu instid0(VALU_DEP_2) | instskip(NEXT) | instid1(VALU_DEP_2)
	;; [unrolled: 3-line block ×3, first 2 shown]
	v_add_co_ci_u32_e32 v20, vcc_lo, 0, v24, vcc_lo
	v_add_co_u32 v17, vcc_lo, v19, v37
	s_delay_alu instid0(VALU_DEP_2)
	v_add_co_ci_u32_e32 v18, vcc_lo, 0, v20, vcc_lo
	s_load_b64 s[10:11], s[0:1], 0x30
.LBB139_85:
	s_waitcnt lgkmcnt(0)
	v_cmp_gt_u64_e32 vcc_lo, 0x81, v[13:14]
	s_mov_b32 s0, -1
	s_cbranch_vccnz .LBB139_113
.LBB139_86:
	s_and_b32 vcc_lo, exec_lo, s0
	s_cbranch_vccnz .LBB139_132
.LBB139_87:
	v_cmp_eq_u32_e32 vcc_lo, 0, v0
	s_and_b32 s0, vcc_lo, s14
	s_delay_alu instid0(SALU_CYCLE_1)
	s_and_saveexec_b32 s1, s0
	s_cbranch_execnz .LBB139_148
.LBB139_88:
	s_nop 0
	s_sendmsg sendmsg(MSG_DEALLOC_VGPRS)
	s_endpgm
.LBB139_89:
                                        ; kill: def $vgpr13_vgpr14 killed $sgpr0_sgpr1 killed $exec
                                        ; implicit-def: $vgpr17_vgpr18
                                        ; implicit-def: $vgpr19_vgpr20
                                        ; implicit-def: $vgpr23_vgpr24
                                        ; implicit-def: $vgpr25_vgpr26
                                        ; implicit-def: $vgpr27_vgpr28
                                        ; implicit-def: $vgpr29_vgpr30
                                        ; implicit-def: $vgpr15_vgpr16
	s_load_b64 s[10:11], s[0:1], 0x30
	s_and_b32 vcc_lo, exec_lo, s3
	s_cbranch_vccz .LBB139_85
; %bb.90:
	s_waitcnt lgkmcnt(0)
	v_dual_mov_b32 v14, 0 :: v_dual_mov_b32 v15, v21
	v_mov_b32_dpp v16, v21 row_shr:1 row_mask:0xf bank_mask:0xf
	s_delay_alu instid0(VALU_DEP_2)
	v_mov_b32_dpp v13, v14 row_shr:1 row_mask:0xf bank_mask:0xf
	s_and_saveexec_b32 s0, s2
; %bb.91:
	s_delay_alu instid0(VALU_DEP_2) | instskip(SKIP_1) | instid1(VALU_DEP_2)
	v_add_co_u32 v15, vcc_lo, v21, v16
	v_add_co_ci_u32_e32 v14, vcc_lo, 0, v22, vcc_lo
	v_add_co_u32 v21, vcc_lo, 0, v15
	s_delay_alu instid0(VALU_DEP_2) | instskip(NEXT) | instid1(VALU_DEP_1)
	v_add_co_ci_u32_e32 v22, vcc_lo, v13, v14, vcc_lo
	v_mov_b32_e32 v14, v22
; %bb.92:
	s_or_b32 exec_lo, exec_lo, s0
	v_mov_b32_dpp v13, v15 row_shr:2 row_mask:0xf bank_mask:0xf
	s_delay_alu instid0(VALU_DEP_2)
	v_mov_b32_dpp v16, v14 row_shr:2 row_mask:0xf bank_mask:0xf
	s_mov_b32 s0, exec_lo
	v_cmpx_lt_u32_e32 1, v44
; %bb.93:
	s_delay_alu instid0(VALU_DEP_3) | instskip(SKIP_1) | instid1(VALU_DEP_2)
	v_add_co_u32 v15, vcc_lo, v21, v13
	v_add_co_ci_u32_e32 v14, vcc_lo, 0, v22, vcc_lo
	v_add_co_u32 v13, vcc_lo, 0, v15
	s_delay_alu instid0(VALU_DEP_2) | instskip(NEXT) | instid1(VALU_DEP_1)
	v_add_co_ci_u32_e32 v14, vcc_lo, v16, v14, vcc_lo
	v_dual_mov_b32 v22, v14 :: v_dual_mov_b32 v21, v13
; %bb.94:
	s_or_b32 exec_lo, exec_lo, s0
	v_mov_b32_dpp v13, v15 row_shr:4 row_mask:0xf bank_mask:0xf
	v_mov_b32_dpp v16, v14 row_shr:4 row_mask:0xf bank_mask:0xf
	s_mov_b32 s0, exec_lo
	v_cmpx_lt_u32_e32 3, v44
; %bb.95:
	s_delay_alu instid0(VALU_DEP_3) | instskip(SKIP_1) | instid1(VALU_DEP_2)
	v_add_co_u32 v15, vcc_lo, v21, v13
	v_add_co_ci_u32_e32 v14, vcc_lo, 0, v22, vcc_lo
	v_add_co_u32 v13, vcc_lo, 0, v15
	s_delay_alu instid0(VALU_DEP_2) | instskip(NEXT) | instid1(VALU_DEP_1)
	v_add_co_ci_u32_e32 v14, vcc_lo, v16, v14, vcc_lo
	v_dual_mov_b32 v22, v14 :: v_dual_mov_b32 v21, v13
; %bb.96:
	s_or_b32 exec_lo, exec_lo, s0
	v_mov_b32_dpp v16, v15 row_shr:8 row_mask:0xf bank_mask:0xf
	v_mov_b32_dpp v13, v14 row_shr:8 row_mask:0xf bank_mask:0xf
	s_mov_b32 s0, exec_lo
	v_cmpx_lt_u32_e32 7, v44
; %bb.97:
	s_delay_alu instid0(VALU_DEP_3) | instskip(SKIP_1) | instid1(VALU_DEP_2)
	v_add_co_u32 v15, vcc_lo, v21, v16
	v_add_co_ci_u32_e32 v14, vcc_lo, 0, v22, vcc_lo
	v_add_co_u32 v21, vcc_lo, 0, v15
	s_delay_alu instid0(VALU_DEP_2) | instskip(NEXT) | instid1(VALU_DEP_1)
	v_add_co_ci_u32_e32 v22, vcc_lo, v13, v14, vcc_lo
	v_mov_b32_e32 v14, v22
; %bb.98:
	s_or_b32 exec_lo, exec_lo, s0
	ds_swizzle_b32 v15, v15 offset:swizzle(BROADCAST,32,15)
	ds_swizzle_b32 v13, v14 offset:swizzle(BROADCAST,32,15)
	v_and_b32_e32 v14, 16, v42
	s_mov_b32 s0, exec_lo
	s_delay_alu instid0(VALU_DEP_1)
	v_cmpx_ne_u32_e32 0, v14
	s_cbranch_execz .LBB139_100
; %bb.99:
	s_waitcnt lgkmcnt(1)
	v_add_co_u32 v14, vcc_lo, v21, v15
	v_add_co_ci_u32_e32 v15, vcc_lo, 0, v22, vcc_lo
	s_delay_alu instid0(VALU_DEP_2) | instskip(SKIP_1) | instid1(VALU_DEP_2)
	v_add_co_u32 v21, vcc_lo, v14, 0
	s_waitcnt lgkmcnt(0)
	v_add_co_ci_u32_e32 v22, vcc_lo, v15, v13, vcc_lo
.LBB139_100:
	s_or_b32 exec_lo, exec_lo, s0
	s_waitcnt lgkmcnt(0)
	v_or_b32_e32 v13, 31, v0
	v_lshrrev_b32_e32 v15, 5, v0
	s_mov_b32 s0, exec_lo
	s_delay_alu instid0(VALU_DEP_2)
	v_cmpx_eq_u32_e64 v13, v0
	s_cbranch_execz .LBB139_102
; %bb.101:
	s_delay_alu instid0(VALU_DEP_2)
	v_lshlrev_b32_e32 v13, 3, v15
	ds_store_b64 v13, v[21:22]
.LBB139_102:
	s_or_b32 exec_lo, exec_lo, s0
	s_delay_alu instid0(SALU_CYCLE_1)
	s_mov_b32 s0, exec_lo
	s_waitcnt lgkmcnt(0)
	s_barrier
	buffer_gl0_inv
	v_cmpx_gt_u32_e32 4, v0
	s_cbranch_execz .LBB139_108
; %bb.103:
	v_lshlrev_b32_e32 v13, 1, v0
	s_mov_b32 s1, exec_lo
	s_delay_alu instid0(VALU_DEP_1)
	v_add_nc_u32_e32 v16, v43, v13
	ds_load_b64 v[13:14], v16
	s_waitcnt lgkmcnt(0)
	v_dual_mov_b32 v18, v13 :: v_dual_and_b32 v17, 3, v42
	v_mov_b32_dpp v20, v13 row_shr:1 row_mask:0xf bank_mask:0xf
	v_mov_b32_dpp v19, v14 row_shr:1 row_mask:0xf bank_mask:0xf
	s_delay_alu instid0(VALU_DEP_3)
	v_cmpx_ne_u32_e32 0, v17
; %bb.104:
	s_delay_alu instid0(VALU_DEP_3) | instskip(SKIP_1) | instid1(VALU_DEP_2)
	v_add_co_u32 v18, vcc_lo, v13, v20
	v_add_co_ci_u32_e32 v14, vcc_lo, 0, v14, vcc_lo
	v_add_co_u32 v13, vcc_lo, 0, v18
	s_delay_alu instid0(VALU_DEP_2)
	v_add_co_ci_u32_e32 v14, vcc_lo, v19, v14, vcc_lo
; %bb.105:
	s_or_b32 exec_lo, exec_lo, s1
	v_mov_b32_dpp v19, v18 row_shr:2 row_mask:0xf bank_mask:0xf
	s_delay_alu instid0(VALU_DEP_2)
	v_mov_b32_dpp v18, v14 row_shr:2 row_mask:0xf bank_mask:0xf
	s_mov_b32 s1, exec_lo
	v_cmpx_lt_u32_e32 1, v17
; %bb.106:
	s_delay_alu instid0(VALU_DEP_3) | instskip(SKIP_1) | instid1(VALU_DEP_2)
	v_add_co_u32 v13, vcc_lo, v13, v19
	v_add_co_ci_u32_e32 v14, vcc_lo, 0, v14, vcc_lo
	v_add_co_u32 v13, vcc_lo, v13, 0
	s_delay_alu instid0(VALU_DEP_2)
	v_add_co_ci_u32_e32 v14, vcc_lo, v14, v18, vcc_lo
; %bb.107:
	s_or_b32 exec_lo, exec_lo, s1
	ds_store_b64 v16, v[13:14]
.LBB139_108:
	s_or_b32 exec_lo, exec_lo, s0
	v_mov_b32_e32 v17, 0
	v_mov_b32_e32 v18, 0
	s_mov_b32 s0, exec_lo
	s_waitcnt lgkmcnt(0)
	s_barrier
	buffer_gl0_inv
	v_cmpx_lt_u32_e32 31, v0
	s_cbranch_execz .LBB139_110
; %bb.109:
	v_lshl_add_u32 v13, v15, 3, -8
	ds_load_b64 v[17:18], v13
.LBB139_110:
	s_or_b32 exec_lo, exec_lo, s0
	v_dual_mov_b32 v16, 0 :: v_dual_add_nc_u32 v13, -1, v42
	s_delay_alu instid0(VALU_DEP_1) | instskip(SKIP_4) | instid1(VALU_DEP_3)
	v_cmp_gt_i32_e32 vcc_lo, 0, v13
	v_cndmask_b32_e32 v13, v13, v42, vcc_lo
	s_waitcnt lgkmcnt(0)
	v_add_co_u32 v14, vcc_lo, v17, v21
	v_add_co_ci_u32_e32 v15, vcc_lo, v18, v22, vcc_lo
	v_lshlrev_b32_e32 v13, 2, v13
	v_cmp_eq_u32_e32 vcc_lo, 0, v0
	ds_bpermute_b32 v19, v13, v14
	ds_bpermute_b32 v20, v13, v15
	ds_load_b64 v[13:14], v16 offset:24
	s_and_saveexec_b32 s0, vcc_lo
	s_cbranch_execz .LBB139_112
; %bb.111:
	s_add_u32 s2, s8, 0x200
	s_addc_u32 s3, s9, 0
	s_delay_alu instid0(SALU_CYCLE_1)
	v_dual_mov_b32 v15, 2 :: v_dual_mov_b32 v22, s3
	v_mov_b32_e32 v21, s2
	s_waitcnt lgkmcnt(0)
	;;#ASMSTART
	global_store_dwordx4 v[21:22], v[13:16] off	
s_waitcnt vmcnt(0)
	;;#ASMEND
.LBB139_112:
	s_or_b32 exec_lo, exec_lo, s0
	v_cmp_eq_u32_e64 s0, 0, v42
	s_waitcnt lgkmcnt(0)
	s_barrier
	buffer_gl0_inv
	v_cndmask_b32_e64 v15, v19, v17, s0
	v_cndmask_b32_e64 v16, v20, v18, s0
	s_delay_alu instid0(VALU_DEP_2) | instskip(NEXT) | instid1(VALU_DEP_2)
	v_cndmask_b32_e64 v29, v15, 0, vcc_lo
	v_cndmask_b32_e64 v30, v16, 0, vcc_lo
	v_mov_b32_e32 v15, 0
	v_mov_b32_e32 v16, 0
	s_delay_alu instid0(VALU_DEP_4) | instskip(NEXT) | instid1(VALU_DEP_4)
	v_add_co_u32 v27, vcc_lo, v29, v41
	v_add_co_ci_u32_e32 v28, vcc_lo, 0, v30, vcc_lo
	s_delay_alu instid0(VALU_DEP_2) | instskip(NEXT) | instid1(VALU_DEP_2)
	v_add_co_u32 v25, vcc_lo, v27, v40
	v_add_co_ci_u32_e32 v26, vcc_lo, 0, v28, vcc_lo
	s_delay_alu instid0(VALU_DEP_2) | instskip(NEXT) | instid1(VALU_DEP_2)
	;; [unrolled: 3-line block ×4, first 2 shown]
	v_add_co_u32 v17, vcc_lo, v19, v37
	v_add_co_ci_u32_e32 v18, vcc_lo, 0, v20, vcc_lo
	v_cmp_gt_u64_e32 vcc_lo, 0x81, v[13:14]
	s_mov_b32 s0, -1
	s_cbranch_vccz .LBB139_86
.LBB139_113:
	v_add_co_u32 v21, vcc_lo, v15, v13
	v_add_co_ci_u32_e32 v22, vcc_lo, v16, v14, vcc_lo
	s_delay_alu instid0(VALU_DEP_1) | instskip(SKIP_1) | instid1(SALU_CYCLE_1)
	v_cmp_lt_u64_e32 vcc_lo, v[29:30], v[21:22]
	s_or_b32 s1, s16, vcc_lo
	s_and_saveexec_b32 s0, s1
	s_cbranch_execz .LBB139_116
; %bb.114:
	v_and_b32_e32 v37, 1, v36
	s_delay_alu instid0(VALU_DEP_1)
	v_cmp_eq_u32_e32 vcc_lo, 1, v37
	s_and_b32 exec_lo, exec_lo, vcc_lo
	s_cbranch_execz .LBB139_116
; %bb.115:
	v_lshlrev_b64 v[37:38], 3, v[29:30]
	s_lshl_b64 s[2:3], s[6:7], 3
	s_delay_alu instid0(SALU_CYCLE_1) | instskip(SKIP_1) | instid1(VALU_DEP_1)
	s_add_u32 s1, s10, s2
	s_addc_u32 s2, s11, s3
	v_add_co_u32 v37, vcc_lo, s1, v37
	s_delay_alu instid0(VALU_DEP_2)
	v_add_co_ci_u32_e32 v38, vcc_lo, s2, v38, vcc_lo
	global_store_b64 v[37:38], v[9:10], off
.LBB139_116:
	s_or_b32 exec_lo, exec_lo, s0
	v_cmp_lt_u64_e32 vcc_lo, v[27:28], v[21:22]
	s_or_b32 s1, s16, vcc_lo
	s_delay_alu instid0(SALU_CYCLE_1)
	s_and_saveexec_b32 s0, s1
	s_cbranch_execz .LBB139_119
; %bb.117:
	v_and_b32_e32 v30, 1, v34
	s_delay_alu instid0(VALU_DEP_1)
	v_cmp_eq_u32_e32 vcc_lo, 1, v30
	s_and_b32 exec_lo, exec_lo, vcc_lo
	s_cbranch_execz .LBB139_119
; %bb.118:
	v_lshlrev_b64 v[37:38], 3, v[27:28]
	s_lshl_b64 s[2:3], s[6:7], 3
	s_delay_alu instid0(SALU_CYCLE_1) | instskip(SKIP_1) | instid1(VALU_DEP_1)
	s_add_u32 s1, s10, s2
	s_addc_u32 s2, s11, s3
	v_add_co_u32 v37, vcc_lo, s1, v37
	s_delay_alu instid0(VALU_DEP_2)
	v_add_co_ci_u32_e32 v38, vcc_lo, s2, v38, vcc_lo
	global_store_b64 v[37:38], v[11:12], off
.LBB139_119:
	s_or_b32 exec_lo, exec_lo, s0
	v_cmp_lt_u64_e32 vcc_lo, v[25:26], v[21:22]
	s_or_b32 s1, s16, vcc_lo
	s_delay_alu instid0(SALU_CYCLE_1)
	;; [unrolled: 23-line block ×5, first 2 shown]
	s_and_saveexec_b32 s0, s1
	s_cbranch_execz .LBB139_131
; %bb.129:
	v_and_b32_e32 v20, 1, v32
	s_delay_alu instid0(VALU_DEP_1)
	v_cmp_eq_u32_e32 vcc_lo, 1, v20
	s_and_b32 exec_lo, exec_lo, vcc_lo
	s_cbranch_execz .LBB139_131
; %bb.130:
	v_lshlrev_b64 v[20:21], 3, v[17:18]
	s_lshl_b64 s[2:3], s[6:7], 3
	s_delay_alu instid0(SALU_CYCLE_1) | instskip(SKIP_1) | instid1(VALU_DEP_1)
	s_add_u32 s1, s10, s2
	s_addc_u32 s2, s11, s3
	v_add_co_u32 v20, vcc_lo, s1, v20
	s_delay_alu instid0(VALU_DEP_2)
	v_add_co_ci_u32_e32 v21, vcc_lo, s2, v21, vcc_lo
	global_store_b64 v[20:21], v[3:4], off
.LBB139_131:
	s_or_b32 exec_lo, exec_lo, s0
	s_branch .LBB139_87
.LBB139_132:
	v_and_b32_e32 v18, 1, v36
	s_mov_b32 s0, exec_lo
	s_delay_alu instid0(VALU_DEP_1)
	v_cmpx_eq_u32_e32 1, v18
	s_cbranch_execz .LBB139_134
; %bb.133:
	v_sub_nc_u32_e32 v18, v29, v15
	s_delay_alu instid0(VALU_DEP_1)
	v_lshlrev_b32_e32 v18, 3, v18
	ds_store_b64 v18, v[9:10]
.LBB139_134:
	s_or_b32 exec_lo, exec_lo, s0
	v_and_b32_e32 v9, 1, v34
	s_mov_b32 s0, exec_lo
	s_delay_alu instid0(VALU_DEP_1)
	v_cmpx_eq_u32_e32 1, v9
	s_cbranch_execz .LBB139_136
; %bb.135:
	v_sub_nc_u32_e32 v9, v27, v15
	s_delay_alu instid0(VALU_DEP_1)
	v_lshlrev_b32_e32 v9, 3, v9
	ds_store_b64 v9, v[11:12]
.LBB139_136:
	s_or_b32 exec_lo, exec_lo, s0
	v_and_b32_e32 v9, 1, v33
	s_mov_b32 s0, exec_lo
	s_delay_alu instid0(VALU_DEP_1)
	v_cmpx_eq_u32_e32 1, v9
	s_cbranch_execz .LBB139_138
; %bb.137:
	v_sub_nc_u32_e32 v9, v25, v15
	s_delay_alu instid0(VALU_DEP_1)
	v_lshlrev_b32_e32 v9, 3, v9
	ds_store_b64 v9, v[5:6]
.LBB139_138:
	s_or_b32 exec_lo, exec_lo, s0
	v_and_b32_e32 v5, 1, v35
	s_mov_b32 s0, exec_lo
	s_delay_alu instid0(VALU_DEP_1)
	v_cmpx_eq_u32_e32 1, v5
	s_cbranch_execz .LBB139_140
; %bb.139:
	v_sub_nc_u32_e32 v5, v23, v15
	s_delay_alu instid0(VALU_DEP_1)
	v_lshlrev_b32_e32 v5, 3, v5
	ds_store_b64 v5, v[7:8]
.LBB139_140:
	s_or_b32 exec_lo, exec_lo, s0
	v_and_b32_e32 v5, 1, v31
	s_mov_b32 s0, exec_lo
	s_delay_alu instid0(VALU_DEP_1)
	v_cmpx_eq_u32_e32 1, v5
	s_cbranch_execz .LBB139_142
; %bb.141:
	v_sub_nc_u32_e32 v5, v19, v15
	s_delay_alu instid0(VALU_DEP_1)
	v_lshlrev_b32_e32 v5, 3, v5
	ds_store_b64 v5, v[1:2]
.LBB139_142:
	s_or_b32 exec_lo, exec_lo, s0
	v_and_b32_e32 v1, 1, v32
	s_mov_b32 s0, exec_lo
	s_delay_alu instid0(VALU_DEP_1)
	v_cmpx_eq_u32_e32 1, v1
	s_cbranch_execz .LBB139_144
; %bb.143:
	v_sub_nc_u32_e32 v1, v17, v15
	s_delay_alu instid0(VALU_DEP_1)
	v_lshlrev_b32_e32 v1, 3, v1
	ds_store_b64 v1, v[3:4]
.LBB139_144:
	s_or_b32 exec_lo, exec_lo, s0
	v_mov_b32_e32 v3, 0
	s_mov_b32 s1, exec_lo
	s_waitcnt lgkmcnt(0)
	s_waitcnt_vscnt null, 0x0
	s_barrier
	buffer_gl0_inv
	v_mov_b32_e32 v1, v3
	s_delay_alu instid0(VALU_DEP_1)
	v_cmpx_gt_u64_e64 v[13:14], v[0:1]
	s_cbranch_execz .LBB139_147
; %bb.145:
	v_lshlrev_b64 v[4:5], 3, v[15:16]
	s_lshl_b64 s[2:3], s[6:7], 3
	v_or_b32_e32 v2, 0x80, v0
	s_delay_alu instid0(VALU_DEP_2) | instskip(NEXT) | instid1(VALU_DEP_3)
	v_add_co_u32 v4, vcc_lo, s10, v4
	v_add_co_ci_u32_e32 v5, vcc_lo, s11, v5, vcc_lo
	s_delay_alu instid0(VALU_DEP_2) | instskip(NEXT) | instid1(VALU_DEP_2)
	v_add_co_u32 v6, vcc_lo, v4, s2
	v_add_co_ci_u32_e32 v7, vcc_lo, s3, v5, vcc_lo
	v_dual_mov_b32 v5, v1 :: v_dual_mov_b32 v4, v0
	s_mov_b32 s2, 0
	.p2align	6
.LBB139_146:                            ; =>This Inner Loop Header: Depth=1
	s_delay_alu instid0(VALU_DEP_1) | instskip(NEXT) | instid1(VALU_DEP_2)
	v_lshlrev_b32_e32 v1, 3, v4
	v_lshlrev_b64 v[10:11], 3, v[4:5]
	v_dual_mov_b32 v5, v3 :: v_dual_mov_b32 v4, v2
	v_cmp_le_u64_e32 vcc_lo, v[13:14], v[2:3]
	v_add_nc_u32_e32 v2, 0x80, v2
	ds_load_b64 v[8:9], v1
	v_add_co_u32 v10, s0, v6, v10
	s_delay_alu instid0(VALU_DEP_1)
	v_add_co_ci_u32_e64 v11, s0, v7, v11, s0
	s_or_b32 s2, vcc_lo, s2
	s_waitcnt lgkmcnt(0)
	global_store_b64 v[10:11], v[8:9], off
	s_and_not1_b32 exec_lo, exec_lo, s2
	s_cbranch_execnz .LBB139_146
.LBB139_147:
	s_or_b32 exec_lo, exec_lo, s1
	v_cmp_eq_u32_e32 vcc_lo, 0, v0
	s_and_b32 s0, vcc_lo, s14
	s_delay_alu instid0(SALU_CYCLE_1)
	s_and_saveexec_b32 s1, s0
	s_cbranch_execz .LBB139_88
.LBB139_148:
	v_add_co_u32 v0, vcc_lo, v15, v13
	v_add_co_ci_u32_e32 v1, vcc_lo, v16, v14, vcc_lo
	v_mov_b32_e32 v2, 0
	s_delay_alu instid0(VALU_DEP_3) | instskip(NEXT) | instid1(VALU_DEP_3)
	v_add_co_u32 v0, vcc_lo, v0, s6
	v_add_co_ci_u32_e32 v1, vcc_lo, s7, v1, vcc_lo
	global_store_b64 v2, v[0:1], s[4:5]
	s_nop 0
	s_sendmsg sendmsg(MSG_DEALLOC_VGPRS)
	s_endpgm
	.section	.rodata,"a",@progbits
	.p2align	6, 0x0
	.amdhsa_kernel _ZN7rocprim17ROCPRIM_400000_NS6detail17trampoline_kernelINS0_14default_configENS1_25partition_config_selectorILNS1_17partition_subalgoE5ElNS0_10empty_typeEbEEZZNS1_14partition_implILS5_5ELb0ES3_mN6hipcub16HIPCUB_304000_NS21CountingInputIteratorIllEEPS6_NSA_22TransformInputIteratorIb7NonZeroIsEPslEENS0_5tupleIJPlS6_EEENSJ_IJSD_SD_EEES6_SK_JS6_EEE10hipError_tPvRmT3_T4_T5_T6_T7_T9_mT8_P12ihipStream_tbDpT10_ENKUlT_T0_E_clISt17integral_constantIbLb1EES15_IbLb0EEEEDaS11_S12_EUlS11_E_NS1_11comp_targetILNS1_3genE9ELNS1_11target_archE1100ELNS1_3gpuE3ELNS1_3repE0EEENS1_30default_config_static_selectorELNS0_4arch9wavefront6targetE0EEEvT1_
		.amdhsa_group_segment_fixed_size 6160
		.amdhsa_private_segment_fixed_size 0
		.amdhsa_kernarg_size 120
		.amdhsa_user_sgpr_count 15
		.amdhsa_user_sgpr_dispatch_ptr 0
		.amdhsa_user_sgpr_queue_ptr 0
		.amdhsa_user_sgpr_kernarg_segment_ptr 1
		.amdhsa_user_sgpr_dispatch_id 0
		.amdhsa_user_sgpr_private_segment_size 0
		.amdhsa_wavefront_size32 1
		.amdhsa_uses_dynamic_stack 0
		.amdhsa_enable_private_segment 0
		.amdhsa_system_sgpr_workgroup_id_x 1
		.amdhsa_system_sgpr_workgroup_id_y 0
		.amdhsa_system_sgpr_workgroup_id_z 0
		.amdhsa_system_sgpr_workgroup_info 0
		.amdhsa_system_vgpr_workitem_id 0
		.amdhsa_next_free_vgpr 57
		.amdhsa_next_free_sgpr 21
		.amdhsa_reserve_vcc 1
		.amdhsa_float_round_mode_32 0
		.amdhsa_float_round_mode_16_64 0
		.amdhsa_float_denorm_mode_32 3
		.amdhsa_float_denorm_mode_16_64 3
		.amdhsa_dx10_clamp 1
		.amdhsa_ieee_mode 1
		.amdhsa_fp16_overflow 0
		.amdhsa_workgroup_processor_mode 1
		.amdhsa_memory_ordered 1
		.amdhsa_forward_progress 0
		.amdhsa_shared_vgpr_count 0
		.amdhsa_exception_fp_ieee_invalid_op 0
		.amdhsa_exception_fp_denorm_src 0
		.amdhsa_exception_fp_ieee_div_zero 0
		.amdhsa_exception_fp_ieee_overflow 0
		.amdhsa_exception_fp_ieee_underflow 0
		.amdhsa_exception_fp_ieee_inexact 0
		.amdhsa_exception_int_div_zero 0
	.end_amdhsa_kernel
	.section	.text._ZN7rocprim17ROCPRIM_400000_NS6detail17trampoline_kernelINS0_14default_configENS1_25partition_config_selectorILNS1_17partition_subalgoE5ElNS0_10empty_typeEbEEZZNS1_14partition_implILS5_5ELb0ES3_mN6hipcub16HIPCUB_304000_NS21CountingInputIteratorIllEEPS6_NSA_22TransformInputIteratorIb7NonZeroIsEPslEENS0_5tupleIJPlS6_EEENSJ_IJSD_SD_EEES6_SK_JS6_EEE10hipError_tPvRmT3_T4_T5_T6_T7_T9_mT8_P12ihipStream_tbDpT10_ENKUlT_T0_E_clISt17integral_constantIbLb1EES15_IbLb0EEEEDaS11_S12_EUlS11_E_NS1_11comp_targetILNS1_3genE9ELNS1_11target_archE1100ELNS1_3gpuE3ELNS1_3repE0EEENS1_30default_config_static_selectorELNS0_4arch9wavefront6targetE0EEEvT1_,"axG",@progbits,_ZN7rocprim17ROCPRIM_400000_NS6detail17trampoline_kernelINS0_14default_configENS1_25partition_config_selectorILNS1_17partition_subalgoE5ElNS0_10empty_typeEbEEZZNS1_14partition_implILS5_5ELb0ES3_mN6hipcub16HIPCUB_304000_NS21CountingInputIteratorIllEEPS6_NSA_22TransformInputIteratorIb7NonZeroIsEPslEENS0_5tupleIJPlS6_EEENSJ_IJSD_SD_EEES6_SK_JS6_EEE10hipError_tPvRmT3_T4_T5_T6_T7_T9_mT8_P12ihipStream_tbDpT10_ENKUlT_T0_E_clISt17integral_constantIbLb1EES15_IbLb0EEEEDaS11_S12_EUlS11_E_NS1_11comp_targetILNS1_3genE9ELNS1_11target_archE1100ELNS1_3gpuE3ELNS1_3repE0EEENS1_30default_config_static_selectorELNS0_4arch9wavefront6targetE0EEEvT1_,comdat
.Lfunc_end139:
	.size	_ZN7rocprim17ROCPRIM_400000_NS6detail17trampoline_kernelINS0_14default_configENS1_25partition_config_selectorILNS1_17partition_subalgoE5ElNS0_10empty_typeEbEEZZNS1_14partition_implILS5_5ELb0ES3_mN6hipcub16HIPCUB_304000_NS21CountingInputIteratorIllEEPS6_NSA_22TransformInputIteratorIb7NonZeroIsEPslEENS0_5tupleIJPlS6_EEENSJ_IJSD_SD_EEES6_SK_JS6_EEE10hipError_tPvRmT3_T4_T5_T6_T7_T9_mT8_P12ihipStream_tbDpT10_ENKUlT_T0_E_clISt17integral_constantIbLb1EES15_IbLb0EEEEDaS11_S12_EUlS11_E_NS1_11comp_targetILNS1_3genE9ELNS1_11target_archE1100ELNS1_3gpuE3ELNS1_3repE0EEENS1_30default_config_static_selectorELNS0_4arch9wavefront6targetE0EEEvT1_, .Lfunc_end139-_ZN7rocprim17ROCPRIM_400000_NS6detail17trampoline_kernelINS0_14default_configENS1_25partition_config_selectorILNS1_17partition_subalgoE5ElNS0_10empty_typeEbEEZZNS1_14partition_implILS5_5ELb0ES3_mN6hipcub16HIPCUB_304000_NS21CountingInputIteratorIllEEPS6_NSA_22TransformInputIteratorIb7NonZeroIsEPslEENS0_5tupleIJPlS6_EEENSJ_IJSD_SD_EEES6_SK_JS6_EEE10hipError_tPvRmT3_T4_T5_T6_T7_T9_mT8_P12ihipStream_tbDpT10_ENKUlT_T0_E_clISt17integral_constantIbLb1EES15_IbLb0EEEEDaS11_S12_EUlS11_E_NS1_11comp_targetILNS1_3genE9ELNS1_11target_archE1100ELNS1_3gpuE3ELNS1_3repE0EEENS1_30default_config_static_selectorELNS0_4arch9wavefront6targetE0EEEvT1_
                                        ; -- End function
	.section	.AMDGPU.csdata,"",@progbits
; Kernel info:
; codeLenInByte = 6476
; NumSgprs: 23
; NumVgprs: 57
; ScratchSize: 0
; MemoryBound: 0
; FloatMode: 240
; IeeeMode: 1
; LDSByteSize: 6160 bytes/workgroup (compile time only)
; SGPRBlocks: 2
; VGPRBlocks: 7
; NumSGPRsForWavesPerEU: 23
; NumVGPRsForWavesPerEU: 57
; Occupancy: 16
; WaveLimiterHint : 1
; COMPUTE_PGM_RSRC2:SCRATCH_EN: 0
; COMPUTE_PGM_RSRC2:USER_SGPR: 15
; COMPUTE_PGM_RSRC2:TRAP_HANDLER: 0
; COMPUTE_PGM_RSRC2:TGID_X_EN: 1
; COMPUTE_PGM_RSRC2:TGID_Y_EN: 0
; COMPUTE_PGM_RSRC2:TGID_Z_EN: 0
; COMPUTE_PGM_RSRC2:TIDIG_COMP_CNT: 0
	.section	.text._ZN7rocprim17ROCPRIM_400000_NS6detail17trampoline_kernelINS0_14default_configENS1_25partition_config_selectorILNS1_17partition_subalgoE5ElNS0_10empty_typeEbEEZZNS1_14partition_implILS5_5ELb0ES3_mN6hipcub16HIPCUB_304000_NS21CountingInputIteratorIllEEPS6_NSA_22TransformInputIteratorIb7NonZeroIsEPslEENS0_5tupleIJPlS6_EEENSJ_IJSD_SD_EEES6_SK_JS6_EEE10hipError_tPvRmT3_T4_T5_T6_T7_T9_mT8_P12ihipStream_tbDpT10_ENKUlT_T0_E_clISt17integral_constantIbLb1EES15_IbLb0EEEEDaS11_S12_EUlS11_E_NS1_11comp_targetILNS1_3genE8ELNS1_11target_archE1030ELNS1_3gpuE2ELNS1_3repE0EEENS1_30default_config_static_selectorELNS0_4arch9wavefront6targetE0EEEvT1_,"axG",@progbits,_ZN7rocprim17ROCPRIM_400000_NS6detail17trampoline_kernelINS0_14default_configENS1_25partition_config_selectorILNS1_17partition_subalgoE5ElNS0_10empty_typeEbEEZZNS1_14partition_implILS5_5ELb0ES3_mN6hipcub16HIPCUB_304000_NS21CountingInputIteratorIllEEPS6_NSA_22TransformInputIteratorIb7NonZeroIsEPslEENS0_5tupleIJPlS6_EEENSJ_IJSD_SD_EEES6_SK_JS6_EEE10hipError_tPvRmT3_T4_T5_T6_T7_T9_mT8_P12ihipStream_tbDpT10_ENKUlT_T0_E_clISt17integral_constantIbLb1EES15_IbLb0EEEEDaS11_S12_EUlS11_E_NS1_11comp_targetILNS1_3genE8ELNS1_11target_archE1030ELNS1_3gpuE2ELNS1_3repE0EEENS1_30default_config_static_selectorELNS0_4arch9wavefront6targetE0EEEvT1_,comdat
	.protected	_ZN7rocprim17ROCPRIM_400000_NS6detail17trampoline_kernelINS0_14default_configENS1_25partition_config_selectorILNS1_17partition_subalgoE5ElNS0_10empty_typeEbEEZZNS1_14partition_implILS5_5ELb0ES3_mN6hipcub16HIPCUB_304000_NS21CountingInputIteratorIllEEPS6_NSA_22TransformInputIteratorIb7NonZeroIsEPslEENS0_5tupleIJPlS6_EEENSJ_IJSD_SD_EEES6_SK_JS6_EEE10hipError_tPvRmT3_T4_T5_T6_T7_T9_mT8_P12ihipStream_tbDpT10_ENKUlT_T0_E_clISt17integral_constantIbLb1EES15_IbLb0EEEEDaS11_S12_EUlS11_E_NS1_11comp_targetILNS1_3genE8ELNS1_11target_archE1030ELNS1_3gpuE2ELNS1_3repE0EEENS1_30default_config_static_selectorELNS0_4arch9wavefront6targetE0EEEvT1_ ; -- Begin function _ZN7rocprim17ROCPRIM_400000_NS6detail17trampoline_kernelINS0_14default_configENS1_25partition_config_selectorILNS1_17partition_subalgoE5ElNS0_10empty_typeEbEEZZNS1_14partition_implILS5_5ELb0ES3_mN6hipcub16HIPCUB_304000_NS21CountingInputIteratorIllEEPS6_NSA_22TransformInputIteratorIb7NonZeroIsEPslEENS0_5tupleIJPlS6_EEENSJ_IJSD_SD_EEES6_SK_JS6_EEE10hipError_tPvRmT3_T4_T5_T6_T7_T9_mT8_P12ihipStream_tbDpT10_ENKUlT_T0_E_clISt17integral_constantIbLb1EES15_IbLb0EEEEDaS11_S12_EUlS11_E_NS1_11comp_targetILNS1_3genE8ELNS1_11target_archE1030ELNS1_3gpuE2ELNS1_3repE0EEENS1_30default_config_static_selectorELNS0_4arch9wavefront6targetE0EEEvT1_
	.globl	_ZN7rocprim17ROCPRIM_400000_NS6detail17trampoline_kernelINS0_14default_configENS1_25partition_config_selectorILNS1_17partition_subalgoE5ElNS0_10empty_typeEbEEZZNS1_14partition_implILS5_5ELb0ES3_mN6hipcub16HIPCUB_304000_NS21CountingInputIteratorIllEEPS6_NSA_22TransformInputIteratorIb7NonZeroIsEPslEENS0_5tupleIJPlS6_EEENSJ_IJSD_SD_EEES6_SK_JS6_EEE10hipError_tPvRmT3_T4_T5_T6_T7_T9_mT8_P12ihipStream_tbDpT10_ENKUlT_T0_E_clISt17integral_constantIbLb1EES15_IbLb0EEEEDaS11_S12_EUlS11_E_NS1_11comp_targetILNS1_3genE8ELNS1_11target_archE1030ELNS1_3gpuE2ELNS1_3repE0EEENS1_30default_config_static_selectorELNS0_4arch9wavefront6targetE0EEEvT1_
	.p2align	8
	.type	_ZN7rocprim17ROCPRIM_400000_NS6detail17trampoline_kernelINS0_14default_configENS1_25partition_config_selectorILNS1_17partition_subalgoE5ElNS0_10empty_typeEbEEZZNS1_14partition_implILS5_5ELb0ES3_mN6hipcub16HIPCUB_304000_NS21CountingInputIteratorIllEEPS6_NSA_22TransformInputIteratorIb7NonZeroIsEPslEENS0_5tupleIJPlS6_EEENSJ_IJSD_SD_EEES6_SK_JS6_EEE10hipError_tPvRmT3_T4_T5_T6_T7_T9_mT8_P12ihipStream_tbDpT10_ENKUlT_T0_E_clISt17integral_constantIbLb1EES15_IbLb0EEEEDaS11_S12_EUlS11_E_NS1_11comp_targetILNS1_3genE8ELNS1_11target_archE1030ELNS1_3gpuE2ELNS1_3repE0EEENS1_30default_config_static_selectorELNS0_4arch9wavefront6targetE0EEEvT1_,@function
_ZN7rocprim17ROCPRIM_400000_NS6detail17trampoline_kernelINS0_14default_configENS1_25partition_config_selectorILNS1_17partition_subalgoE5ElNS0_10empty_typeEbEEZZNS1_14partition_implILS5_5ELb0ES3_mN6hipcub16HIPCUB_304000_NS21CountingInputIteratorIllEEPS6_NSA_22TransformInputIteratorIb7NonZeroIsEPslEENS0_5tupleIJPlS6_EEENSJ_IJSD_SD_EEES6_SK_JS6_EEE10hipError_tPvRmT3_T4_T5_T6_T7_T9_mT8_P12ihipStream_tbDpT10_ENKUlT_T0_E_clISt17integral_constantIbLb1EES15_IbLb0EEEEDaS11_S12_EUlS11_E_NS1_11comp_targetILNS1_3genE8ELNS1_11target_archE1030ELNS1_3gpuE2ELNS1_3repE0EEENS1_30default_config_static_selectorELNS0_4arch9wavefront6targetE0EEEvT1_: ; @_ZN7rocprim17ROCPRIM_400000_NS6detail17trampoline_kernelINS0_14default_configENS1_25partition_config_selectorILNS1_17partition_subalgoE5ElNS0_10empty_typeEbEEZZNS1_14partition_implILS5_5ELb0ES3_mN6hipcub16HIPCUB_304000_NS21CountingInputIteratorIllEEPS6_NSA_22TransformInputIteratorIb7NonZeroIsEPslEENS0_5tupleIJPlS6_EEENSJ_IJSD_SD_EEES6_SK_JS6_EEE10hipError_tPvRmT3_T4_T5_T6_T7_T9_mT8_P12ihipStream_tbDpT10_ENKUlT_T0_E_clISt17integral_constantIbLb1EES15_IbLb0EEEEDaS11_S12_EUlS11_E_NS1_11comp_targetILNS1_3genE8ELNS1_11target_archE1030ELNS1_3gpuE2ELNS1_3repE0EEENS1_30default_config_static_selectorELNS0_4arch9wavefront6targetE0EEEvT1_
; %bb.0:
	.section	.rodata,"a",@progbits
	.p2align	6, 0x0
	.amdhsa_kernel _ZN7rocprim17ROCPRIM_400000_NS6detail17trampoline_kernelINS0_14default_configENS1_25partition_config_selectorILNS1_17partition_subalgoE5ElNS0_10empty_typeEbEEZZNS1_14partition_implILS5_5ELb0ES3_mN6hipcub16HIPCUB_304000_NS21CountingInputIteratorIllEEPS6_NSA_22TransformInputIteratorIb7NonZeroIsEPslEENS0_5tupleIJPlS6_EEENSJ_IJSD_SD_EEES6_SK_JS6_EEE10hipError_tPvRmT3_T4_T5_T6_T7_T9_mT8_P12ihipStream_tbDpT10_ENKUlT_T0_E_clISt17integral_constantIbLb1EES15_IbLb0EEEEDaS11_S12_EUlS11_E_NS1_11comp_targetILNS1_3genE8ELNS1_11target_archE1030ELNS1_3gpuE2ELNS1_3repE0EEENS1_30default_config_static_selectorELNS0_4arch9wavefront6targetE0EEEvT1_
		.amdhsa_group_segment_fixed_size 0
		.amdhsa_private_segment_fixed_size 0
		.amdhsa_kernarg_size 120
		.amdhsa_user_sgpr_count 15
		.amdhsa_user_sgpr_dispatch_ptr 0
		.amdhsa_user_sgpr_queue_ptr 0
		.amdhsa_user_sgpr_kernarg_segment_ptr 1
		.amdhsa_user_sgpr_dispatch_id 0
		.amdhsa_user_sgpr_private_segment_size 0
		.amdhsa_wavefront_size32 1
		.amdhsa_uses_dynamic_stack 0
		.amdhsa_enable_private_segment 0
		.amdhsa_system_sgpr_workgroup_id_x 1
		.amdhsa_system_sgpr_workgroup_id_y 0
		.amdhsa_system_sgpr_workgroup_id_z 0
		.amdhsa_system_sgpr_workgroup_info 0
		.amdhsa_system_vgpr_workitem_id 0
		.amdhsa_next_free_vgpr 1
		.amdhsa_next_free_sgpr 1
		.amdhsa_reserve_vcc 0
		.amdhsa_float_round_mode_32 0
		.amdhsa_float_round_mode_16_64 0
		.amdhsa_float_denorm_mode_32 3
		.amdhsa_float_denorm_mode_16_64 3
		.amdhsa_dx10_clamp 1
		.amdhsa_ieee_mode 1
		.amdhsa_fp16_overflow 0
		.amdhsa_workgroup_processor_mode 1
		.amdhsa_memory_ordered 1
		.amdhsa_forward_progress 0
		.amdhsa_shared_vgpr_count 0
		.amdhsa_exception_fp_ieee_invalid_op 0
		.amdhsa_exception_fp_denorm_src 0
		.amdhsa_exception_fp_ieee_div_zero 0
		.amdhsa_exception_fp_ieee_overflow 0
		.amdhsa_exception_fp_ieee_underflow 0
		.amdhsa_exception_fp_ieee_inexact 0
		.amdhsa_exception_int_div_zero 0
	.end_amdhsa_kernel
	.section	.text._ZN7rocprim17ROCPRIM_400000_NS6detail17trampoline_kernelINS0_14default_configENS1_25partition_config_selectorILNS1_17partition_subalgoE5ElNS0_10empty_typeEbEEZZNS1_14partition_implILS5_5ELb0ES3_mN6hipcub16HIPCUB_304000_NS21CountingInputIteratorIllEEPS6_NSA_22TransformInputIteratorIb7NonZeroIsEPslEENS0_5tupleIJPlS6_EEENSJ_IJSD_SD_EEES6_SK_JS6_EEE10hipError_tPvRmT3_T4_T5_T6_T7_T9_mT8_P12ihipStream_tbDpT10_ENKUlT_T0_E_clISt17integral_constantIbLb1EES15_IbLb0EEEEDaS11_S12_EUlS11_E_NS1_11comp_targetILNS1_3genE8ELNS1_11target_archE1030ELNS1_3gpuE2ELNS1_3repE0EEENS1_30default_config_static_selectorELNS0_4arch9wavefront6targetE0EEEvT1_,"axG",@progbits,_ZN7rocprim17ROCPRIM_400000_NS6detail17trampoline_kernelINS0_14default_configENS1_25partition_config_selectorILNS1_17partition_subalgoE5ElNS0_10empty_typeEbEEZZNS1_14partition_implILS5_5ELb0ES3_mN6hipcub16HIPCUB_304000_NS21CountingInputIteratorIllEEPS6_NSA_22TransformInputIteratorIb7NonZeroIsEPslEENS0_5tupleIJPlS6_EEENSJ_IJSD_SD_EEES6_SK_JS6_EEE10hipError_tPvRmT3_T4_T5_T6_T7_T9_mT8_P12ihipStream_tbDpT10_ENKUlT_T0_E_clISt17integral_constantIbLb1EES15_IbLb0EEEEDaS11_S12_EUlS11_E_NS1_11comp_targetILNS1_3genE8ELNS1_11target_archE1030ELNS1_3gpuE2ELNS1_3repE0EEENS1_30default_config_static_selectorELNS0_4arch9wavefront6targetE0EEEvT1_,comdat
.Lfunc_end140:
	.size	_ZN7rocprim17ROCPRIM_400000_NS6detail17trampoline_kernelINS0_14default_configENS1_25partition_config_selectorILNS1_17partition_subalgoE5ElNS0_10empty_typeEbEEZZNS1_14partition_implILS5_5ELb0ES3_mN6hipcub16HIPCUB_304000_NS21CountingInputIteratorIllEEPS6_NSA_22TransformInputIteratorIb7NonZeroIsEPslEENS0_5tupleIJPlS6_EEENSJ_IJSD_SD_EEES6_SK_JS6_EEE10hipError_tPvRmT3_T4_T5_T6_T7_T9_mT8_P12ihipStream_tbDpT10_ENKUlT_T0_E_clISt17integral_constantIbLb1EES15_IbLb0EEEEDaS11_S12_EUlS11_E_NS1_11comp_targetILNS1_3genE8ELNS1_11target_archE1030ELNS1_3gpuE2ELNS1_3repE0EEENS1_30default_config_static_selectorELNS0_4arch9wavefront6targetE0EEEvT1_, .Lfunc_end140-_ZN7rocprim17ROCPRIM_400000_NS6detail17trampoline_kernelINS0_14default_configENS1_25partition_config_selectorILNS1_17partition_subalgoE5ElNS0_10empty_typeEbEEZZNS1_14partition_implILS5_5ELb0ES3_mN6hipcub16HIPCUB_304000_NS21CountingInputIteratorIllEEPS6_NSA_22TransformInputIteratorIb7NonZeroIsEPslEENS0_5tupleIJPlS6_EEENSJ_IJSD_SD_EEES6_SK_JS6_EEE10hipError_tPvRmT3_T4_T5_T6_T7_T9_mT8_P12ihipStream_tbDpT10_ENKUlT_T0_E_clISt17integral_constantIbLb1EES15_IbLb0EEEEDaS11_S12_EUlS11_E_NS1_11comp_targetILNS1_3genE8ELNS1_11target_archE1030ELNS1_3gpuE2ELNS1_3repE0EEENS1_30default_config_static_selectorELNS0_4arch9wavefront6targetE0EEEvT1_
                                        ; -- End function
	.section	.AMDGPU.csdata,"",@progbits
; Kernel info:
; codeLenInByte = 0
; NumSgprs: 0
; NumVgprs: 0
; ScratchSize: 0
; MemoryBound: 0
; FloatMode: 240
; IeeeMode: 1
; LDSByteSize: 0 bytes/workgroup (compile time only)
; SGPRBlocks: 0
; VGPRBlocks: 0
; NumSGPRsForWavesPerEU: 1
; NumVGPRsForWavesPerEU: 1
; Occupancy: 16
; WaveLimiterHint : 0
; COMPUTE_PGM_RSRC2:SCRATCH_EN: 0
; COMPUTE_PGM_RSRC2:USER_SGPR: 15
; COMPUTE_PGM_RSRC2:TRAP_HANDLER: 0
; COMPUTE_PGM_RSRC2:TGID_X_EN: 1
; COMPUTE_PGM_RSRC2:TGID_Y_EN: 0
; COMPUTE_PGM_RSRC2:TGID_Z_EN: 0
; COMPUTE_PGM_RSRC2:TIDIG_COMP_CNT: 0
	.section	.text._ZN7rocprim17ROCPRIM_400000_NS6detail17trampoline_kernelINS0_14default_configENS1_25partition_config_selectorILNS1_17partition_subalgoE5ElNS0_10empty_typeEbEEZZNS1_14partition_implILS5_5ELb0ES3_mN6hipcub16HIPCUB_304000_NS21CountingInputIteratorIllEEPS6_NSA_22TransformInputIteratorIb7NonZeroIsEPslEENS0_5tupleIJPlS6_EEENSJ_IJSD_SD_EEES6_SK_JS6_EEE10hipError_tPvRmT3_T4_T5_T6_T7_T9_mT8_P12ihipStream_tbDpT10_ENKUlT_T0_E_clISt17integral_constantIbLb0EES15_IbLb1EEEEDaS11_S12_EUlS11_E_NS1_11comp_targetILNS1_3genE0ELNS1_11target_archE4294967295ELNS1_3gpuE0ELNS1_3repE0EEENS1_30default_config_static_selectorELNS0_4arch9wavefront6targetE0EEEvT1_,"axG",@progbits,_ZN7rocprim17ROCPRIM_400000_NS6detail17trampoline_kernelINS0_14default_configENS1_25partition_config_selectorILNS1_17partition_subalgoE5ElNS0_10empty_typeEbEEZZNS1_14partition_implILS5_5ELb0ES3_mN6hipcub16HIPCUB_304000_NS21CountingInputIteratorIllEEPS6_NSA_22TransformInputIteratorIb7NonZeroIsEPslEENS0_5tupleIJPlS6_EEENSJ_IJSD_SD_EEES6_SK_JS6_EEE10hipError_tPvRmT3_T4_T5_T6_T7_T9_mT8_P12ihipStream_tbDpT10_ENKUlT_T0_E_clISt17integral_constantIbLb0EES15_IbLb1EEEEDaS11_S12_EUlS11_E_NS1_11comp_targetILNS1_3genE0ELNS1_11target_archE4294967295ELNS1_3gpuE0ELNS1_3repE0EEENS1_30default_config_static_selectorELNS0_4arch9wavefront6targetE0EEEvT1_,comdat
	.protected	_ZN7rocprim17ROCPRIM_400000_NS6detail17trampoline_kernelINS0_14default_configENS1_25partition_config_selectorILNS1_17partition_subalgoE5ElNS0_10empty_typeEbEEZZNS1_14partition_implILS5_5ELb0ES3_mN6hipcub16HIPCUB_304000_NS21CountingInputIteratorIllEEPS6_NSA_22TransformInputIteratorIb7NonZeroIsEPslEENS0_5tupleIJPlS6_EEENSJ_IJSD_SD_EEES6_SK_JS6_EEE10hipError_tPvRmT3_T4_T5_T6_T7_T9_mT8_P12ihipStream_tbDpT10_ENKUlT_T0_E_clISt17integral_constantIbLb0EES15_IbLb1EEEEDaS11_S12_EUlS11_E_NS1_11comp_targetILNS1_3genE0ELNS1_11target_archE4294967295ELNS1_3gpuE0ELNS1_3repE0EEENS1_30default_config_static_selectorELNS0_4arch9wavefront6targetE0EEEvT1_ ; -- Begin function _ZN7rocprim17ROCPRIM_400000_NS6detail17trampoline_kernelINS0_14default_configENS1_25partition_config_selectorILNS1_17partition_subalgoE5ElNS0_10empty_typeEbEEZZNS1_14partition_implILS5_5ELb0ES3_mN6hipcub16HIPCUB_304000_NS21CountingInputIteratorIllEEPS6_NSA_22TransformInputIteratorIb7NonZeroIsEPslEENS0_5tupleIJPlS6_EEENSJ_IJSD_SD_EEES6_SK_JS6_EEE10hipError_tPvRmT3_T4_T5_T6_T7_T9_mT8_P12ihipStream_tbDpT10_ENKUlT_T0_E_clISt17integral_constantIbLb0EES15_IbLb1EEEEDaS11_S12_EUlS11_E_NS1_11comp_targetILNS1_3genE0ELNS1_11target_archE4294967295ELNS1_3gpuE0ELNS1_3repE0EEENS1_30default_config_static_selectorELNS0_4arch9wavefront6targetE0EEEvT1_
	.globl	_ZN7rocprim17ROCPRIM_400000_NS6detail17trampoline_kernelINS0_14default_configENS1_25partition_config_selectorILNS1_17partition_subalgoE5ElNS0_10empty_typeEbEEZZNS1_14partition_implILS5_5ELb0ES3_mN6hipcub16HIPCUB_304000_NS21CountingInputIteratorIllEEPS6_NSA_22TransformInputIteratorIb7NonZeroIsEPslEENS0_5tupleIJPlS6_EEENSJ_IJSD_SD_EEES6_SK_JS6_EEE10hipError_tPvRmT3_T4_T5_T6_T7_T9_mT8_P12ihipStream_tbDpT10_ENKUlT_T0_E_clISt17integral_constantIbLb0EES15_IbLb1EEEEDaS11_S12_EUlS11_E_NS1_11comp_targetILNS1_3genE0ELNS1_11target_archE4294967295ELNS1_3gpuE0ELNS1_3repE0EEENS1_30default_config_static_selectorELNS0_4arch9wavefront6targetE0EEEvT1_
	.p2align	8
	.type	_ZN7rocprim17ROCPRIM_400000_NS6detail17trampoline_kernelINS0_14default_configENS1_25partition_config_selectorILNS1_17partition_subalgoE5ElNS0_10empty_typeEbEEZZNS1_14partition_implILS5_5ELb0ES3_mN6hipcub16HIPCUB_304000_NS21CountingInputIteratorIllEEPS6_NSA_22TransformInputIteratorIb7NonZeroIsEPslEENS0_5tupleIJPlS6_EEENSJ_IJSD_SD_EEES6_SK_JS6_EEE10hipError_tPvRmT3_T4_T5_T6_T7_T9_mT8_P12ihipStream_tbDpT10_ENKUlT_T0_E_clISt17integral_constantIbLb0EES15_IbLb1EEEEDaS11_S12_EUlS11_E_NS1_11comp_targetILNS1_3genE0ELNS1_11target_archE4294967295ELNS1_3gpuE0ELNS1_3repE0EEENS1_30default_config_static_selectorELNS0_4arch9wavefront6targetE0EEEvT1_,@function
_ZN7rocprim17ROCPRIM_400000_NS6detail17trampoline_kernelINS0_14default_configENS1_25partition_config_selectorILNS1_17partition_subalgoE5ElNS0_10empty_typeEbEEZZNS1_14partition_implILS5_5ELb0ES3_mN6hipcub16HIPCUB_304000_NS21CountingInputIteratorIllEEPS6_NSA_22TransformInputIteratorIb7NonZeroIsEPslEENS0_5tupleIJPlS6_EEENSJ_IJSD_SD_EEES6_SK_JS6_EEE10hipError_tPvRmT3_T4_T5_T6_T7_T9_mT8_P12ihipStream_tbDpT10_ENKUlT_T0_E_clISt17integral_constantIbLb0EES15_IbLb1EEEEDaS11_S12_EUlS11_E_NS1_11comp_targetILNS1_3genE0ELNS1_11target_archE4294967295ELNS1_3gpuE0ELNS1_3repE0EEENS1_30default_config_static_selectorELNS0_4arch9wavefront6targetE0EEEvT1_: ; @_ZN7rocprim17ROCPRIM_400000_NS6detail17trampoline_kernelINS0_14default_configENS1_25partition_config_selectorILNS1_17partition_subalgoE5ElNS0_10empty_typeEbEEZZNS1_14partition_implILS5_5ELb0ES3_mN6hipcub16HIPCUB_304000_NS21CountingInputIteratorIllEEPS6_NSA_22TransformInputIteratorIb7NonZeroIsEPslEENS0_5tupleIJPlS6_EEENSJ_IJSD_SD_EEES6_SK_JS6_EEE10hipError_tPvRmT3_T4_T5_T6_T7_T9_mT8_P12ihipStream_tbDpT10_ENKUlT_T0_E_clISt17integral_constantIbLb0EES15_IbLb1EEEEDaS11_S12_EUlS11_E_NS1_11comp_targetILNS1_3genE0ELNS1_11target_archE4294967295ELNS1_3gpuE0ELNS1_3repE0EEENS1_30default_config_static_selectorELNS0_4arch9wavefront6targetE0EEEvT1_
; %bb.0:
	.section	.rodata,"a",@progbits
	.p2align	6, 0x0
	.amdhsa_kernel _ZN7rocprim17ROCPRIM_400000_NS6detail17trampoline_kernelINS0_14default_configENS1_25partition_config_selectorILNS1_17partition_subalgoE5ElNS0_10empty_typeEbEEZZNS1_14partition_implILS5_5ELb0ES3_mN6hipcub16HIPCUB_304000_NS21CountingInputIteratorIllEEPS6_NSA_22TransformInputIteratorIb7NonZeroIsEPslEENS0_5tupleIJPlS6_EEENSJ_IJSD_SD_EEES6_SK_JS6_EEE10hipError_tPvRmT3_T4_T5_T6_T7_T9_mT8_P12ihipStream_tbDpT10_ENKUlT_T0_E_clISt17integral_constantIbLb0EES15_IbLb1EEEEDaS11_S12_EUlS11_E_NS1_11comp_targetILNS1_3genE0ELNS1_11target_archE4294967295ELNS1_3gpuE0ELNS1_3repE0EEENS1_30default_config_static_selectorELNS0_4arch9wavefront6targetE0EEEvT1_
		.amdhsa_group_segment_fixed_size 0
		.amdhsa_private_segment_fixed_size 0
		.amdhsa_kernarg_size 136
		.amdhsa_user_sgpr_count 15
		.amdhsa_user_sgpr_dispatch_ptr 0
		.amdhsa_user_sgpr_queue_ptr 0
		.amdhsa_user_sgpr_kernarg_segment_ptr 1
		.amdhsa_user_sgpr_dispatch_id 0
		.amdhsa_user_sgpr_private_segment_size 0
		.amdhsa_wavefront_size32 1
		.amdhsa_uses_dynamic_stack 0
		.amdhsa_enable_private_segment 0
		.amdhsa_system_sgpr_workgroup_id_x 1
		.amdhsa_system_sgpr_workgroup_id_y 0
		.amdhsa_system_sgpr_workgroup_id_z 0
		.amdhsa_system_sgpr_workgroup_info 0
		.amdhsa_system_vgpr_workitem_id 0
		.amdhsa_next_free_vgpr 1
		.amdhsa_next_free_sgpr 1
		.amdhsa_reserve_vcc 0
		.amdhsa_float_round_mode_32 0
		.amdhsa_float_round_mode_16_64 0
		.amdhsa_float_denorm_mode_32 3
		.amdhsa_float_denorm_mode_16_64 3
		.amdhsa_dx10_clamp 1
		.amdhsa_ieee_mode 1
		.amdhsa_fp16_overflow 0
		.amdhsa_workgroup_processor_mode 1
		.amdhsa_memory_ordered 1
		.amdhsa_forward_progress 0
		.amdhsa_shared_vgpr_count 0
		.amdhsa_exception_fp_ieee_invalid_op 0
		.amdhsa_exception_fp_denorm_src 0
		.amdhsa_exception_fp_ieee_div_zero 0
		.amdhsa_exception_fp_ieee_overflow 0
		.amdhsa_exception_fp_ieee_underflow 0
		.amdhsa_exception_fp_ieee_inexact 0
		.amdhsa_exception_int_div_zero 0
	.end_amdhsa_kernel
	.section	.text._ZN7rocprim17ROCPRIM_400000_NS6detail17trampoline_kernelINS0_14default_configENS1_25partition_config_selectorILNS1_17partition_subalgoE5ElNS0_10empty_typeEbEEZZNS1_14partition_implILS5_5ELb0ES3_mN6hipcub16HIPCUB_304000_NS21CountingInputIteratorIllEEPS6_NSA_22TransformInputIteratorIb7NonZeroIsEPslEENS0_5tupleIJPlS6_EEENSJ_IJSD_SD_EEES6_SK_JS6_EEE10hipError_tPvRmT3_T4_T5_T6_T7_T9_mT8_P12ihipStream_tbDpT10_ENKUlT_T0_E_clISt17integral_constantIbLb0EES15_IbLb1EEEEDaS11_S12_EUlS11_E_NS1_11comp_targetILNS1_3genE0ELNS1_11target_archE4294967295ELNS1_3gpuE0ELNS1_3repE0EEENS1_30default_config_static_selectorELNS0_4arch9wavefront6targetE0EEEvT1_,"axG",@progbits,_ZN7rocprim17ROCPRIM_400000_NS6detail17trampoline_kernelINS0_14default_configENS1_25partition_config_selectorILNS1_17partition_subalgoE5ElNS0_10empty_typeEbEEZZNS1_14partition_implILS5_5ELb0ES3_mN6hipcub16HIPCUB_304000_NS21CountingInputIteratorIllEEPS6_NSA_22TransformInputIteratorIb7NonZeroIsEPslEENS0_5tupleIJPlS6_EEENSJ_IJSD_SD_EEES6_SK_JS6_EEE10hipError_tPvRmT3_T4_T5_T6_T7_T9_mT8_P12ihipStream_tbDpT10_ENKUlT_T0_E_clISt17integral_constantIbLb0EES15_IbLb1EEEEDaS11_S12_EUlS11_E_NS1_11comp_targetILNS1_3genE0ELNS1_11target_archE4294967295ELNS1_3gpuE0ELNS1_3repE0EEENS1_30default_config_static_selectorELNS0_4arch9wavefront6targetE0EEEvT1_,comdat
.Lfunc_end141:
	.size	_ZN7rocprim17ROCPRIM_400000_NS6detail17trampoline_kernelINS0_14default_configENS1_25partition_config_selectorILNS1_17partition_subalgoE5ElNS0_10empty_typeEbEEZZNS1_14partition_implILS5_5ELb0ES3_mN6hipcub16HIPCUB_304000_NS21CountingInputIteratorIllEEPS6_NSA_22TransformInputIteratorIb7NonZeroIsEPslEENS0_5tupleIJPlS6_EEENSJ_IJSD_SD_EEES6_SK_JS6_EEE10hipError_tPvRmT3_T4_T5_T6_T7_T9_mT8_P12ihipStream_tbDpT10_ENKUlT_T0_E_clISt17integral_constantIbLb0EES15_IbLb1EEEEDaS11_S12_EUlS11_E_NS1_11comp_targetILNS1_3genE0ELNS1_11target_archE4294967295ELNS1_3gpuE0ELNS1_3repE0EEENS1_30default_config_static_selectorELNS0_4arch9wavefront6targetE0EEEvT1_, .Lfunc_end141-_ZN7rocprim17ROCPRIM_400000_NS6detail17trampoline_kernelINS0_14default_configENS1_25partition_config_selectorILNS1_17partition_subalgoE5ElNS0_10empty_typeEbEEZZNS1_14partition_implILS5_5ELb0ES3_mN6hipcub16HIPCUB_304000_NS21CountingInputIteratorIllEEPS6_NSA_22TransformInputIteratorIb7NonZeroIsEPslEENS0_5tupleIJPlS6_EEENSJ_IJSD_SD_EEES6_SK_JS6_EEE10hipError_tPvRmT3_T4_T5_T6_T7_T9_mT8_P12ihipStream_tbDpT10_ENKUlT_T0_E_clISt17integral_constantIbLb0EES15_IbLb1EEEEDaS11_S12_EUlS11_E_NS1_11comp_targetILNS1_3genE0ELNS1_11target_archE4294967295ELNS1_3gpuE0ELNS1_3repE0EEENS1_30default_config_static_selectorELNS0_4arch9wavefront6targetE0EEEvT1_
                                        ; -- End function
	.section	.AMDGPU.csdata,"",@progbits
; Kernel info:
; codeLenInByte = 0
; NumSgprs: 0
; NumVgprs: 0
; ScratchSize: 0
; MemoryBound: 0
; FloatMode: 240
; IeeeMode: 1
; LDSByteSize: 0 bytes/workgroup (compile time only)
; SGPRBlocks: 0
; VGPRBlocks: 0
; NumSGPRsForWavesPerEU: 1
; NumVGPRsForWavesPerEU: 1
; Occupancy: 16
; WaveLimiterHint : 0
; COMPUTE_PGM_RSRC2:SCRATCH_EN: 0
; COMPUTE_PGM_RSRC2:USER_SGPR: 15
; COMPUTE_PGM_RSRC2:TRAP_HANDLER: 0
; COMPUTE_PGM_RSRC2:TGID_X_EN: 1
; COMPUTE_PGM_RSRC2:TGID_Y_EN: 0
; COMPUTE_PGM_RSRC2:TGID_Z_EN: 0
; COMPUTE_PGM_RSRC2:TIDIG_COMP_CNT: 0
	.section	.text._ZN7rocprim17ROCPRIM_400000_NS6detail17trampoline_kernelINS0_14default_configENS1_25partition_config_selectorILNS1_17partition_subalgoE5ElNS0_10empty_typeEbEEZZNS1_14partition_implILS5_5ELb0ES3_mN6hipcub16HIPCUB_304000_NS21CountingInputIteratorIllEEPS6_NSA_22TransformInputIteratorIb7NonZeroIsEPslEENS0_5tupleIJPlS6_EEENSJ_IJSD_SD_EEES6_SK_JS6_EEE10hipError_tPvRmT3_T4_T5_T6_T7_T9_mT8_P12ihipStream_tbDpT10_ENKUlT_T0_E_clISt17integral_constantIbLb0EES15_IbLb1EEEEDaS11_S12_EUlS11_E_NS1_11comp_targetILNS1_3genE5ELNS1_11target_archE942ELNS1_3gpuE9ELNS1_3repE0EEENS1_30default_config_static_selectorELNS0_4arch9wavefront6targetE0EEEvT1_,"axG",@progbits,_ZN7rocprim17ROCPRIM_400000_NS6detail17trampoline_kernelINS0_14default_configENS1_25partition_config_selectorILNS1_17partition_subalgoE5ElNS0_10empty_typeEbEEZZNS1_14partition_implILS5_5ELb0ES3_mN6hipcub16HIPCUB_304000_NS21CountingInputIteratorIllEEPS6_NSA_22TransformInputIteratorIb7NonZeroIsEPslEENS0_5tupleIJPlS6_EEENSJ_IJSD_SD_EEES6_SK_JS6_EEE10hipError_tPvRmT3_T4_T5_T6_T7_T9_mT8_P12ihipStream_tbDpT10_ENKUlT_T0_E_clISt17integral_constantIbLb0EES15_IbLb1EEEEDaS11_S12_EUlS11_E_NS1_11comp_targetILNS1_3genE5ELNS1_11target_archE942ELNS1_3gpuE9ELNS1_3repE0EEENS1_30default_config_static_selectorELNS0_4arch9wavefront6targetE0EEEvT1_,comdat
	.protected	_ZN7rocprim17ROCPRIM_400000_NS6detail17trampoline_kernelINS0_14default_configENS1_25partition_config_selectorILNS1_17partition_subalgoE5ElNS0_10empty_typeEbEEZZNS1_14partition_implILS5_5ELb0ES3_mN6hipcub16HIPCUB_304000_NS21CountingInputIteratorIllEEPS6_NSA_22TransformInputIteratorIb7NonZeroIsEPslEENS0_5tupleIJPlS6_EEENSJ_IJSD_SD_EEES6_SK_JS6_EEE10hipError_tPvRmT3_T4_T5_T6_T7_T9_mT8_P12ihipStream_tbDpT10_ENKUlT_T0_E_clISt17integral_constantIbLb0EES15_IbLb1EEEEDaS11_S12_EUlS11_E_NS1_11comp_targetILNS1_3genE5ELNS1_11target_archE942ELNS1_3gpuE9ELNS1_3repE0EEENS1_30default_config_static_selectorELNS0_4arch9wavefront6targetE0EEEvT1_ ; -- Begin function _ZN7rocprim17ROCPRIM_400000_NS6detail17trampoline_kernelINS0_14default_configENS1_25partition_config_selectorILNS1_17partition_subalgoE5ElNS0_10empty_typeEbEEZZNS1_14partition_implILS5_5ELb0ES3_mN6hipcub16HIPCUB_304000_NS21CountingInputIteratorIllEEPS6_NSA_22TransformInputIteratorIb7NonZeroIsEPslEENS0_5tupleIJPlS6_EEENSJ_IJSD_SD_EEES6_SK_JS6_EEE10hipError_tPvRmT3_T4_T5_T6_T7_T9_mT8_P12ihipStream_tbDpT10_ENKUlT_T0_E_clISt17integral_constantIbLb0EES15_IbLb1EEEEDaS11_S12_EUlS11_E_NS1_11comp_targetILNS1_3genE5ELNS1_11target_archE942ELNS1_3gpuE9ELNS1_3repE0EEENS1_30default_config_static_selectorELNS0_4arch9wavefront6targetE0EEEvT1_
	.globl	_ZN7rocprim17ROCPRIM_400000_NS6detail17trampoline_kernelINS0_14default_configENS1_25partition_config_selectorILNS1_17partition_subalgoE5ElNS0_10empty_typeEbEEZZNS1_14partition_implILS5_5ELb0ES3_mN6hipcub16HIPCUB_304000_NS21CountingInputIteratorIllEEPS6_NSA_22TransformInputIteratorIb7NonZeroIsEPslEENS0_5tupleIJPlS6_EEENSJ_IJSD_SD_EEES6_SK_JS6_EEE10hipError_tPvRmT3_T4_T5_T6_T7_T9_mT8_P12ihipStream_tbDpT10_ENKUlT_T0_E_clISt17integral_constantIbLb0EES15_IbLb1EEEEDaS11_S12_EUlS11_E_NS1_11comp_targetILNS1_3genE5ELNS1_11target_archE942ELNS1_3gpuE9ELNS1_3repE0EEENS1_30default_config_static_selectorELNS0_4arch9wavefront6targetE0EEEvT1_
	.p2align	8
	.type	_ZN7rocprim17ROCPRIM_400000_NS6detail17trampoline_kernelINS0_14default_configENS1_25partition_config_selectorILNS1_17partition_subalgoE5ElNS0_10empty_typeEbEEZZNS1_14partition_implILS5_5ELb0ES3_mN6hipcub16HIPCUB_304000_NS21CountingInputIteratorIllEEPS6_NSA_22TransformInputIteratorIb7NonZeroIsEPslEENS0_5tupleIJPlS6_EEENSJ_IJSD_SD_EEES6_SK_JS6_EEE10hipError_tPvRmT3_T4_T5_T6_T7_T9_mT8_P12ihipStream_tbDpT10_ENKUlT_T0_E_clISt17integral_constantIbLb0EES15_IbLb1EEEEDaS11_S12_EUlS11_E_NS1_11comp_targetILNS1_3genE5ELNS1_11target_archE942ELNS1_3gpuE9ELNS1_3repE0EEENS1_30default_config_static_selectorELNS0_4arch9wavefront6targetE0EEEvT1_,@function
_ZN7rocprim17ROCPRIM_400000_NS6detail17trampoline_kernelINS0_14default_configENS1_25partition_config_selectorILNS1_17partition_subalgoE5ElNS0_10empty_typeEbEEZZNS1_14partition_implILS5_5ELb0ES3_mN6hipcub16HIPCUB_304000_NS21CountingInputIteratorIllEEPS6_NSA_22TransformInputIteratorIb7NonZeroIsEPslEENS0_5tupleIJPlS6_EEENSJ_IJSD_SD_EEES6_SK_JS6_EEE10hipError_tPvRmT3_T4_T5_T6_T7_T9_mT8_P12ihipStream_tbDpT10_ENKUlT_T0_E_clISt17integral_constantIbLb0EES15_IbLb1EEEEDaS11_S12_EUlS11_E_NS1_11comp_targetILNS1_3genE5ELNS1_11target_archE942ELNS1_3gpuE9ELNS1_3repE0EEENS1_30default_config_static_selectorELNS0_4arch9wavefront6targetE0EEEvT1_: ; @_ZN7rocprim17ROCPRIM_400000_NS6detail17trampoline_kernelINS0_14default_configENS1_25partition_config_selectorILNS1_17partition_subalgoE5ElNS0_10empty_typeEbEEZZNS1_14partition_implILS5_5ELb0ES3_mN6hipcub16HIPCUB_304000_NS21CountingInputIteratorIllEEPS6_NSA_22TransformInputIteratorIb7NonZeroIsEPslEENS0_5tupleIJPlS6_EEENSJ_IJSD_SD_EEES6_SK_JS6_EEE10hipError_tPvRmT3_T4_T5_T6_T7_T9_mT8_P12ihipStream_tbDpT10_ENKUlT_T0_E_clISt17integral_constantIbLb0EES15_IbLb1EEEEDaS11_S12_EUlS11_E_NS1_11comp_targetILNS1_3genE5ELNS1_11target_archE942ELNS1_3gpuE9ELNS1_3repE0EEENS1_30default_config_static_selectorELNS0_4arch9wavefront6targetE0EEEvT1_
; %bb.0:
	.section	.rodata,"a",@progbits
	.p2align	6, 0x0
	.amdhsa_kernel _ZN7rocprim17ROCPRIM_400000_NS6detail17trampoline_kernelINS0_14default_configENS1_25partition_config_selectorILNS1_17partition_subalgoE5ElNS0_10empty_typeEbEEZZNS1_14partition_implILS5_5ELb0ES3_mN6hipcub16HIPCUB_304000_NS21CountingInputIteratorIllEEPS6_NSA_22TransformInputIteratorIb7NonZeroIsEPslEENS0_5tupleIJPlS6_EEENSJ_IJSD_SD_EEES6_SK_JS6_EEE10hipError_tPvRmT3_T4_T5_T6_T7_T9_mT8_P12ihipStream_tbDpT10_ENKUlT_T0_E_clISt17integral_constantIbLb0EES15_IbLb1EEEEDaS11_S12_EUlS11_E_NS1_11comp_targetILNS1_3genE5ELNS1_11target_archE942ELNS1_3gpuE9ELNS1_3repE0EEENS1_30default_config_static_selectorELNS0_4arch9wavefront6targetE0EEEvT1_
		.amdhsa_group_segment_fixed_size 0
		.amdhsa_private_segment_fixed_size 0
		.amdhsa_kernarg_size 136
		.amdhsa_user_sgpr_count 15
		.amdhsa_user_sgpr_dispatch_ptr 0
		.amdhsa_user_sgpr_queue_ptr 0
		.amdhsa_user_sgpr_kernarg_segment_ptr 1
		.amdhsa_user_sgpr_dispatch_id 0
		.amdhsa_user_sgpr_private_segment_size 0
		.amdhsa_wavefront_size32 1
		.amdhsa_uses_dynamic_stack 0
		.amdhsa_enable_private_segment 0
		.amdhsa_system_sgpr_workgroup_id_x 1
		.amdhsa_system_sgpr_workgroup_id_y 0
		.amdhsa_system_sgpr_workgroup_id_z 0
		.amdhsa_system_sgpr_workgroup_info 0
		.amdhsa_system_vgpr_workitem_id 0
		.amdhsa_next_free_vgpr 1
		.amdhsa_next_free_sgpr 1
		.amdhsa_reserve_vcc 0
		.amdhsa_float_round_mode_32 0
		.amdhsa_float_round_mode_16_64 0
		.amdhsa_float_denorm_mode_32 3
		.amdhsa_float_denorm_mode_16_64 3
		.amdhsa_dx10_clamp 1
		.amdhsa_ieee_mode 1
		.amdhsa_fp16_overflow 0
		.amdhsa_workgroup_processor_mode 1
		.amdhsa_memory_ordered 1
		.amdhsa_forward_progress 0
		.amdhsa_shared_vgpr_count 0
		.amdhsa_exception_fp_ieee_invalid_op 0
		.amdhsa_exception_fp_denorm_src 0
		.amdhsa_exception_fp_ieee_div_zero 0
		.amdhsa_exception_fp_ieee_overflow 0
		.amdhsa_exception_fp_ieee_underflow 0
		.amdhsa_exception_fp_ieee_inexact 0
		.amdhsa_exception_int_div_zero 0
	.end_amdhsa_kernel
	.section	.text._ZN7rocprim17ROCPRIM_400000_NS6detail17trampoline_kernelINS0_14default_configENS1_25partition_config_selectorILNS1_17partition_subalgoE5ElNS0_10empty_typeEbEEZZNS1_14partition_implILS5_5ELb0ES3_mN6hipcub16HIPCUB_304000_NS21CountingInputIteratorIllEEPS6_NSA_22TransformInputIteratorIb7NonZeroIsEPslEENS0_5tupleIJPlS6_EEENSJ_IJSD_SD_EEES6_SK_JS6_EEE10hipError_tPvRmT3_T4_T5_T6_T7_T9_mT8_P12ihipStream_tbDpT10_ENKUlT_T0_E_clISt17integral_constantIbLb0EES15_IbLb1EEEEDaS11_S12_EUlS11_E_NS1_11comp_targetILNS1_3genE5ELNS1_11target_archE942ELNS1_3gpuE9ELNS1_3repE0EEENS1_30default_config_static_selectorELNS0_4arch9wavefront6targetE0EEEvT1_,"axG",@progbits,_ZN7rocprim17ROCPRIM_400000_NS6detail17trampoline_kernelINS0_14default_configENS1_25partition_config_selectorILNS1_17partition_subalgoE5ElNS0_10empty_typeEbEEZZNS1_14partition_implILS5_5ELb0ES3_mN6hipcub16HIPCUB_304000_NS21CountingInputIteratorIllEEPS6_NSA_22TransformInputIteratorIb7NonZeroIsEPslEENS0_5tupleIJPlS6_EEENSJ_IJSD_SD_EEES6_SK_JS6_EEE10hipError_tPvRmT3_T4_T5_T6_T7_T9_mT8_P12ihipStream_tbDpT10_ENKUlT_T0_E_clISt17integral_constantIbLb0EES15_IbLb1EEEEDaS11_S12_EUlS11_E_NS1_11comp_targetILNS1_3genE5ELNS1_11target_archE942ELNS1_3gpuE9ELNS1_3repE0EEENS1_30default_config_static_selectorELNS0_4arch9wavefront6targetE0EEEvT1_,comdat
.Lfunc_end142:
	.size	_ZN7rocprim17ROCPRIM_400000_NS6detail17trampoline_kernelINS0_14default_configENS1_25partition_config_selectorILNS1_17partition_subalgoE5ElNS0_10empty_typeEbEEZZNS1_14partition_implILS5_5ELb0ES3_mN6hipcub16HIPCUB_304000_NS21CountingInputIteratorIllEEPS6_NSA_22TransformInputIteratorIb7NonZeroIsEPslEENS0_5tupleIJPlS6_EEENSJ_IJSD_SD_EEES6_SK_JS6_EEE10hipError_tPvRmT3_T4_T5_T6_T7_T9_mT8_P12ihipStream_tbDpT10_ENKUlT_T0_E_clISt17integral_constantIbLb0EES15_IbLb1EEEEDaS11_S12_EUlS11_E_NS1_11comp_targetILNS1_3genE5ELNS1_11target_archE942ELNS1_3gpuE9ELNS1_3repE0EEENS1_30default_config_static_selectorELNS0_4arch9wavefront6targetE0EEEvT1_, .Lfunc_end142-_ZN7rocprim17ROCPRIM_400000_NS6detail17trampoline_kernelINS0_14default_configENS1_25partition_config_selectorILNS1_17partition_subalgoE5ElNS0_10empty_typeEbEEZZNS1_14partition_implILS5_5ELb0ES3_mN6hipcub16HIPCUB_304000_NS21CountingInputIteratorIllEEPS6_NSA_22TransformInputIteratorIb7NonZeroIsEPslEENS0_5tupleIJPlS6_EEENSJ_IJSD_SD_EEES6_SK_JS6_EEE10hipError_tPvRmT3_T4_T5_T6_T7_T9_mT8_P12ihipStream_tbDpT10_ENKUlT_T0_E_clISt17integral_constantIbLb0EES15_IbLb1EEEEDaS11_S12_EUlS11_E_NS1_11comp_targetILNS1_3genE5ELNS1_11target_archE942ELNS1_3gpuE9ELNS1_3repE0EEENS1_30default_config_static_selectorELNS0_4arch9wavefront6targetE0EEEvT1_
                                        ; -- End function
	.section	.AMDGPU.csdata,"",@progbits
; Kernel info:
; codeLenInByte = 0
; NumSgprs: 0
; NumVgprs: 0
; ScratchSize: 0
; MemoryBound: 0
; FloatMode: 240
; IeeeMode: 1
; LDSByteSize: 0 bytes/workgroup (compile time only)
; SGPRBlocks: 0
; VGPRBlocks: 0
; NumSGPRsForWavesPerEU: 1
; NumVGPRsForWavesPerEU: 1
; Occupancy: 16
; WaveLimiterHint : 0
; COMPUTE_PGM_RSRC2:SCRATCH_EN: 0
; COMPUTE_PGM_RSRC2:USER_SGPR: 15
; COMPUTE_PGM_RSRC2:TRAP_HANDLER: 0
; COMPUTE_PGM_RSRC2:TGID_X_EN: 1
; COMPUTE_PGM_RSRC2:TGID_Y_EN: 0
; COMPUTE_PGM_RSRC2:TGID_Z_EN: 0
; COMPUTE_PGM_RSRC2:TIDIG_COMP_CNT: 0
	.section	.text._ZN7rocprim17ROCPRIM_400000_NS6detail17trampoline_kernelINS0_14default_configENS1_25partition_config_selectorILNS1_17partition_subalgoE5ElNS0_10empty_typeEbEEZZNS1_14partition_implILS5_5ELb0ES3_mN6hipcub16HIPCUB_304000_NS21CountingInputIteratorIllEEPS6_NSA_22TransformInputIteratorIb7NonZeroIsEPslEENS0_5tupleIJPlS6_EEENSJ_IJSD_SD_EEES6_SK_JS6_EEE10hipError_tPvRmT3_T4_T5_T6_T7_T9_mT8_P12ihipStream_tbDpT10_ENKUlT_T0_E_clISt17integral_constantIbLb0EES15_IbLb1EEEEDaS11_S12_EUlS11_E_NS1_11comp_targetILNS1_3genE4ELNS1_11target_archE910ELNS1_3gpuE8ELNS1_3repE0EEENS1_30default_config_static_selectorELNS0_4arch9wavefront6targetE0EEEvT1_,"axG",@progbits,_ZN7rocprim17ROCPRIM_400000_NS6detail17trampoline_kernelINS0_14default_configENS1_25partition_config_selectorILNS1_17partition_subalgoE5ElNS0_10empty_typeEbEEZZNS1_14partition_implILS5_5ELb0ES3_mN6hipcub16HIPCUB_304000_NS21CountingInputIteratorIllEEPS6_NSA_22TransformInputIteratorIb7NonZeroIsEPslEENS0_5tupleIJPlS6_EEENSJ_IJSD_SD_EEES6_SK_JS6_EEE10hipError_tPvRmT3_T4_T5_T6_T7_T9_mT8_P12ihipStream_tbDpT10_ENKUlT_T0_E_clISt17integral_constantIbLb0EES15_IbLb1EEEEDaS11_S12_EUlS11_E_NS1_11comp_targetILNS1_3genE4ELNS1_11target_archE910ELNS1_3gpuE8ELNS1_3repE0EEENS1_30default_config_static_selectorELNS0_4arch9wavefront6targetE0EEEvT1_,comdat
	.protected	_ZN7rocprim17ROCPRIM_400000_NS6detail17trampoline_kernelINS0_14default_configENS1_25partition_config_selectorILNS1_17partition_subalgoE5ElNS0_10empty_typeEbEEZZNS1_14partition_implILS5_5ELb0ES3_mN6hipcub16HIPCUB_304000_NS21CountingInputIteratorIllEEPS6_NSA_22TransformInputIteratorIb7NonZeroIsEPslEENS0_5tupleIJPlS6_EEENSJ_IJSD_SD_EEES6_SK_JS6_EEE10hipError_tPvRmT3_T4_T5_T6_T7_T9_mT8_P12ihipStream_tbDpT10_ENKUlT_T0_E_clISt17integral_constantIbLb0EES15_IbLb1EEEEDaS11_S12_EUlS11_E_NS1_11comp_targetILNS1_3genE4ELNS1_11target_archE910ELNS1_3gpuE8ELNS1_3repE0EEENS1_30default_config_static_selectorELNS0_4arch9wavefront6targetE0EEEvT1_ ; -- Begin function _ZN7rocprim17ROCPRIM_400000_NS6detail17trampoline_kernelINS0_14default_configENS1_25partition_config_selectorILNS1_17partition_subalgoE5ElNS0_10empty_typeEbEEZZNS1_14partition_implILS5_5ELb0ES3_mN6hipcub16HIPCUB_304000_NS21CountingInputIteratorIllEEPS6_NSA_22TransformInputIteratorIb7NonZeroIsEPslEENS0_5tupleIJPlS6_EEENSJ_IJSD_SD_EEES6_SK_JS6_EEE10hipError_tPvRmT3_T4_T5_T6_T7_T9_mT8_P12ihipStream_tbDpT10_ENKUlT_T0_E_clISt17integral_constantIbLb0EES15_IbLb1EEEEDaS11_S12_EUlS11_E_NS1_11comp_targetILNS1_3genE4ELNS1_11target_archE910ELNS1_3gpuE8ELNS1_3repE0EEENS1_30default_config_static_selectorELNS0_4arch9wavefront6targetE0EEEvT1_
	.globl	_ZN7rocprim17ROCPRIM_400000_NS6detail17trampoline_kernelINS0_14default_configENS1_25partition_config_selectorILNS1_17partition_subalgoE5ElNS0_10empty_typeEbEEZZNS1_14partition_implILS5_5ELb0ES3_mN6hipcub16HIPCUB_304000_NS21CountingInputIteratorIllEEPS6_NSA_22TransformInputIteratorIb7NonZeroIsEPslEENS0_5tupleIJPlS6_EEENSJ_IJSD_SD_EEES6_SK_JS6_EEE10hipError_tPvRmT3_T4_T5_T6_T7_T9_mT8_P12ihipStream_tbDpT10_ENKUlT_T0_E_clISt17integral_constantIbLb0EES15_IbLb1EEEEDaS11_S12_EUlS11_E_NS1_11comp_targetILNS1_3genE4ELNS1_11target_archE910ELNS1_3gpuE8ELNS1_3repE0EEENS1_30default_config_static_selectorELNS0_4arch9wavefront6targetE0EEEvT1_
	.p2align	8
	.type	_ZN7rocprim17ROCPRIM_400000_NS6detail17trampoline_kernelINS0_14default_configENS1_25partition_config_selectorILNS1_17partition_subalgoE5ElNS0_10empty_typeEbEEZZNS1_14partition_implILS5_5ELb0ES3_mN6hipcub16HIPCUB_304000_NS21CountingInputIteratorIllEEPS6_NSA_22TransformInputIteratorIb7NonZeroIsEPslEENS0_5tupleIJPlS6_EEENSJ_IJSD_SD_EEES6_SK_JS6_EEE10hipError_tPvRmT3_T4_T5_T6_T7_T9_mT8_P12ihipStream_tbDpT10_ENKUlT_T0_E_clISt17integral_constantIbLb0EES15_IbLb1EEEEDaS11_S12_EUlS11_E_NS1_11comp_targetILNS1_3genE4ELNS1_11target_archE910ELNS1_3gpuE8ELNS1_3repE0EEENS1_30default_config_static_selectorELNS0_4arch9wavefront6targetE0EEEvT1_,@function
_ZN7rocprim17ROCPRIM_400000_NS6detail17trampoline_kernelINS0_14default_configENS1_25partition_config_selectorILNS1_17partition_subalgoE5ElNS0_10empty_typeEbEEZZNS1_14partition_implILS5_5ELb0ES3_mN6hipcub16HIPCUB_304000_NS21CountingInputIteratorIllEEPS6_NSA_22TransformInputIteratorIb7NonZeroIsEPslEENS0_5tupleIJPlS6_EEENSJ_IJSD_SD_EEES6_SK_JS6_EEE10hipError_tPvRmT3_T4_T5_T6_T7_T9_mT8_P12ihipStream_tbDpT10_ENKUlT_T0_E_clISt17integral_constantIbLb0EES15_IbLb1EEEEDaS11_S12_EUlS11_E_NS1_11comp_targetILNS1_3genE4ELNS1_11target_archE910ELNS1_3gpuE8ELNS1_3repE0EEENS1_30default_config_static_selectorELNS0_4arch9wavefront6targetE0EEEvT1_: ; @_ZN7rocprim17ROCPRIM_400000_NS6detail17trampoline_kernelINS0_14default_configENS1_25partition_config_selectorILNS1_17partition_subalgoE5ElNS0_10empty_typeEbEEZZNS1_14partition_implILS5_5ELb0ES3_mN6hipcub16HIPCUB_304000_NS21CountingInputIteratorIllEEPS6_NSA_22TransformInputIteratorIb7NonZeroIsEPslEENS0_5tupleIJPlS6_EEENSJ_IJSD_SD_EEES6_SK_JS6_EEE10hipError_tPvRmT3_T4_T5_T6_T7_T9_mT8_P12ihipStream_tbDpT10_ENKUlT_T0_E_clISt17integral_constantIbLb0EES15_IbLb1EEEEDaS11_S12_EUlS11_E_NS1_11comp_targetILNS1_3genE4ELNS1_11target_archE910ELNS1_3gpuE8ELNS1_3repE0EEENS1_30default_config_static_selectorELNS0_4arch9wavefront6targetE0EEEvT1_
; %bb.0:
	.section	.rodata,"a",@progbits
	.p2align	6, 0x0
	.amdhsa_kernel _ZN7rocprim17ROCPRIM_400000_NS6detail17trampoline_kernelINS0_14default_configENS1_25partition_config_selectorILNS1_17partition_subalgoE5ElNS0_10empty_typeEbEEZZNS1_14partition_implILS5_5ELb0ES3_mN6hipcub16HIPCUB_304000_NS21CountingInputIteratorIllEEPS6_NSA_22TransformInputIteratorIb7NonZeroIsEPslEENS0_5tupleIJPlS6_EEENSJ_IJSD_SD_EEES6_SK_JS6_EEE10hipError_tPvRmT3_T4_T5_T6_T7_T9_mT8_P12ihipStream_tbDpT10_ENKUlT_T0_E_clISt17integral_constantIbLb0EES15_IbLb1EEEEDaS11_S12_EUlS11_E_NS1_11comp_targetILNS1_3genE4ELNS1_11target_archE910ELNS1_3gpuE8ELNS1_3repE0EEENS1_30default_config_static_selectorELNS0_4arch9wavefront6targetE0EEEvT1_
		.amdhsa_group_segment_fixed_size 0
		.amdhsa_private_segment_fixed_size 0
		.amdhsa_kernarg_size 136
		.amdhsa_user_sgpr_count 15
		.amdhsa_user_sgpr_dispatch_ptr 0
		.amdhsa_user_sgpr_queue_ptr 0
		.amdhsa_user_sgpr_kernarg_segment_ptr 1
		.amdhsa_user_sgpr_dispatch_id 0
		.amdhsa_user_sgpr_private_segment_size 0
		.amdhsa_wavefront_size32 1
		.amdhsa_uses_dynamic_stack 0
		.amdhsa_enable_private_segment 0
		.amdhsa_system_sgpr_workgroup_id_x 1
		.amdhsa_system_sgpr_workgroup_id_y 0
		.amdhsa_system_sgpr_workgroup_id_z 0
		.amdhsa_system_sgpr_workgroup_info 0
		.amdhsa_system_vgpr_workitem_id 0
		.amdhsa_next_free_vgpr 1
		.amdhsa_next_free_sgpr 1
		.amdhsa_reserve_vcc 0
		.amdhsa_float_round_mode_32 0
		.amdhsa_float_round_mode_16_64 0
		.amdhsa_float_denorm_mode_32 3
		.amdhsa_float_denorm_mode_16_64 3
		.amdhsa_dx10_clamp 1
		.amdhsa_ieee_mode 1
		.amdhsa_fp16_overflow 0
		.amdhsa_workgroup_processor_mode 1
		.amdhsa_memory_ordered 1
		.amdhsa_forward_progress 0
		.amdhsa_shared_vgpr_count 0
		.amdhsa_exception_fp_ieee_invalid_op 0
		.amdhsa_exception_fp_denorm_src 0
		.amdhsa_exception_fp_ieee_div_zero 0
		.amdhsa_exception_fp_ieee_overflow 0
		.amdhsa_exception_fp_ieee_underflow 0
		.amdhsa_exception_fp_ieee_inexact 0
		.amdhsa_exception_int_div_zero 0
	.end_amdhsa_kernel
	.section	.text._ZN7rocprim17ROCPRIM_400000_NS6detail17trampoline_kernelINS0_14default_configENS1_25partition_config_selectorILNS1_17partition_subalgoE5ElNS0_10empty_typeEbEEZZNS1_14partition_implILS5_5ELb0ES3_mN6hipcub16HIPCUB_304000_NS21CountingInputIteratorIllEEPS6_NSA_22TransformInputIteratorIb7NonZeroIsEPslEENS0_5tupleIJPlS6_EEENSJ_IJSD_SD_EEES6_SK_JS6_EEE10hipError_tPvRmT3_T4_T5_T6_T7_T9_mT8_P12ihipStream_tbDpT10_ENKUlT_T0_E_clISt17integral_constantIbLb0EES15_IbLb1EEEEDaS11_S12_EUlS11_E_NS1_11comp_targetILNS1_3genE4ELNS1_11target_archE910ELNS1_3gpuE8ELNS1_3repE0EEENS1_30default_config_static_selectorELNS0_4arch9wavefront6targetE0EEEvT1_,"axG",@progbits,_ZN7rocprim17ROCPRIM_400000_NS6detail17trampoline_kernelINS0_14default_configENS1_25partition_config_selectorILNS1_17partition_subalgoE5ElNS0_10empty_typeEbEEZZNS1_14partition_implILS5_5ELb0ES3_mN6hipcub16HIPCUB_304000_NS21CountingInputIteratorIllEEPS6_NSA_22TransformInputIteratorIb7NonZeroIsEPslEENS0_5tupleIJPlS6_EEENSJ_IJSD_SD_EEES6_SK_JS6_EEE10hipError_tPvRmT3_T4_T5_T6_T7_T9_mT8_P12ihipStream_tbDpT10_ENKUlT_T0_E_clISt17integral_constantIbLb0EES15_IbLb1EEEEDaS11_S12_EUlS11_E_NS1_11comp_targetILNS1_3genE4ELNS1_11target_archE910ELNS1_3gpuE8ELNS1_3repE0EEENS1_30default_config_static_selectorELNS0_4arch9wavefront6targetE0EEEvT1_,comdat
.Lfunc_end143:
	.size	_ZN7rocprim17ROCPRIM_400000_NS6detail17trampoline_kernelINS0_14default_configENS1_25partition_config_selectorILNS1_17partition_subalgoE5ElNS0_10empty_typeEbEEZZNS1_14partition_implILS5_5ELb0ES3_mN6hipcub16HIPCUB_304000_NS21CountingInputIteratorIllEEPS6_NSA_22TransformInputIteratorIb7NonZeroIsEPslEENS0_5tupleIJPlS6_EEENSJ_IJSD_SD_EEES6_SK_JS6_EEE10hipError_tPvRmT3_T4_T5_T6_T7_T9_mT8_P12ihipStream_tbDpT10_ENKUlT_T0_E_clISt17integral_constantIbLb0EES15_IbLb1EEEEDaS11_S12_EUlS11_E_NS1_11comp_targetILNS1_3genE4ELNS1_11target_archE910ELNS1_3gpuE8ELNS1_3repE0EEENS1_30default_config_static_selectorELNS0_4arch9wavefront6targetE0EEEvT1_, .Lfunc_end143-_ZN7rocprim17ROCPRIM_400000_NS6detail17trampoline_kernelINS0_14default_configENS1_25partition_config_selectorILNS1_17partition_subalgoE5ElNS0_10empty_typeEbEEZZNS1_14partition_implILS5_5ELb0ES3_mN6hipcub16HIPCUB_304000_NS21CountingInputIteratorIllEEPS6_NSA_22TransformInputIteratorIb7NonZeroIsEPslEENS0_5tupleIJPlS6_EEENSJ_IJSD_SD_EEES6_SK_JS6_EEE10hipError_tPvRmT3_T4_T5_T6_T7_T9_mT8_P12ihipStream_tbDpT10_ENKUlT_T0_E_clISt17integral_constantIbLb0EES15_IbLb1EEEEDaS11_S12_EUlS11_E_NS1_11comp_targetILNS1_3genE4ELNS1_11target_archE910ELNS1_3gpuE8ELNS1_3repE0EEENS1_30default_config_static_selectorELNS0_4arch9wavefront6targetE0EEEvT1_
                                        ; -- End function
	.section	.AMDGPU.csdata,"",@progbits
; Kernel info:
; codeLenInByte = 0
; NumSgprs: 0
; NumVgprs: 0
; ScratchSize: 0
; MemoryBound: 0
; FloatMode: 240
; IeeeMode: 1
; LDSByteSize: 0 bytes/workgroup (compile time only)
; SGPRBlocks: 0
; VGPRBlocks: 0
; NumSGPRsForWavesPerEU: 1
; NumVGPRsForWavesPerEU: 1
; Occupancy: 15
; WaveLimiterHint : 0
; COMPUTE_PGM_RSRC2:SCRATCH_EN: 0
; COMPUTE_PGM_RSRC2:USER_SGPR: 15
; COMPUTE_PGM_RSRC2:TRAP_HANDLER: 0
; COMPUTE_PGM_RSRC2:TGID_X_EN: 1
; COMPUTE_PGM_RSRC2:TGID_Y_EN: 0
; COMPUTE_PGM_RSRC2:TGID_Z_EN: 0
; COMPUTE_PGM_RSRC2:TIDIG_COMP_CNT: 0
	.section	.text._ZN7rocprim17ROCPRIM_400000_NS6detail17trampoline_kernelINS0_14default_configENS1_25partition_config_selectorILNS1_17partition_subalgoE5ElNS0_10empty_typeEbEEZZNS1_14partition_implILS5_5ELb0ES3_mN6hipcub16HIPCUB_304000_NS21CountingInputIteratorIllEEPS6_NSA_22TransformInputIteratorIb7NonZeroIsEPslEENS0_5tupleIJPlS6_EEENSJ_IJSD_SD_EEES6_SK_JS6_EEE10hipError_tPvRmT3_T4_T5_T6_T7_T9_mT8_P12ihipStream_tbDpT10_ENKUlT_T0_E_clISt17integral_constantIbLb0EES15_IbLb1EEEEDaS11_S12_EUlS11_E_NS1_11comp_targetILNS1_3genE3ELNS1_11target_archE908ELNS1_3gpuE7ELNS1_3repE0EEENS1_30default_config_static_selectorELNS0_4arch9wavefront6targetE0EEEvT1_,"axG",@progbits,_ZN7rocprim17ROCPRIM_400000_NS6detail17trampoline_kernelINS0_14default_configENS1_25partition_config_selectorILNS1_17partition_subalgoE5ElNS0_10empty_typeEbEEZZNS1_14partition_implILS5_5ELb0ES3_mN6hipcub16HIPCUB_304000_NS21CountingInputIteratorIllEEPS6_NSA_22TransformInputIteratorIb7NonZeroIsEPslEENS0_5tupleIJPlS6_EEENSJ_IJSD_SD_EEES6_SK_JS6_EEE10hipError_tPvRmT3_T4_T5_T6_T7_T9_mT8_P12ihipStream_tbDpT10_ENKUlT_T0_E_clISt17integral_constantIbLb0EES15_IbLb1EEEEDaS11_S12_EUlS11_E_NS1_11comp_targetILNS1_3genE3ELNS1_11target_archE908ELNS1_3gpuE7ELNS1_3repE0EEENS1_30default_config_static_selectorELNS0_4arch9wavefront6targetE0EEEvT1_,comdat
	.protected	_ZN7rocprim17ROCPRIM_400000_NS6detail17trampoline_kernelINS0_14default_configENS1_25partition_config_selectorILNS1_17partition_subalgoE5ElNS0_10empty_typeEbEEZZNS1_14partition_implILS5_5ELb0ES3_mN6hipcub16HIPCUB_304000_NS21CountingInputIteratorIllEEPS6_NSA_22TransformInputIteratorIb7NonZeroIsEPslEENS0_5tupleIJPlS6_EEENSJ_IJSD_SD_EEES6_SK_JS6_EEE10hipError_tPvRmT3_T4_T5_T6_T7_T9_mT8_P12ihipStream_tbDpT10_ENKUlT_T0_E_clISt17integral_constantIbLb0EES15_IbLb1EEEEDaS11_S12_EUlS11_E_NS1_11comp_targetILNS1_3genE3ELNS1_11target_archE908ELNS1_3gpuE7ELNS1_3repE0EEENS1_30default_config_static_selectorELNS0_4arch9wavefront6targetE0EEEvT1_ ; -- Begin function _ZN7rocprim17ROCPRIM_400000_NS6detail17trampoline_kernelINS0_14default_configENS1_25partition_config_selectorILNS1_17partition_subalgoE5ElNS0_10empty_typeEbEEZZNS1_14partition_implILS5_5ELb0ES3_mN6hipcub16HIPCUB_304000_NS21CountingInputIteratorIllEEPS6_NSA_22TransformInputIteratorIb7NonZeroIsEPslEENS0_5tupleIJPlS6_EEENSJ_IJSD_SD_EEES6_SK_JS6_EEE10hipError_tPvRmT3_T4_T5_T6_T7_T9_mT8_P12ihipStream_tbDpT10_ENKUlT_T0_E_clISt17integral_constantIbLb0EES15_IbLb1EEEEDaS11_S12_EUlS11_E_NS1_11comp_targetILNS1_3genE3ELNS1_11target_archE908ELNS1_3gpuE7ELNS1_3repE0EEENS1_30default_config_static_selectorELNS0_4arch9wavefront6targetE0EEEvT1_
	.globl	_ZN7rocprim17ROCPRIM_400000_NS6detail17trampoline_kernelINS0_14default_configENS1_25partition_config_selectorILNS1_17partition_subalgoE5ElNS0_10empty_typeEbEEZZNS1_14partition_implILS5_5ELb0ES3_mN6hipcub16HIPCUB_304000_NS21CountingInputIteratorIllEEPS6_NSA_22TransformInputIteratorIb7NonZeroIsEPslEENS0_5tupleIJPlS6_EEENSJ_IJSD_SD_EEES6_SK_JS6_EEE10hipError_tPvRmT3_T4_T5_T6_T7_T9_mT8_P12ihipStream_tbDpT10_ENKUlT_T0_E_clISt17integral_constantIbLb0EES15_IbLb1EEEEDaS11_S12_EUlS11_E_NS1_11comp_targetILNS1_3genE3ELNS1_11target_archE908ELNS1_3gpuE7ELNS1_3repE0EEENS1_30default_config_static_selectorELNS0_4arch9wavefront6targetE0EEEvT1_
	.p2align	8
	.type	_ZN7rocprim17ROCPRIM_400000_NS6detail17trampoline_kernelINS0_14default_configENS1_25partition_config_selectorILNS1_17partition_subalgoE5ElNS0_10empty_typeEbEEZZNS1_14partition_implILS5_5ELb0ES3_mN6hipcub16HIPCUB_304000_NS21CountingInputIteratorIllEEPS6_NSA_22TransformInputIteratorIb7NonZeroIsEPslEENS0_5tupleIJPlS6_EEENSJ_IJSD_SD_EEES6_SK_JS6_EEE10hipError_tPvRmT3_T4_T5_T6_T7_T9_mT8_P12ihipStream_tbDpT10_ENKUlT_T0_E_clISt17integral_constantIbLb0EES15_IbLb1EEEEDaS11_S12_EUlS11_E_NS1_11comp_targetILNS1_3genE3ELNS1_11target_archE908ELNS1_3gpuE7ELNS1_3repE0EEENS1_30default_config_static_selectorELNS0_4arch9wavefront6targetE0EEEvT1_,@function
_ZN7rocprim17ROCPRIM_400000_NS6detail17trampoline_kernelINS0_14default_configENS1_25partition_config_selectorILNS1_17partition_subalgoE5ElNS0_10empty_typeEbEEZZNS1_14partition_implILS5_5ELb0ES3_mN6hipcub16HIPCUB_304000_NS21CountingInputIteratorIllEEPS6_NSA_22TransformInputIteratorIb7NonZeroIsEPslEENS0_5tupleIJPlS6_EEENSJ_IJSD_SD_EEES6_SK_JS6_EEE10hipError_tPvRmT3_T4_T5_T6_T7_T9_mT8_P12ihipStream_tbDpT10_ENKUlT_T0_E_clISt17integral_constantIbLb0EES15_IbLb1EEEEDaS11_S12_EUlS11_E_NS1_11comp_targetILNS1_3genE3ELNS1_11target_archE908ELNS1_3gpuE7ELNS1_3repE0EEENS1_30default_config_static_selectorELNS0_4arch9wavefront6targetE0EEEvT1_: ; @_ZN7rocprim17ROCPRIM_400000_NS6detail17trampoline_kernelINS0_14default_configENS1_25partition_config_selectorILNS1_17partition_subalgoE5ElNS0_10empty_typeEbEEZZNS1_14partition_implILS5_5ELb0ES3_mN6hipcub16HIPCUB_304000_NS21CountingInputIteratorIllEEPS6_NSA_22TransformInputIteratorIb7NonZeroIsEPslEENS0_5tupleIJPlS6_EEENSJ_IJSD_SD_EEES6_SK_JS6_EEE10hipError_tPvRmT3_T4_T5_T6_T7_T9_mT8_P12ihipStream_tbDpT10_ENKUlT_T0_E_clISt17integral_constantIbLb0EES15_IbLb1EEEEDaS11_S12_EUlS11_E_NS1_11comp_targetILNS1_3genE3ELNS1_11target_archE908ELNS1_3gpuE7ELNS1_3repE0EEENS1_30default_config_static_selectorELNS0_4arch9wavefront6targetE0EEEvT1_
; %bb.0:
	.section	.rodata,"a",@progbits
	.p2align	6, 0x0
	.amdhsa_kernel _ZN7rocprim17ROCPRIM_400000_NS6detail17trampoline_kernelINS0_14default_configENS1_25partition_config_selectorILNS1_17partition_subalgoE5ElNS0_10empty_typeEbEEZZNS1_14partition_implILS5_5ELb0ES3_mN6hipcub16HIPCUB_304000_NS21CountingInputIteratorIllEEPS6_NSA_22TransformInputIteratorIb7NonZeroIsEPslEENS0_5tupleIJPlS6_EEENSJ_IJSD_SD_EEES6_SK_JS6_EEE10hipError_tPvRmT3_T4_T5_T6_T7_T9_mT8_P12ihipStream_tbDpT10_ENKUlT_T0_E_clISt17integral_constantIbLb0EES15_IbLb1EEEEDaS11_S12_EUlS11_E_NS1_11comp_targetILNS1_3genE3ELNS1_11target_archE908ELNS1_3gpuE7ELNS1_3repE0EEENS1_30default_config_static_selectorELNS0_4arch9wavefront6targetE0EEEvT1_
		.amdhsa_group_segment_fixed_size 0
		.amdhsa_private_segment_fixed_size 0
		.amdhsa_kernarg_size 136
		.amdhsa_user_sgpr_count 15
		.amdhsa_user_sgpr_dispatch_ptr 0
		.amdhsa_user_sgpr_queue_ptr 0
		.amdhsa_user_sgpr_kernarg_segment_ptr 1
		.amdhsa_user_sgpr_dispatch_id 0
		.amdhsa_user_sgpr_private_segment_size 0
		.amdhsa_wavefront_size32 1
		.amdhsa_uses_dynamic_stack 0
		.amdhsa_enable_private_segment 0
		.amdhsa_system_sgpr_workgroup_id_x 1
		.amdhsa_system_sgpr_workgroup_id_y 0
		.amdhsa_system_sgpr_workgroup_id_z 0
		.amdhsa_system_sgpr_workgroup_info 0
		.amdhsa_system_vgpr_workitem_id 0
		.amdhsa_next_free_vgpr 1
		.amdhsa_next_free_sgpr 1
		.amdhsa_reserve_vcc 0
		.amdhsa_float_round_mode_32 0
		.amdhsa_float_round_mode_16_64 0
		.amdhsa_float_denorm_mode_32 3
		.amdhsa_float_denorm_mode_16_64 3
		.amdhsa_dx10_clamp 1
		.amdhsa_ieee_mode 1
		.amdhsa_fp16_overflow 0
		.amdhsa_workgroup_processor_mode 1
		.amdhsa_memory_ordered 1
		.amdhsa_forward_progress 0
		.amdhsa_shared_vgpr_count 0
		.amdhsa_exception_fp_ieee_invalid_op 0
		.amdhsa_exception_fp_denorm_src 0
		.amdhsa_exception_fp_ieee_div_zero 0
		.amdhsa_exception_fp_ieee_overflow 0
		.amdhsa_exception_fp_ieee_underflow 0
		.amdhsa_exception_fp_ieee_inexact 0
		.amdhsa_exception_int_div_zero 0
	.end_amdhsa_kernel
	.section	.text._ZN7rocprim17ROCPRIM_400000_NS6detail17trampoline_kernelINS0_14default_configENS1_25partition_config_selectorILNS1_17partition_subalgoE5ElNS0_10empty_typeEbEEZZNS1_14partition_implILS5_5ELb0ES3_mN6hipcub16HIPCUB_304000_NS21CountingInputIteratorIllEEPS6_NSA_22TransformInputIteratorIb7NonZeroIsEPslEENS0_5tupleIJPlS6_EEENSJ_IJSD_SD_EEES6_SK_JS6_EEE10hipError_tPvRmT3_T4_T5_T6_T7_T9_mT8_P12ihipStream_tbDpT10_ENKUlT_T0_E_clISt17integral_constantIbLb0EES15_IbLb1EEEEDaS11_S12_EUlS11_E_NS1_11comp_targetILNS1_3genE3ELNS1_11target_archE908ELNS1_3gpuE7ELNS1_3repE0EEENS1_30default_config_static_selectorELNS0_4arch9wavefront6targetE0EEEvT1_,"axG",@progbits,_ZN7rocprim17ROCPRIM_400000_NS6detail17trampoline_kernelINS0_14default_configENS1_25partition_config_selectorILNS1_17partition_subalgoE5ElNS0_10empty_typeEbEEZZNS1_14partition_implILS5_5ELb0ES3_mN6hipcub16HIPCUB_304000_NS21CountingInputIteratorIllEEPS6_NSA_22TransformInputIteratorIb7NonZeroIsEPslEENS0_5tupleIJPlS6_EEENSJ_IJSD_SD_EEES6_SK_JS6_EEE10hipError_tPvRmT3_T4_T5_T6_T7_T9_mT8_P12ihipStream_tbDpT10_ENKUlT_T0_E_clISt17integral_constantIbLb0EES15_IbLb1EEEEDaS11_S12_EUlS11_E_NS1_11comp_targetILNS1_3genE3ELNS1_11target_archE908ELNS1_3gpuE7ELNS1_3repE0EEENS1_30default_config_static_selectorELNS0_4arch9wavefront6targetE0EEEvT1_,comdat
.Lfunc_end144:
	.size	_ZN7rocprim17ROCPRIM_400000_NS6detail17trampoline_kernelINS0_14default_configENS1_25partition_config_selectorILNS1_17partition_subalgoE5ElNS0_10empty_typeEbEEZZNS1_14partition_implILS5_5ELb0ES3_mN6hipcub16HIPCUB_304000_NS21CountingInputIteratorIllEEPS6_NSA_22TransformInputIteratorIb7NonZeroIsEPslEENS0_5tupleIJPlS6_EEENSJ_IJSD_SD_EEES6_SK_JS6_EEE10hipError_tPvRmT3_T4_T5_T6_T7_T9_mT8_P12ihipStream_tbDpT10_ENKUlT_T0_E_clISt17integral_constantIbLb0EES15_IbLb1EEEEDaS11_S12_EUlS11_E_NS1_11comp_targetILNS1_3genE3ELNS1_11target_archE908ELNS1_3gpuE7ELNS1_3repE0EEENS1_30default_config_static_selectorELNS0_4arch9wavefront6targetE0EEEvT1_, .Lfunc_end144-_ZN7rocprim17ROCPRIM_400000_NS6detail17trampoline_kernelINS0_14default_configENS1_25partition_config_selectorILNS1_17partition_subalgoE5ElNS0_10empty_typeEbEEZZNS1_14partition_implILS5_5ELb0ES3_mN6hipcub16HIPCUB_304000_NS21CountingInputIteratorIllEEPS6_NSA_22TransformInputIteratorIb7NonZeroIsEPslEENS0_5tupleIJPlS6_EEENSJ_IJSD_SD_EEES6_SK_JS6_EEE10hipError_tPvRmT3_T4_T5_T6_T7_T9_mT8_P12ihipStream_tbDpT10_ENKUlT_T0_E_clISt17integral_constantIbLb0EES15_IbLb1EEEEDaS11_S12_EUlS11_E_NS1_11comp_targetILNS1_3genE3ELNS1_11target_archE908ELNS1_3gpuE7ELNS1_3repE0EEENS1_30default_config_static_selectorELNS0_4arch9wavefront6targetE0EEEvT1_
                                        ; -- End function
	.section	.AMDGPU.csdata,"",@progbits
; Kernel info:
; codeLenInByte = 0
; NumSgprs: 0
; NumVgprs: 0
; ScratchSize: 0
; MemoryBound: 0
; FloatMode: 240
; IeeeMode: 1
; LDSByteSize: 0 bytes/workgroup (compile time only)
; SGPRBlocks: 0
; VGPRBlocks: 0
; NumSGPRsForWavesPerEU: 1
; NumVGPRsForWavesPerEU: 1
; Occupancy: 16
; WaveLimiterHint : 0
; COMPUTE_PGM_RSRC2:SCRATCH_EN: 0
; COMPUTE_PGM_RSRC2:USER_SGPR: 15
; COMPUTE_PGM_RSRC2:TRAP_HANDLER: 0
; COMPUTE_PGM_RSRC2:TGID_X_EN: 1
; COMPUTE_PGM_RSRC2:TGID_Y_EN: 0
; COMPUTE_PGM_RSRC2:TGID_Z_EN: 0
; COMPUTE_PGM_RSRC2:TIDIG_COMP_CNT: 0
	.section	.text._ZN7rocprim17ROCPRIM_400000_NS6detail17trampoline_kernelINS0_14default_configENS1_25partition_config_selectorILNS1_17partition_subalgoE5ElNS0_10empty_typeEbEEZZNS1_14partition_implILS5_5ELb0ES3_mN6hipcub16HIPCUB_304000_NS21CountingInputIteratorIllEEPS6_NSA_22TransformInputIteratorIb7NonZeroIsEPslEENS0_5tupleIJPlS6_EEENSJ_IJSD_SD_EEES6_SK_JS6_EEE10hipError_tPvRmT3_T4_T5_T6_T7_T9_mT8_P12ihipStream_tbDpT10_ENKUlT_T0_E_clISt17integral_constantIbLb0EES15_IbLb1EEEEDaS11_S12_EUlS11_E_NS1_11comp_targetILNS1_3genE2ELNS1_11target_archE906ELNS1_3gpuE6ELNS1_3repE0EEENS1_30default_config_static_selectorELNS0_4arch9wavefront6targetE0EEEvT1_,"axG",@progbits,_ZN7rocprim17ROCPRIM_400000_NS6detail17trampoline_kernelINS0_14default_configENS1_25partition_config_selectorILNS1_17partition_subalgoE5ElNS0_10empty_typeEbEEZZNS1_14partition_implILS5_5ELb0ES3_mN6hipcub16HIPCUB_304000_NS21CountingInputIteratorIllEEPS6_NSA_22TransformInputIteratorIb7NonZeroIsEPslEENS0_5tupleIJPlS6_EEENSJ_IJSD_SD_EEES6_SK_JS6_EEE10hipError_tPvRmT3_T4_T5_T6_T7_T9_mT8_P12ihipStream_tbDpT10_ENKUlT_T0_E_clISt17integral_constantIbLb0EES15_IbLb1EEEEDaS11_S12_EUlS11_E_NS1_11comp_targetILNS1_3genE2ELNS1_11target_archE906ELNS1_3gpuE6ELNS1_3repE0EEENS1_30default_config_static_selectorELNS0_4arch9wavefront6targetE0EEEvT1_,comdat
	.protected	_ZN7rocprim17ROCPRIM_400000_NS6detail17trampoline_kernelINS0_14default_configENS1_25partition_config_selectorILNS1_17partition_subalgoE5ElNS0_10empty_typeEbEEZZNS1_14partition_implILS5_5ELb0ES3_mN6hipcub16HIPCUB_304000_NS21CountingInputIteratorIllEEPS6_NSA_22TransformInputIteratorIb7NonZeroIsEPslEENS0_5tupleIJPlS6_EEENSJ_IJSD_SD_EEES6_SK_JS6_EEE10hipError_tPvRmT3_T4_T5_T6_T7_T9_mT8_P12ihipStream_tbDpT10_ENKUlT_T0_E_clISt17integral_constantIbLb0EES15_IbLb1EEEEDaS11_S12_EUlS11_E_NS1_11comp_targetILNS1_3genE2ELNS1_11target_archE906ELNS1_3gpuE6ELNS1_3repE0EEENS1_30default_config_static_selectorELNS0_4arch9wavefront6targetE0EEEvT1_ ; -- Begin function _ZN7rocprim17ROCPRIM_400000_NS6detail17trampoline_kernelINS0_14default_configENS1_25partition_config_selectorILNS1_17partition_subalgoE5ElNS0_10empty_typeEbEEZZNS1_14partition_implILS5_5ELb0ES3_mN6hipcub16HIPCUB_304000_NS21CountingInputIteratorIllEEPS6_NSA_22TransformInputIteratorIb7NonZeroIsEPslEENS0_5tupleIJPlS6_EEENSJ_IJSD_SD_EEES6_SK_JS6_EEE10hipError_tPvRmT3_T4_T5_T6_T7_T9_mT8_P12ihipStream_tbDpT10_ENKUlT_T0_E_clISt17integral_constantIbLb0EES15_IbLb1EEEEDaS11_S12_EUlS11_E_NS1_11comp_targetILNS1_3genE2ELNS1_11target_archE906ELNS1_3gpuE6ELNS1_3repE0EEENS1_30default_config_static_selectorELNS0_4arch9wavefront6targetE0EEEvT1_
	.globl	_ZN7rocprim17ROCPRIM_400000_NS6detail17trampoline_kernelINS0_14default_configENS1_25partition_config_selectorILNS1_17partition_subalgoE5ElNS0_10empty_typeEbEEZZNS1_14partition_implILS5_5ELb0ES3_mN6hipcub16HIPCUB_304000_NS21CountingInputIteratorIllEEPS6_NSA_22TransformInputIteratorIb7NonZeroIsEPslEENS0_5tupleIJPlS6_EEENSJ_IJSD_SD_EEES6_SK_JS6_EEE10hipError_tPvRmT3_T4_T5_T6_T7_T9_mT8_P12ihipStream_tbDpT10_ENKUlT_T0_E_clISt17integral_constantIbLb0EES15_IbLb1EEEEDaS11_S12_EUlS11_E_NS1_11comp_targetILNS1_3genE2ELNS1_11target_archE906ELNS1_3gpuE6ELNS1_3repE0EEENS1_30default_config_static_selectorELNS0_4arch9wavefront6targetE0EEEvT1_
	.p2align	8
	.type	_ZN7rocprim17ROCPRIM_400000_NS6detail17trampoline_kernelINS0_14default_configENS1_25partition_config_selectorILNS1_17partition_subalgoE5ElNS0_10empty_typeEbEEZZNS1_14partition_implILS5_5ELb0ES3_mN6hipcub16HIPCUB_304000_NS21CountingInputIteratorIllEEPS6_NSA_22TransformInputIteratorIb7NonZeroIsEPslEENS0_5tupleIJPlS6_EEENSJ_IJSD_SD_EEES6_SK_JS6_EEE10hipError_tPvRmT3_T4_T5_T6_T7_T9_mT8_P12ihipStream_tbDpT10_ENKUlT_T0_E_clISt17integral_constantIbLb0EES15_IbLb1EEEEDaS11_S12_EUlS11_E_NS1_11comp_targetILNS1_3genE2ELNS1_11target_archE906ELNS1_3gpuE6ELNS1_3repE0EEENS1_30default_config_static_selectorELNS0_4arch9wavefront6targetE0EEEvT1_,@function
_ZN7rocprim17ROCPRIM_400000_NS6detail17trampoline_kernelINS0_14default_configENS1_25partition_config_selectorILNS1_17partition_subalgoE5ElNS0_10empty_typeEbEEZZNS1_14partition_implILS5_5ELb0ES3_mN6hipcub16HIPCUB_304000_NS21CountingInputIteratorIllEEPS6_NSA_22TransformInputIteratorIb7NonZeroIsEPslEENS0_5tupleIJPlS6_EEENSJ_IJSD_SD_EEES6_SK_JS6_EEE10hipError_tPvRmT3_T4_T5_T6_T7_T9_mT8_P12ihipStream_tbDpT10_ENKUlT_T0_E_clISt17integral_constantIbLb0EES15_IbLb1EEEEDaS11_S12_EUlS11_E_NS1_11comp_targetILNS1_3genE2ELNS1_11target_archE906ELNS1_3gpuE6ELNS1_3repE0EEENS1_30default_config_static_selectorELNS0_4arch9wavefront6targetE0EEEvT1_: ; @_ZN7rocprim17ROCPRIM_400000_NS6detail17trampoline_kernelINS0_14default_configENS1_25partition_config_selectorILNS1_17partition_subalgoE5ElNS0_10empty_typeEbEEZZNS1_14partition_implILS5_5ELb0ES3_mN6hipcub16HIPCUB_304000_NS21CountingInputIteratorIllEEPS6_NSA_22TransformInputIteratorIb7NonZeroIsEPslEENS0_5tupleIJPlS6_EEENSJ_IJSD_SD_EEES6_SK_JS6_EEE10hipError_tPvRmT3_T4_T5_T6_T7_T9_mT8_P12ihipStream_tbDpT10_ENKUlT_T0_E_clISt17integral_constantIbLb0EES15_IbLb1EEEEDaS11_S12_EUlS11_E_NS1_11comp_targetILNS1_3genE2ELNS1_11target_archE906ELNS1_3gpuE6ELNS1_3repE0EEENS1_30default_config_static_selectorELNS0_4arch9wavefront6targetE0EEEvT1_
; %bb.0:
	.section	.rodata,"a",@progbits
	.p2align	6, 0x0
	.amdhsa_kernel _ZN7rocprim17ROCPRIM_400000_NS6detail17trampoline_kernelINS0_14default_configENS1_25partition_config_selectorILNS1_17partition_subalgoE5ElNS0_10empty_typeEbEEZZNS1_14partition_implILS5_5ELb0ES3_mN6hipcub16HIPCUB_304000_NS21CountingInputIteratorIllEEPS6_NSA_22TransformInputIteratorIb7NonZeroIsEPslEENS0_5tupleIJPlS6_EEENSJ_IJSD_SD_EEES6_SK_JS6_EEE10hipError_tPvRmT3_T4_T5_T6_T7_T9_mT8_P12ihipStream_tbDpT10_ENKUlT_T0_E_clISt17integral_constantIbLb0EES15_IbLb1EEEEDaS11_S12_EUlS11_E_NS1_11comp_targetILNS1_3genE2ELNS1_11target_archE906ELNS1_3gpuE6ELNS1_3repE0EEENS1_30default_config_static_selectorELNS0_4arch9wavefront6targetE0EEEvT1_
		.amdhsa_group_segment_fixed_size 0
		.amdhsa_private_segment_fixed_size 0
		.amdhsa_kernarg_size 136
		.amdhsa_user_sgpr_count 15
		.amdhsa_user_sgpr_dispatch_ptr 0
		.amdhsa_user_sgpr_queue_ptr 0
		.amdhsa_user_sgpr_kernarg_segment_ptr 1
		.amdhsa_user_sgpr_dispatch_id 0
		.amdhsa_user_sgpr_private_segment_size 0
		.amdhsa_wavefront_size32 1
		.amdhsa_uses_dynamic_stack 0
		.amdhsa_enable_private_segment 0
		.amdhsa_system_sgpr_workgroup_id_x 1
		.amdhsa_system_sgpr_workgroup_id_y 0
		.amdhsa_system_sgpr_workgroup_id_z 0
		.amdhsa_system_sgpr_workgroup_info 0
		.amdhsa_system_vgpr_workitem_id 0
		.amdhsa_next_free_vgpr 1
		.amdhsa_next_free_sgpr 1
		.amdhsa_reserve_vcc 0
		.amdhsa_float_round_mode_32 0
		.amdhsa_float_round_mode_16_64 0
		.amdhsa_float_denorm_mode_32 3
		.amdhsa_float_denorm_mode_16_64 3
		.amdhsa_dx10_clamp 1
		.amdhsa_ieee_mode 1
		.amdhsa_fp16_overflow 0
		.amdhsa_workgroup_processor_mode 1
		.amdhsa_memory_ordered 1
		.amdhsa_forward_progress 0
		.amdhsa_shared_vgpr_count 0
		.amdhsa_exception_fp_ieee_invalid_op 0
		.amdhsa_exception_fp_denorm_src 0
		.amdhsa_exception_fp_ieee_div_zero 0
		.amdhsa_exception_fp_ieee_overflow 0
		.amdhsa_exception_fp_ieee_underflow 0
		.amdhsa_exception_fp_ieee_inexact 0
		.amdhsa_exception_int_div_zero 0
	.end_amdhsa_kernel
	.section	.text._ZN7rocprim17ROCPRIM_400000_NS6detail17trampoline_kernelINS0_14default_configENS1_25partition_config_selectorILNS1_17partition_subalgoE5ElNS0_10empty_typeEbEEZZNS1_14partition_implILS5_5ELb0ES3_mN6hipcub16HIPCUB_304000_NS21CountingInputIteratorIllEEPS6_NSA_22TransformInputIteratorIb7NonZeroIsEPslEENS0_5tupleIJPlS6_EEENSJ_IJSD_SD_EEES6_SK_JS6_EEE10hipError_tPvRmT3_T4_T5_T6_T7_T9_mT8_P12ihipStream_tbDpT10_ENKUlT_T0_E_clISt17integral_constantIbLb0EES15_IbLb1EEEEDaS11_S12_EUlS11_E_NS1_11comp_targetILNS1_3genE2ELNS1_11target_archE906ELNS1_3gpuE6ELNS1_3repE0EEENS1_30default_config_static_selectorELNS0_4arch9wavefront6targetE0EEEvT1_,"axG",@progbits,_ZN7rocprim17ROCPRIM_400000_NS6detail17trampoline_kernelINS0_14default_configENS1_25partition_config_selectorILNS1_17partition_subalgoE5ElNS0_10empty_typeEbEEZZNS1_14partition_implILS5_5ELb0ES3_mN6hipcub16HIPCUB_304000_NS21CountingInputIteratorIllEEPS6_NSA_22TransformInputIteratorIb7NonZeroIsEPslEENS0_5tupleIJPlS6_EEENSJ_IJSD_SD_EEES6_SK_JS6_EEE10hipError_tPvRmT3_T4_T5_T6_T7_T9_mT8_P12ihipStream_tbDpT10_ENKUlT_T0_E_clISt17integral_constantIbLb0EES15_IbLb1EEEEDaS11_S12_EUlS11_E_NS1_11comp_targetILNS1_3genE2ELNS1_11target_archE906ELNS1_3gpuE6ELNS1_3repE0EEENS1_30default_config_static_selectorELNS0_4arch9wavefront6targetE0EEEvT1_,comdat
.Lfunc_end145:
	.size	_ZN7rocprim17ROCPRIM_400000_NS6detail17trampoline_kernelINS0_14default_configENS1_25partition_config_selectorILNS1_17partition_subalgoE5ElNS0_10empty_typeEbEEZZNS1_14partition_implILS5_5ELb0ES3_mN6hipcub16HIPCUB_304000_NS21CountingInputIteratorIllEEPS6_NSA_22TransformInputIteratorIb7NonZeroIsEPslEENS0_5tupleIJPlS6_EEENSJ_IJSD_SD_EEES6_SK_JS6_EEE10hipError_tPvRmT3_T4_T5_T6_T7_T9_mT8_P12ihipStream_tbDpT10_ENKUlT_T0_E_clISt17integral_constantIbLb0EES15_IbLb1EEEEDaS11_S12_EUlS11_E_NS1_11comp_targetILNS1_3genE2ELNS1_11target_archE906ELNS1_3gpuE6ELNS1_3repE0EEENS1_30default_config_static_selectorELNS0_4arch9wavefront6targetE0EEEvT1_, .Lfunc_end145-_ZN7rocprim17ROCPRIM_400000_NS6detail17trampoline_kernelINS0_14default_configENS1_25partition_config_selectorILNS1_17partition_subalgoE5ElNS0_10empty_typeEbEEZZNS1_14partition_implILS5_5ELb0ES3_mN6hipcub16HIPCUB_304000_NS21CountingInputIteratorIllEEPS6_NSA_22TransformInputIteratorIb7NonZeroIsEPslEENS0_5tupleIJPlS6_EEENSJ_IJSD_SD_EEES6_SK_JS6_EEE10hipError_tPvRmT3_T4_T5_T6_T7_T9_mT8_P12ihipStream_tbDpT10_ENKUlT_T0_E_clISt17integral_constantIbLb0EES15_IbLb1EEEEDaS11_S12_EUlS11_E_NS1_11comp_targetILNS1_3genE2ELNS1_11target_archE906ELNS1_3gpuE6ELNS1_3repE0EEENS1_30default_config_static_selectorELNS0_4arch9wavefront6targetE0EEEvT1_
                                        ; -- End function
	.section	.AMDGPU.csdata,"",@progbits
; Kernel info:
; codeLenInByte = 0
; NumSgprs: 0
; NumVgprs: 0
; ScratchSize: 0
; MemoryBound: 0
; FloatMode: 240
; IeeeMode: 1
; LDSByteSize: 0 bytes/workgroup (compile time only)
; SGPRBlocks: 0
; VGPRBlocks: 0
; NumSGPRsForWavesPerEU: 1
; NumVGPRsForWavesPerEU: 1
; Occupancy: 16
; WaveLimiterHint : 0
; COMPUTE_PGM_RSRC2:SCRATCH_EN: 0
; COMPUTE_PGM_RSRC2:USER_SGPR: 15
; COMPUTE_PGM_RSRC2:TRAP_HANDLER: 0
; COMPUTE_PGM_RSRC2:TGID_X_EN: 1
; COMPUTE_PGM_RSRC2:TGID_Y_EN: 0
; COMPUTE_PGM_RSRC2:TGID_Z_EN: 0
; COMPUTE_PGM_RSRC2:TIDIG_COMP_CNT: 0
	.section	.text._ZN7rocprim17ROCPRIM_400000_NS6detail17trampoline_kernelINS0_14default_configENS1_25partition_config_selectorILNS1_17partition_subalgoE5ElNS0_10empty_typeEbEEZZNS1_14partition_implILS5_5ELb0ES3_mN6hipcub16HIPCUB_304000_NS21CountingInputIteratorIllEEPS6_NSA_22TransformInputIteratorIb7NonZeroIsEPslEENS0_5tupleIJPlS6_EEENSJ_IJSD_SD_EEES6_SK_JS6_EEE10hipError_tPvRmT3_T4_T5_T6_T7_T9_mT8_P12ihipStream_tbDpT10_ENKUlT_T0_E_clISt17integral_constantIbLb0EES15_IbLb1EEEEDaS11_S12_EUlS11_E_NS1_11comp_targetILNS1_3genE10ELNS1_11target_archE1200ELNS1_3gpuE4ELNS1_3repE0EEENS1_30default_config_static_selectorELNS0_4arch9wavefront6targetE0EEEvT1_,"axG",@progbits,_ZN7rocprim17ROCPRIM_400000_NS6detail17trampoline_kernelINS0_14default_configENS1_25partition_config_selectorILNS1_17partition_subalgoE5ElNS0_10empty_typeEbEEZZNS1_14partition_implILS5_5ELb0ES3_mN6hipcub16HIPCUB_304000_NS21CountingInputIteratorIllEEPS6_NSA_22TransformInputIteratorIb7NonZeroIsEPslEENS0_5tupleIJPlS6_EEENSJ_IJSD_SD_EEES6_SK_JS6_EEE10hipError_tPvRmT3_T4_T5_T6_T7_T9_mT8_P12ihipStream_tbDpT10_ENKUlT_T0_E_clISt17integral_constantIbLb0EES15_IbLb1EEEEDaS11_S12_EUlS11_E_NS1_11comp_targetILNS1_3genE10ELNS1_11target_archE1200ELNS1_3gpuE4ELNS1_3repE0EEENS1_30default_config_static_selectorELNS0_4arch9wavefront6targetE0EEEvT1_,comdat
	.protected	_ZN7rocprim17ROCPRIM_400000_NS6detail17trampoline_kernelINS0_14default_configENS1_25partition_config_selectorILNS1_17partition_subalgoE5ElNS0_10empty_typeEbEEZZNS1_14partition_implILS5_5ELb0ES3_mN6hipcub16HIPCUB_304000_NS21CountingInputIteratorIllEEPS6_NSA_22TransformInputIteratorIb7NonZeroIsEPslEENS0_5tupleIJPlS6_EEENSJ_IJSD_SD_EEES6_SK_JS6_EEE10hipError_tPvRmT3_T4_T5_T6_T7_T9_mT8_P12ihipStream_tbDpT10_ENKUlT_T0_E_clISt17integral_constantIbLb0EES15_IbLb1EEEEDaS11_S12_EUlS11_E_NS1_11comp_targetILNS1_3genE10ELNS1_11target_archE1200ELNS1_3gpuE4ELNS1_3repE0EEENS1_30default_config_static_selectorELNS0_4arch9wavefront6targetE0EEEvT1_ ; -- Begin function _ZN7rocprim17ROCPRIM_400000_NS6detail17trampoline_kernelINS0_14default_configENS1_25partition_config_selectorILNS1_17partition_subalgoE5ElNS0_10empty_typeEbEEZZNS1_14partition_implILS5_5ELb0ES3_mN6hipcub16HIPCUB_304000_NS21CountingInputIteratorIllEEPS6_NSA_22TransformInputIteratorIb7NonZeroIsEPslEENS0_5tupleIJPlS6_EEENSJ_IJSD_SD_EEES6_SK_JS6_EEE10hipError_tPvRmT3_T4_T5_T6_T7_T9_mT8_P12ihipStream_tbDpT10_ENKUlT_T0_E_clISt17integral_constantIbLb0EES15_IbLb1EEEEDaS11_S12_EUlS11_E_NS1_11comp_targetILNS1_3genE10ELNS1_11target_archE1200ELNS1_3gpuE4ELNS1_3repE0EEENS1_30default_config_static_selectorELNS0_4arch9wavefront6targetE0EEEvT1_
	.globl	_ZN7rocprim17ROCPRIM_400000_NS6detail17trampoline_kernelINS0_14default_configENS1_25partition_config_selectorILNS1_17partition_subalgoE5ElNS0_10empty_typeEbEEZZNS1_14partition_implILS5_5ELb0ES3_mN6hipcub16HIPCUB_304000_NS21CountingInputIteratorIllEEPS6_NSA_22TransformInputIteratorIb7NonZeroIsEPslEENS0_5tupleIJPlS6_EEENSJ_IJSD_SD_EEES6_SK_JS6_EEE10hipError_tPvRmT3_T4_T5_T6_T7_T9_mT8_P12ihipStream_tbDpT10_ENKUlT_T0_E_clISt17integral_constantIbLb0EES15_IbLb1EEEEDaS11_S12_EUlS11_E_NS1_11comp_targetILNS1_3genE10ELNS1_11target_archE1200ELNS1_3gpuE4ELNS1_3repE0EEENS1_30default_config_static_selectorELNS0_4arch9wavefront6targetE0EEEvT1_
	.p2align	8
	.type	_ZN7rocprim17ROCPRIM_400000_NS6detail17trampoline_kernelINS0_14default_configENS1_25partition_config_selectorILNS1_17partition_subalgoE5ElNS0_10empty_typeEbEEZZNS1_14partition_implILS5_5ELb0ES3_mN6hipcub16HIPCUB_304000_NS21CountingInputIteratorIllEEPS6_NSA_22TransformInputIteratorIb7NonZeroIsEPslEENS0_5tupleIJPlS6_EEENSJ_IJSD_SD_EEES6_SK_JS6_EEE10hipError_tPvRmT3_T4_T5_T6_T7_T9_mT8_P12ihipStream_tbDpT10_ENKUlT_T0_E_clISt17integral_constantIbLb0EES15_IbLb1EEEEDaS11_S12_EUlS11_E_NS1_11comp_targetILNS1_3genE10ELNS1_11target_archE1200ELNS1_3gpuE4ELNS1_3repE0EEENS1_30default_config_static_selectorELNS0_4arch9wavefront6targetE0EEEvT1_,@function
_ZN7rocprim17ROCPRIM_400000_NS6detail17trampoline_kernelINS0_14default_configENS1_25partition_config_selectorILNS1_17partition_subalgoE5ElNS0_10empty_typeEbEEZZNS1_14partition_implILS5_5ELb0ES3_mN6hipcub16HIPCUB_304000_NS21CountingInputIteratorIllEEPS6_NSA_22TransformInputIteratorIb7NonZeroIsEPslEENS0_5tupleIJPlS6_EEENSJ_IJSD_SD_EEES6_SK_JS6_EEE10hipError_tPvRmT3_T4_T5_T6_T7_T9_mT8_P12ihipStream_tbDpT10_ENKUlT_T0_E_clISt17integral_constantIbLb0EES15_IbLb1EEEEDaS11_S12_EUlS11_E_NS1_11comp_targetILNS1_3genE10ELNS1_11target_archE1200ELNS1_3gpuE4ELNS1_3repE0EEENS1_30default_config_static_selectorELNS0_4arch9wavefront6targetE0EEEvT1_: ; @_ZN7rocprim17ROCPRIM_400000_NS6detail17trampoline_kernelINS0_14default_configENS1_25partition_config_selectorILNS1_17partition_subalgoE5ElNS0_10empty_typeEbEEZZNS1_14partition_implILS5_5ELb0ES3_mN6hipcub16HIPCUB_304000_NS21CountingInputIteratorIllEEPS6_NSA_22TransformInputIteratorIb7NonZeroIsEPslEENS0_5tupleIJPlS6_EEENSJ_IJSD_SD_EEES6_SK_JS6_EEE10hipError_tPvRmT3_T4_T5_T6_T7_T9_mT8_P12ihipStream_tbDpT10_ENKUlT_T0_E_clISt17integral_constantIbLb0EES15_IbLb1EEEEDaS11_S12_EUlS11_E_NS1_11comp_targetILNS1_3genE10ELNS1_11target_archE1200ELNS1_3gpuE4ELNS1_3repE0EEENS1_30default_config_static_selectorELNS0_4arch9wavefront6targetE0EEEvT1_
; %bb.0:
	.section	.rodata,"a",@progbits
	.p2align	6, 0x0
	.amdhsa_kernel _ZN7rocprim17ROCPRIM_400000_NS6detail17trampoline_kernelINS0_14default_configENS1_25partition_config_selectorILNS1_17partition_subalgoE5ElNS0_10empty_typeEbEEZZNS1_14partition_implILS5_5ELb0ES3_mN6hipcub16HIPCUB_304000_NS21CountingInputIteratorIllEEPS6_NSA_22TransformInputIteratorIb7NonZeroIsEPslEENS0_5tupleIJPlS6_EEENSJ_IJSD_SD_EEES6_SK_JS6_EEE10hipError_tPvRmT3_T4_T5_T6_T7_T9_mT8_P12ihipStream_tbDpT10_ENKUlT_T0_E_clISt17integral_constantIbLb0EES15_IbLb1EEEEDaS11_S12_EUlS11_E_NS1_11comp_targetILNS1_3genE10ELNS1_11target_archE1200ELNS1_3gpuE4ELNS1_3repE0EEENS1_30default_config_static_selectorELNS0_4arch9wavefront6targetE0EEEvT1_
		.amdhsa_group_segment_fixed_size 0
		.amdhsa_private_segment_fixed_size 0
		.amdhsa_kernarg_size 136
		.amdhsa_user_sgpr_count 15
		.amdhsa_user_sgpr_dispatch_ptr 0
		.amdhsa_user_sgpr_queue_ptr 0
		.amdhsa_user_sgpr_kernarg_segment_ptr 1
		.amdhsa_user_sgpr_dispatch_id 0
		.amdhsa_user_sgpr_private_segment_size 0
		.amdhsa_wavefront_size32 1
		.amdhsa_uses_dynamic_stack 0
		.amdhsa_enable_private_segment 0
		.amdhsa_system_sgpr_workgroup_id_x 1
		.amdhsa_system_sgpr_workgroup_id_y 0
		.amdhsa_system_sgpr_workgroup_id_z 0
		.amdhsa_system_sgpr_workgroup_info 0
		.amdhsa_system_vgpr_workitem_id 0
		.amdhsa_next_free_vgpr 1
		.amdhsa_next_free_sgpr 1
		.amdhsa_reserve_vcc 0
		.amdhsa_float_round_mode_32 0
		.amdhsa_float_round_mode_16_64 0
		.amdhsa_float_denorm_mode_32 3
		.amdhsa_float_denorm_mode_16_64 3
		.amdhsa_dx10_clamp 1
		.amdhsa_ieee_mode 1
		.amdhsa_fp16_overflow 0
		.amdhsa_workgroup_processor_mode 1
		.amdhsa_memory_ordered 1
		.amdhsa_forward_progress 0
		.amdhsa_shared_vgpr_count 0
		.amdhsa_exception_fp_ieee_invalid_op 0
		.amdhsa_exception_fp_denorm_src 0
		.amdhsa_exception_fp_ieee_div_zero 0
		.amdhsa_exception_fp_ieee_overflow 0
		.amdhsa_exception_fp_ieee_underflow 0
		.amdhsa_exception_fp_ieee_inexact 0
		.amdhsa_exception_int_div_zero 0
	.end_amdhsa_kernel
	.section	.text._ZN7rocprim17ROCPRIM_400000_NS6detail17trampoline_kernelINS0_14default_configENS1_25partition_config_selectorILNS1_17partition_subalgoE5ElNS0_10empty_typeEbEEZZNS1_14partition_implILS5_5ELb0ES3_mN6hipcub16HIPCUB_304000_NS21CountingInputIteratorIllEEPS6_NSA_22TransformInputIteratorIb7NonZeroIsEPslEENS0_5tupleIJPlS6_EEENSJ_IJSD_SD_EEES6_SK_JS6_EEE10hipError_tPvRmT3_T4_T5_T6_T7_T9_mT8_P12ihipStream_tbDpT10_ENKUlT_T0_E_clISt17integral_constantIbLb0EES15_IbLb1EEEEDaS11_S12_EUlS11_E_NS1_11comp_targetILNS1_3genE10ELNS1_11target_archE1200ELNS1_3gpuE4ELNS1_3repE0EEENS1_30default_config_static_selectorELNS0_4arch9wavefront6targetE0EEEvT1_,"axG",@progbits,_ZN7rocprim17ROCPRIM_400000_NS6detail17trampoline_kernelINS0_14default_configENS1_25partition_config_selectorILNS1_17partition_subalgoE5ElNS0_10empty_typeEbEEZZNS1_14partition_implILS5_5ELb0ES3_mN6hipcub16HIPCUB_304000_NS21CountingInputIteratorIllEEPS6_NSA_22TransformInputIteratorIb7NonZeroIsEPslEENS0_5tupleIJPlS6_EEENSJ_IJSD_SD_EEES6_SK_JS6_EEE10hipError_tPvRmT3_T4_T5_T6_T7_T9_mT8_P12ihipStream_tbDpT10_ENKUlT_T0_E_clISt17integral_constantIbLb0EES15_IbLb1EEEEDaS11_S12_EUlS11_E_NS1_11comp_targetILNS1_3genE10ELNS1_11target_archE1200ELNS1_3gpuE4ELNS1_3repE0EEENS1_30default_config_static_selectorELNS0_4arch9wavefront6targetE0EEEvT1_,comdat
.Lfunc_end146:
	.size	_ZN7rocprim17ROCPRIM_400000_NS6detail17trampoline_kernelINS0_14default_configENS1_25partition_config_selectorILNS1_17partition_subalgoE5ElNS0_10empty_typeEbEEZZNS1_14partition_implILS5_5ELb0ES3_mN6hipcub16HIPCUB_304000_NS21CountingInputIteratorIllEEPS6_NSA_22TransformInputIteratorIb7NonZeroIsEPslEENS0_5tupleIJPlS6_EEENSJ_IJSD_SD_EEES6_SK_JS6_EEE10hipError_tPvRmT3_T4_T5_T6_T7_T9_mT8_P12ihipStream_tbDpT10_ENKUlT_T0_E_clISt17integral_constantIbLb0EES15_IbLb1EEEEDaS11_S12_EUlS11_E_NS1_11comp_targetILNS1_3genE10ELNS1_11target_archE1200ELNS1_3gpuE4ELNS1_3repE0EEENS1_30default_config_static_selectorELNS0_4arch9wavefront6targetE0EEEvT1_, .Lfunc_end146-_ZN7rocprim17ROCPRIM_400000_NS6detail17trampoline_kernelINS0_14default_configENS1_25partition_config_selectorILNS1_17partition_subalgoE5ElNS0_10empty_typeEbEEZZNS1_14partition_implILS5_5ELb0ES3_mN6hipcub16HIPCUB_304000_NS21CountingInputIteratorIllEEPS6_NSA_22TransformInputIteratorIb7NonZeroIsEPslEENS0_5tupleIJPlS6_EEENSJ_IJSD_SD_EEES6_SK_JS6_EEE10hipError_tPvRmT3_T4_T5_T6_T7_T9_mT8_P12ihipStream_tbDpT10_ENKUlT_T0_E_clISt17integral_constantIbLb0EES15_IbLb1EEEEDaS11_S12_EUlS11_E_NS1_11comp_targetILNS1_3genE10ELNS1_11target_archE1200ELNS1_3gpuE4ELNS1_3repE0EEENS1_30default_config_static_selectorELNS0_4arch9wavefront6targetE0EEEvT1_
                                        ; -- End function
	.section	.AMDGPU.csdata,"",@progbits
; Kernel info:
; codeLenInByte = 0
; NumSgprs: 0
; NumVgprs: 0
; ScratchSize: 0
; MemoryBound: 0
; FloatMode: 240
; IeeeMode: 1
; LDSByteSize: 0 bytes/workgroup (compile time only)
; SGPRBlocks: 0
; VGPRBlocks: 0
; NumSGPRsForWavesPerEU: 1
; NumVGPRsForWavesPerEU: 1
; Occupancy: 16
; WaveLimiterHint : 0
; COMPUTE_PGM_RSRC2:SCRATCH_EN: 0
; COMPUTE_PGM_RSRC2:USER_SGPR: 15
; COMPUTE_PGM_RSRC2:TRAP_HANDLER: 0
; COMPUTE_PGM_RSRC2:TGID_X_EN: 1
; COMPUTE_PGM_RSRC2:TGID_Y_EN: 0
; COMPUTE_PGM_RSRC2:TGID_Z_EN: 0
; COMPUTE_PGM_RSRC2:TIDIG_COMP_CNT: 0
	.section	.text._ZN7rocprim17ROCPRIM_400000_NS6detail17trampoline_kernelINS0_14default_configENS1_25partition_config_selectorILNS1_17partition_subalgoE5ElNS0_10empty_typeEbEEZZNS1_14partition_implILS5_5ELb0ES3_mN6hipcub16HIPCUB_304000_NS21CountingInputIteratorIllEEPS6_NSA_22TransformInputIteratorIb7NonZeroIsEPslEENS0_5tupleIJPlS6_EEENSJ_IJSD_SD_EEES6_SK_JS6_EEE10hipError_tPvRmT3_T4_T5_T6_T7_T9_mT8_P12ihipStream_tbDpT10_ENKUlT_T0_E_clISt17integral_constantIbLb0EES15_IbLb1EEEEDaS11_S12_EUlS11_E_NS1_11comp_targetILNS1_3genE9ELNS1_11target_archE1100ELNS1_3gpuE3ELNS1_3repE0EEENS1_30default_config_static_selectorELNS0_4arch9wavefront6targetE0EEEvT1_,"axG",@progbits,_ZN7rocprim17ROCPRIM_400000_NS6detail17trampoline_kernelINS0_14default_configENS1_25partition_config_selectorILNS1_17partition_subalgoE5ElNS0_10empty_typeEbEEZZNS1_14partition_implILS5_5ELb0ES3_mN6hipcub16HIPCUB_304000_NS21CountingInputIteratorIllEEPS6_NSA_22TransformInputIteratorIb7NonZeroIsEPslEENS0_5tupleIJPlS6_EEENSJ_IJSD_SD_EEES6_SK_JS6_EEE10hipError_tPvRmT3_T4_T5_T6_T7_T9_mT8_P12ihipStream_tbDpT10_ENKUlT_T0_E_clISt17integral_constantIbLb0EES15_IbLb1EEEEDaS11_S12_EUlS11_E_NS1_11comp_targetILNS1_3genE9ELNS1_11target_archE1100ELNS1_3gpuE3ELNS1_3repE0EEENS1_30default_config_static_selectorELNS0_4arch9wavefront6targetE0EEEvT1_,comdat
	.protected	_ZN7rocprim17ROCPRIM_400000_NS6detail17trampoline_kernelINS0_14default_configENS1_25partition_config_selectorILNS1_17partition_subalgoE5ElNS0_10empty_typeEbEEZZNS1_14partition_implILS5_5ELb0ES3_mN6hipcub16HIPCUB_304000_NS21CountingInputIteratorIllEEPS6_NSA_22TransformInputIteratorIb7NonZeroIsEPslEENS0_5tupleIJPlS6_EEENSJ_IJSD_SD_EEES6_SK_JS6_EEE10hipError_tPvRmT3_T4_T5_T6_T7_T9_mT8_P12ihipStream_tbDpT10_ENKUlT_T0_E_clISt17integral_constantIbLb0EES15_IbLb1EEEEDaS11_S12_EUlS11_E_NS1_11comp_targetILNS1_3genE9ELNS1_11target_archE1100ELNS1_3gpuE3ELNS1_3repE0EEENS1_30default_config_static_selectorELNS0_4arch9wavefront6targetE0EEEvT1_ ; -- Begin function _ZN7rocprim17ROCPRIM_400000_NS6detail17trampoline_kernelINS0_14default_configENS1_25partition_config_selectorILNS1_17partition_subalgoE5ElNS0_10empty_typeEbEEZZNS1_14partition_implILS5_5ELb0ES3_mN6hipcub16HIPCUB_304000_NS21CountingInputIteratorIllEEPS6_NSA_22TransformInputIteratorIb7NonZeroIsEPslEENS0_5tupleIJPlS6_EEENSJ_IJSD_SD_EEES6_SK_JS6_EEE10hipError_tPvRmT3_T4_T5_T6_T7_T9_mT8_P12ihipStream_tbDpT10_ENKUlT_T0_E_clISt17integral_constantIbLb0EES15_IbLb1EEEEDaS11_S12_EUlS11_E_NS1_11comp_targetILNS1_3genE9ELNS1_11target_archE1100ELNS1_3gpuE3ELNS1_3repE0EEENS1_30default_config_static_selectorELNS0_4arch9wavefront6targetE0EEEvT1_
	.globl	_ZN7rocprim17ROCPRIM_400000_NS6detail17trampoline_kernelINS0_14default_configENS1_25partition_config_selectorILNS1_17partition_subalgoE5ElNS0_10empty_typeEbEEZZNS1_14partition_implILS5_5ELb0ES3_mN6hipcub16HIPCUB_304000_NS21CountingInputIteratorIllEEPS6_NSA_22TransformInputIteratorIb7NonZeroIsEPslEENS0_5tupleIJPlS6_EEENSJ_IJSD_SD_EEES6_SK_JS6_EEE10hipError_tPvRmT3_T4_T5_T6_T7_T9_mT8_P12ihipStream_tbDpT10_ENKUlT_T0_E_clISt17integral_constantIbLb0EES15_IbLb1EEEEDaS11_S12_EUlS11_E_NS1_11comp_targetILNS1_3genE9ELNS1_11target_archE1100ELNS1_3gpuE3ELNS1_3repE0EEENS1_30default_config_static_selectorELNS0_4arch9wavefront6targetE0EEEvT1_
	.p2align	8
	.type	_ZN7rocprim17ROCPRIM_400000_NS6detail17trampoline_kernelINS0_14default_configENS1_25partition_config_selectorILNS1_17partition_subalgoE5ElNS0_10empty_typeEbEEZZNS1_14partition_implILS5_5ELb0ES3_mN6hipcub16HIPCUB_304000_NS21CountingInputIteratorIllEEPS6_NSA_22TransformInputIteratorIb7NonZeroIsEPslEENS0_5tupleIJPlS6_EEENSJ_IJSD_SD_EEES6_SK_JS6_EEE10hipError_tPvRmT3_T4_T5_T6_T7_T9_mT8_P12ihipStream_tbDpT10_ENKUlT_T0_E_clISt17integral_constantIbLb0EES15_IbLb1EEEEDaS11_S12_EUlS11_E_NS1_11comp_targetILNS1_3genE9ELNS1_11target_archE1100ELNS1_3gpuE3ELNS1_3repE0EEENS1_30default_config_static_selectorELNS0_4arch9wavefront6targetE0EEEvT1_,@function
_ZN7rocprim17ROCPRIM_400000_NS6detail17trampoline_kernelINS0_14default_configENS1_25partition_config_selectorILNS1_17partition_subalgoE5ElNS0_10empty_typeEbEEZZNS1_14partition_implILS5_5ELb0ES3_mN6hipcub16HIPCUB_304000_NS21CountingInputIteratorIllEEPS6_NSA_22TransformInputIteratorIb7NonZeroIsEPslEENS0_5tupleIJPlS6_EEENSJ_IJSD_SD_EEES6_SK_JS6_EEE10hipError_tPvRmT3_T4_T5_T6_T7_T9_mT8_P12ihipStream_tbDpT10_ENKUlT_T0_E_clISt17integral_constantIbLb0EES15_IbLb1EEEEDaS11_S12_EUlS11_E_NS1_11comp_targetILNS1_3genE9ELNS1_11target_archE1100ELNS1_3gpuE3ELNS1_3repE0EEENS1_30default_config_static_selectorELNS0_4arch9wavefront6targetE0EEEvT1_: ; @_ZN7rocprim17ROCPRIM_400000_NS6detail17trampoline_kernelINS0_14default_configENS1_25partition_config_selectorILNS1_17partition_subalgoE5ElNS0_10empty_typeEbEEZZNS1_14partition_implILS5_5ELb0ES3_mN6hipcub16HIPCUB_304000_NS21CountingInputIteratorIllEEPS6_NSA_22TransformInputIteratorIb7NonZeroIsEPslEENS0_5tupleIJPlS6_EEENSJ_IJSD_SD_EEES6_SK_JS6_EEE10hipError_tPvRmT3_T4_T5_T6_T7_T9_mT8_P12ihipStream_tbDpT10_ENKUlT_T0_E_clISt17integral_constantIbLb0EES15_IbLb1EEEEDaS11_S12_EUlS11_E_NS1_11comp_targetILNS1_3genE9ELNS1_11target_archE1100ELNS1_3gpuE3ELNS1_3repE0EEENS1_30default_config_static_selectorELNS0_4arch9wavefront6targetE0EEEvT1_
; %bb.0:
	s_clause 0x4
	s_load_b64 s[18:19], s[0:1], 0x20
	s_load_b64 s[12:13], s[0:1], 0x30
	;; [unrolled: 1-line block ×3, first 2 shown]
	s_load_b128 s[4:7], s[0:1], 0x48
	s_load_b64 s[14:15], s[0:1], 0x68
	v_cmp_eq_u32_e64 s2, 0, v0
	s_delay_alu instid0(VALU_DEP_1)
	s_and_saveexec_b32 s3, s2
	s_cbranch_execz .LBB147_4
; %bb.1:
	s_mov_b32 s9, exec_lo
	s_mov_b32 s8, exec_lo
	v_mbcnt_lo_u32_b32 v1, s9, 0
                                        ; implicit-def: $vgpr2
	s_delay_alu instid0(VALU_DEP_1)
	v_cmpx_eq_u32_e32 0, v1
	s_cbranch_execz .LBB147_3
; %bb.2:
	s_load_b64 s[10:11], s[0:1], 0x78
	s_bcnt1_i32_b32 s9, s9
	s_delay_alu instid0(SALU_CYCLE_1)
	v_dual_mov_b32 v2, 0 :: v_dual_mov_b32 v3, s9
	s_waitcnt lgkmcnt(0)
	global_atomic_add_u32 v2, v2, v3, s[10:11] glc
.LBB147_3:
	s_or_b32 exec_lo, exec_lo, s8
	s_waitcnt vmcnt(0)
	v_readfirstlane_b32 s8, v2
	s_delay_alu instid0(VALU_DEP_1)
	v_dual_mov_b32 v2, 0 :: v_dual_add_nc_u32 v1, s8, v1
	ds_store_b32 v2, v1
.LBB147_4:
	s_or_b32 exec_lo, exec_lo, s3
	v_mov_b32_e32 v1, 0
	s_clause 0x1
	s_load_b128 s[8:11], s[0:1], 0x8
	s_load_b32 s0, s[0:1], 0x70
	s_waitcnt lgkmcnt(0)
	s_barrier
	buffer_gl0_inv
	ds_load_b32 v3, v1
	s_waitcnt lgkmcnt(0)
	s_barrier
	buffer_gl0_inv
	global_load_b64 v[1:2], v1, s[6:7]
	s_add_u32 s21, s10, s8
	s_mul_i32 s20, s0, 0x300
	s_addc_u32 s22, s11, s9
	s_add_i32 s3, s0, -1
	s_add_u32 s0, s10, s20
	v_readfirstlane_b32 s9, v3
	s_addc_u32 s1, s11, 0
	s_delay_alu instid0(SALU_CYCLE_1) | instskip(SKIP_1) | instid1(VALU_DEP_2)
	v_cmp_ge_u64_e64 s0, s[0:1], s[16:17]
	s_mov_b32 s17, -1
	s_cmp_eq_u32 s9, s3
	s_cselect_b32 s3, -1, 0
	s_delay_alu instid0(VALU_DEP_1) | instid1(SALU_CYCLE_1)
	s_and_b32 s1, s0, s3
	s_mul_i32 s0, s9, 0x300
	s_xor_b32 s8, s1, -1
	s_mov_b32 s1, 0
	s_and_b32 vcc_lo, exec_lo, s8
	s_waitcnt vmcnt(0)
	v_readfirstlane_b32 s6, v1
	v_readfirstlane_b32 s7, v2
	s_cbranch_vccz .LBB147_6
; %bb.5:
	s_add_u32 s17, s0, s21
	s_addc_u32 s23, 0, s22
	v_add_co_u32 v1, s17, s17, v0
	s_delay_alu instid0(VALU_DEP_1) | instskip(SKIP_1) | instid1(VALU_DEP_3)
	v_add_co_ci_u32_e64 v2, null, s23, 0, s17
	v_lshlrev_b32_e32 v13, 3, v0
	v_add_co_u32 v3, vcc_lo, 0x80, v1
	s_delay_alu instid0(VALU_DEP_3)
	v_add_co_ci_u32_e32 v4, vcc_lo, 0, v2, vcc_lo
	v_add_co_u32 v5, vcc_lo, 0x100, v1
	v_add_co_ci_u32_e32 v6, vcc_lo, 0, v2, vcc_lo
	v_add_co_u32 v7, vcc_lo, 0x180, v1
	;; [unrolled: 2-line block ×4, first 2 shown]
	v_add_co_ci_u32_e32 v12, vcc_lo, 0, v2, vcc_lo
	ds_store_2addr_stride64_b64 v13, v[1:2], v[3:4] offset1:2
	ds_store_2addr_stride64_b64 v13, v[5:6], v[7:8] offset0:4 offset1:6
	ds_store_2addr_stride64_b64 v13, v[9:10], v[11:12] offset0:8 offset1:10
	s_waitcnt lgkmcnt(0)
	s_mov_b32 s17, s1
	s_barrier
.LBB147_6:
	v_or_b32_e32 v17, 0x100, v0
	v_or_b32_e32 v16, 0x180, v0
	;; [unrolled: 1-line block ×4, first 2 shown]
	s_and_not1_b32 vcc_lo, exec_lo, s17
	s_cbranch_vccnz .LBB147_8
; %bb.7:
	v_or_b32_e32 v3, 0x80, v0
	s_add_u32 s17, s21, s0
	s_addc_u32 s21, s22, 0
	v_add_co_u32 v1, s22, s17, v0
	s_delay_alu instid0(VALU_DEP_1) | instskip(SKIP_1) | instid1(VALU_DEP_1)
	v_add_co_ci_u32_e64 v2, null, s21, 0, s22
	v_add_co_u32 v3, s22, s17, v3
	v_add_co_ci_u32_e64 v4, null, s21, 0, s22
	v_add_co_u32 v5, s22, s17, v17
	s_delay_alu instid0(VALU_DEP_1) | instskip(SKIP_1) | instid1(VALU_DEP_1)
	v_add_co_ci_u32_e64 v6, null, s21, 0, s22
	v_add_co_u32 v7, s22, s17, v16
	v_add_co_ci_u32_e64 v8, null, s21, 0, s22
	v_add_co_u32 v9, s22, s17, v14
	v_lshlrev_b32_e32 v15, 3, v0
	v_add_co_u32 v11, s17, s17, v13
	v_add_co_ci_u32_e64 v10, null, s21, 0, s22
	v_add_co_ci_u32_e64 v12, null, s21, 0, s17
	ds_store_2addr_stride64_b64 v15, v[1:2], v[3:4] offset1:2
	ds_store_2addr_stride64_b64 v15, v[5:6], v[7:8] offset0:4 offset1:6
	ds_store_2addr_stride64_b64 v15, v[9:10], v[11:12] offset0:8 offset1:10
	s_waitcnt lgkmcnt(0)
	s_barrier
.LBB147_8:
	v_mul_u32_u24_e32 v1, 6, v0
	buffer_gl0_inv
	s_lshl_b64 s[22:23], s[10:11], 1
	s_delay_alu instid0(SALU_CYCLE_1)
	s_add_u32 s11, s18, s22
	v_lshlrev_b32_e32 v15, 3, v1
	s_addc_u32 s17, s19, s23
	s_lshl_b64 s[0:1], s[0:1], 1
	ds_load_b128 v[9:12], v15
	ds_load_b128 v[5:8], v15 offset:16
	ds_load_b128 v[1:4], v15 offset:32
	s_add_u32 s0, s11, s0
	s_addc_u32 s1, s17, s1
	s_and_b32 vcc_lo, exec_lo, s8
	s_mov_b32 s11, -1
	s_waitcnt lgkmcnt(0)
	s_barrier
	buffer_gl0_inv
	s_cbranch_vccz .LBB147_10
; %bb.9:
	v_lshlrev_b32_e32 v18, 1, v0
	s_mov_b32 s11, 0
	s_clause 0x5
	global_load_u16 v19, v18, s[0:1]
	global_load_u16 v20, v18, s[0:1] offset:256
	global_load_u16 v21, v18, s[0:1] offset:512
	;; [unrolled: 1-line block ×5, first 2 shown]
	s_waitcnt vmcnt(5)
	v_cmp_ne_u16_e32 vcc_lo, 0, v19
	v_cndmask_b32_e64 v19, 0, 1, vcc_lo
	s_waitcnt vmcnt(4)
	v_cmp_ne_u16_e32 vcc_lo, 0, v20
	v_cndmask_b32_e64 v20, 0, 1, vcc_lo
	;; [unrolled: 3-line block ×6, first 2 shown]
	ds_store_b8 v0, v19
	ds_store_b8 v0, v20 offset:128
	ds_store_b8 v0, v21 offset:256
	;; [unrolled: 1-line block ×5, first 2 shown]
	s_waitcnt lgkmcnt(0)
	s_barrier
.LBB147_10:
	s_and_not1_b32 vcc_lo, exec_lo, s11
	s_cbranch_vccnz .LBB147_24
; %bb.11:
	s_add_i32 s20, s20, s10
	v_dual_mov_b32 v18, 0 :: v_dual_mov_b32 v19, 0
	s_sub_i32 s10, s16, s20
	s_mov_b32 s11, exec_lo
	s_addk_i32 s10, 0x300
	s_delay_alu instid0(SALU_CYCLE_1)
	v_cmpx_gt_u32_e64 s10, v0
	s_cbranch_execz .LBB147_13
; %bb.12:
	v_lshlrev_b32_e32 v19, 1, v0
	global_load_u16 v19, v19, s[0:1]
	s_waitcnt vmcnt(0)
	v_cmp_ne_u16_e32 vcc_lo, 0, v19
	v_cndmask_b32_e64 v19, 0, 1, vcc_lo
.LBB147_13:
	s_or_b32 exec_lo, exec_lo, s11
	v_or_b32_e32 v20, 0x80, v0
	s_mov_b32 s11, exec_lo
	s_delay_alu instid0(VALU_DEP_1)
	v_cmpx_gt_u32_e64 s10, v20
	s_cbranch_execz .LBB147_15
; %bb.14:
	v_lshlrev_b32_e32 v18, 1, v0
	global_load_u16 v18, v18, s[0:1] offset:256
	s_waitcnt vmcnt(0)
	v_cmp_ne_u16_e32 vcc_lo, 0, v18
	v_cndmask_b32_e64 v18, 0, 1, vcc_lo
.LBB147_15:
	s_or_b32 exec_lo, exec_lo, s11
	v_cmp_gt_u32_e32 vcc_lo, s10, v17
	v_dual_mov_b32 v17, 0 :: v_dual_mov_b32 v20, 0
	s_and_saveexec_b32 s11, vcc_lo
	s_cbranch_execz .LBB147_17
; %bb.16:
	v_lshlrev_b32_e32 v20, 1, v0
	global_load_u16 v20, v20, s[0:1] offset:512
	s_waitcnt vmcnt(0)
	v_cmp_ne_u16_e32 vcc_lo, 0, v20
	v_cndmask_b32_e64 v20, 0, 1, vcc_lo
.LBB147_17:
	s_or_b32 exec_lo, exec_lo, s11
	s_delay_alu instid0(SALU_CYCLE_1)
	s_mov_b32 s11, exec_lo
	v_cmpx_gt_u32_e64 s10, v16
	s_cbranch_execz .LBB147_19
; %bb.18:
	v_lshlrev_b32_e32 v16, 1, v0
	global_load_u16 v16, v16, s[0:1] offset:768
	s_waitcnt vmcnt(0)
	v_cmp_ne_u16_e32 vcc_lo, 0, v16
	v_cndmask_b32_e64 v17, 0, 1, vcc_lo
.LBB147_19:
	s_or_b32 exec_lo, exec_lo, s11
	v_cmp_gt_u32_e32 vcc_lo, s10, v14
	v_mov_b32_e32 v14, 0
	v_mov_b32_e32 v16, 0
	s_and_saveexec_b32 s11, vcc_lo
	s_cbranch_execz .LBB147_21
; %bb.20:
	v_lshlrev_b32_e32 v16, 1, v0
	global_load_u16 v16, v16, s[0:1] offset:1024
	s_waitcnt vmcnt(0)
	v_cmp_ne_u16_e32 vcc_lo, 0, v16
	v_cndmask_b32_e64 v16, 0, 1, vcc_lo
.LBB147_21:
	s_or_b32 exec_lo, exec_lo, s11
	v_cmp_gt_u32_e32 vcc_lo, s10, v13
	s_and_saveexec_b32 s10, vcc_lo
	s_cbranch_execz .LBB147_23
; %bb.22:
	v_lshlrev_b32_e32 v13, 1, v0
	global_load_u16 v13, v13, s[0:1] offset:1280
	s_waitcnt vmcnt(0)
	v_cmp_ne_u16_e32 vcc_lo, 0, v13
	v_cndmask_b32_e64 v14, 0, 1, vcc_lo
.LBB147_23:
	s_or_b32 exec_lo, exec_lo, s10
	ds_store_b8 v0, v19
	ds_store_b8 v0, v18 offset:128
	ds_store_b8 v0, v20 offset:256
	;; [unrolled: 1-line block ×5, first 2 shown]
	s_waitcnt lgkmcnt(0)
	s_barrier
.LBB147_24:
	v_mad_i32_i24 v43, 0xffffffd6, v0, v15
	buffer_gl0_inv
	v_mbcnt_lo_u32_b32 v42, -1, 0
	s_cmp_lg_u32 s9, 0
	s_mov_b32 s1, -1
	ds_load_u16 v36, v43
	ds_load_u16 v33, v43 offset:2
	ds_load_u16 v31, v43 offset:4
	v_mov_b32_e32 v14, 0
	v_and_b32_e32 v44, 15, v42
	s_waitcnt lgkmcnt(0)
	s_barrier
	buffer_gl0_inv
	v_and_b32_e32 v41, 0xff, v36
	v_lshrrev_b16 v34, 8, v36
	v_lshrrev_b16 v35, 8, v33
	v_and_b32_e32 v39, 0xff, v33
	v_lshrrev_b16 v32, 8, v31
	v_and_b32_e32 v37, 0xff, v31
	v_and_b32_e32 v40, 0xffff, v34
	;; [unrolled: 1-line block ×3, first 2 shown]
	s_delay_alu instid0(VALU_DEP_4) | instskip(NEXT) | instid1(VALU_DEP_3)
	v_and_b32_e32 v16, 0xffff, v32
	v_add_co_u32 v13, s0, v40, v41
	s_delay_alu instid0(VALU_DEP_1) | instskip(SKIP_1) | instid1(VALU_DEP_3)
	v_add_co_ci_u32_e64 v15, null, 0, 0, s0
	v_cmp_ne_u32_e64 s0, 0, v44
	v_add_co_u32 v13, vcc_lo, v13, v39
	s_delay_alu instid0(VALU_DEP_3) | instskip(NEXT) | instid1(VALU_DEP_2)
	v_add_co_ci_u32_e32 v15, vcc_lo, 0, v15, vcc_lo
	v_add_co_u32 v13, vcc_lo, v13, v38
	s_delay_alu instid0(VALU_DEP_2) | instskip(NEXT) | instid1(VALU_DEP_2)
	v_add_co_ci_u32_e32 v15, vcc_lo, 0, v15, vcc_lo
	v_add_co_u32 v13, vcc_lo, v13, v37
	s_delay_alu instid0(VALU_DEP_2) | instskip(NEXT) | instid1(VALU_DEP_2)
	v_add_co_ci_u32_e32 v15, vcc_lo, 0, v15, vcc_lo
	v_add_co_u32 v21, vcc_lo, v13, v16
	s_delay_alu instid0(VALU_DEP_2)
	v_add_co_ci_u32_e32 v22, vcc_lo, 0, v15, vcc_lo
	s_cbranch_scc0 .LBB147_88
; %bb.25:
	s_delay_alu instid0(VALU_DEP_2)
	v_mov_b32_e32 v15, v21
	v_mov_b32_dpp v13, v21 row_shr:1 row_mask:0xf bank_mask:0xf
	v_mov_b32_dpp v18, v14 row_shr:1 row_mask:0xf bank_mask:0xf
	v_dual_mov_b32 v17, v21 :: v_dual_mov_b32 v16, v22
	s_and_saveexec_b32 s1, s0
; %bb.26:
	s_delay_alu instid0(VALU_DEP_3) | instskip(SKIP_1) | instid1(VALU_DEP_2)
	v_add_co_u32 v17, vcc_lo, v21, v13
	v_add_co_ci_u32_e32 v14, vcc_lo, 0, v22, vcc_lo
	v_add_co_u32 v13, vcc_lo, 0, v17
	s_delay_alu instid0(VALU_DEP_2) | instskip(NEXT) | instid1(VALU_DEP_1)
	v_add_co_ci_u32_e32 v14, vcc_lo, v18, v14, vcc_lo
	v_dual_mov_b32 v16, v14 :: v_dual_mov_b32 v15, v13
; %bb.27:
	s_or_b32 exec_lo, exec_lo, s1
	v_mov_b32_dpp v13, v17 row_shr:2 row_mask:0xf bank_mask:0xf
	v_mov_b32_dpp v18, v14 row_shr:2 row_mask:0xf bank_mask:0xf
	s_mov_b32 s1, exec_lo
	v_cmpx_lt_u32_e32 1, v44
; %bb.28:
	s_delay_alu instid0(VALU_DEP_3) | instskip(SKIP_1) | instid1(VALU_DEP_2)
	v_add_co_u32 v17, vcc_lo, v15, v13
	v_add_co_ci_u32_e32 v14, vcc_lo, 0, v16, vcc_lo
	v_add_co_u32 v13, vcc_lo, 0, v17
	s_delay_alu instid0(VALU_DEP_2) | instskip(NEXT) | instid1(VALU_DEP_1)
	v_add_co_ci_u32_e32 v14, vcc_lo, v18, v14, vcc_lo
	v_dual_mov_b32 v16, v14 :: v_dual_mov_b32 v15, v13
; %bb.29:
	s_or_b32 exec_lo, exec_lo, s1
	v_mov_b32_dpp v13, v17 row_shr:4 row_mask:0xf bank_mask:0xf
	v_mov_b32_dpp v18, v14 row_shr:4 row_mask:0xf bank_mask:0xf
	s_mov_b32 s1, exec_lo
	v_cmpx_lt_u32_e32 3, v44
	;; [unrolled: 14-line block ×3, first 2 shown]
; %bb.32:
	s_delay_alu instid0(VALU_DEP_3) | instskip(SKIP_1) | instid1(VALU_DEP_2)
	v_add_co_u32 v17, vcc_lo, v15, v18
	v_add_co_ci_u32_e32 v14, vcc_lo, 0, v16, vcc_lo
	v_add_co_u32 v15, vcc_lo, 0, v17
	s_delay_alu instid0(VALU_DEP_2) | instskip(NEXT) | instid1(VALU_DEP_1)
	v_add_co_ci_u32_e32 v16, vcc_lo, v13, v14, vcc_lo
	v_mov_b32_e32 v14, v16
; %bb.33:
	s_or_b32 exec_lo, exec_lo, s1
	ds_swizzle_b32 v13, v17 offset:swizzle(BROADCAST,32,15)
	ds_swizzle_b32 v18, v14 offset:swizzle(BROADCAST,32,15)
	v_and_b32_e32 v19, 16, v42
	s_mov_b32 s1, exec_lo
	s_delay_alu instid0(VALU_DEP_1)
	v_cmpx_ne_u32_e32 0, v19
	s_cbranch_execz .LBB147_35
; %bb.34:
	s_waitcnt lgkmcnt(1)
	v_add_co_u32 v17, vcc_lo, v15, v13
	v_add_co_ci_u32_e32 v14, vcc_lo, 0, v16, vcc_lo
	s_delay_alu instid0(VALU_DEP_2) | instskip(SKIP_1) | instid1(VALU_DEP_2)
	v_add_co_u32 v13, vcc_lo, 0, v17
	s_waitcnt lgkmcnt(0)
	v_add_co_ci_u32_e32 v14, vcc_lo, v18, v14, vcc_lo
	s_delay_alu instid0(VALU_DEP_1)
	v_dual_mov_b32 v16, v14 :: v_dual_mov_b32 v15, v13
.LBB147_35:
	s_or_b32 exec_lo, exec_lo, s1
	s_waitcnt lgkmcnt(0)
	v_or_b32_e32 v18, 31, v0
	v_lshrrev_b32_e32 v13, 5, v0
	s_mov_b32 s1, exec_lo
	s_delay_alu instid0(VALU_DEP_2)
	v_cmpx_eq_u32_e64 v18, v0
	s_cbranch_execz .LBB147_37
; %bb.36:
	s_delay_alu instid0(VALU_DEP_2)
	v_lshlrev_b32_e32 v18, 3, v13
	ds_store_b64 v18, v[15:16]
.LBB147_37:
	s_or_b32 exec_lo, exec_lo, s1
	s_delay_alu instid0(SALU_CYCLE_1)
	s_mov_b32 s1, exec_lo
	s_waitcnt lgkmcnt(0)
	s_barrier
	buffer_gl0_inv
	v_cmpx_gt_u32_e32 4, v0
	s_cbranch_execz .LBB147_43
; %bb.38:
	v_lshlrev_b32_e32 v18, 3, v0
	s_mov_b32 s10, exec_lo
	ds_load_b64 v[15:16], v18
	s_waitcnt lgkmcnt(0)
	v_dual_mov_b32 v20, v15 :: v_dual_and_b32 v19, 3, v42
	v_mov_b32_dpp v24, v15 row_shr:1 row_mask:0xf bank_mask:0xf
	v_mov_b32_dpp v23, v16 row_shr:1 row_mask:0xf bank_mask:0xf
	s_delay_alu instid0(VALU_DEP_3)
	v_cmpx_ne_u32_e32 0, v19
; %bb.39:
	s_delay_alu instid0(VALU_DEP_3) | instskip(SKIP_1) | instid1(VALU_DEP_2)
	v_add_co_u32 v20, vcc_lo, v15, v24
	v_add_co_ci_u32_e32 v16, vcc_lo, 0, v16, vcc_lo
	v_add_co_u32 v15, vcc_lo, 0, v20
	s_delay_alu instid0(VALU_DEP_2)
	v_add_co_ci_u32_e32 v16, vcc_lo, v23, v16, vcc_lo
; %bb.40:
	s_or_b32 exec_lo, exec_lo, s10
	v_mov_b32_dpp v23, v20 row_shr:2 row_mask:0xf bank_mask:0xf
	s_delay_alu instid0(VALU_DEP_2)
	v_mov_b32_dpp v20, v16 row_shr:2 row_mask:0xf bank_mask:0xf
	s_mov_b32 s10, exec_lo
	v_cmpx_lt_u32_e32 1, v19
; %bb.41:
	s_delay_alu instid0(VALU_DEP_3) | instskip(SKIP_1) | instid1(VALU_DEP_2)
	v_add_co_u32 v15, vcc_lo, v15, v23
	v_add_co_ci_u32_e32 v16, vcc_lo, 0, v16, vcc_lo
	v_add_co_u32 v15, vcc_lo, v15, 0
	s_delay_alu instid0(VALU_DEP_2)
	v_add_co_ci_u32_e32 v16, vcc_lo, v16, v20, vcc_lo
; %bb.42:
	s_or_b32 exec_lo, exec_lo, s10
	ds_store_b64 v18, v[15:16]
.LBB147_43:
	s_or_b32 exec_lo, exec_lo, s1
	v_cmp_gt_u32_e32 vcc_lo, 32, v0
	s_mov_b32 s10, exec_lo
	s_waitcnt lgkmcnt(0)
	s_barrier
	buffer_gl0_inv
                                        ; implicit-def: $vgpr23_vgpr24
	v_cmpx_lt_u32_e32 31, v0
	s_cbranch_execz .LBB147_45
; %bb.44:
	v_lshl_add_u32 v13, v13, 3, -8
	ds_load_b64 v[23:24], v13
	s_waitcnt lgkmcnt(0)
	v_add_co_u32 v17, s1, v17, v23
	s_delay_alu instid0(VALU_DEP_1)
	v_add_co_ci_u32_e64 v14, s1, v14, v24, s1
.LBB147_45:
	s_or_b32 exec_lo, exec_lo, s10
	v_add_nc_u32_e32 v13, -1, v42
	s_delay_alu instid0(VALU_DEP_1) | instskip(NEXT) | instid1(VALU_DEP_1)
	v_cmp_gt_i32_e64 s1, 0, v13
	v_cndmask_b32_e64 v13, v13, v42, s1
	v_cmp_eq_u32_e64 s1, 0, v42
	s_delay_alu instid0(VALU_DEP_2)
	v_lshlrev_b32_e32 v13, 2, v13
	ds_bpermute_b32 v29, v13, v17
	ds_bpermute_b32 v30, v13, v14
	s_and_saveexec_b32 s10, vcc_lo
	s_cbranch_execz .LBB147_83
; %bb.46:
	v_mov_b32_e32 v16, 0
	ds_load_b64 v[13:14], v16 offset:24
	s_and_saveexec_b32 s11, s1
	s_cbranch_execz .LBB147_48
; %bb.47:
	s_add_i32 s16, s9, 32
	s_mov_b32 s17, 0
	s_delay_alu instid0(SALU_CYCLE_1) | instskip(NEXT) | instid1(SALU_CYCLE_1)
	s_lshl_b64 s[16:17], s[16:17], 4
	s_add_u32 s16, s14, s16
	s_addc_u32 s17, s15, s17
	s_delay_alu instid0(SALU_CYCLE_1)
	v_dual_mov_b32 v15, 1 :: v_dual_mov_b32 v18, s17
	v_mov_b32_e32 v17, s16
	s_waitcnt lgkmcnt(0)
	;;#ASMSTART
	global_store_dwordx4 v[17:18], v[13:16] off	
s_waitcnt vmcnt(0)
	;;#ASMEND
.LBB147_48:
	s_or_b32 exec_lo, exec_lo, s11
	v_xad_u32 v25, v42, -1, s9
	s_mov_b32 s16, 0
	s_mov_b32 s11, exec_lo
	s_delay_alu instid0(VALU_DEP_1) | instskip(NEXT) | instid1(VALU_DEP_1)
	v_add_nc_u32_e32 v15, 32, v25
	v_lshlrev_b64 v[15:16], 4, v[15:16]
	s_delay_alu instid0(VALU_DEP_1) | instskip(NEXT) | instid1(VALU_DEP_2)
	v_add_co_u32 v15, vcc_lo, s14, v15
	v_add_co_ci_u32_e32 v16, vcc_lo, s15, v16, vcc_lo
	;;#ASMSTART
	global_load_dwordx4 v[17:20], v[15:16] off glc	
s_waitcnt vmcnt(0)
	;;#ASMEND
	v_and_b32_e32 v20, 0xff, v18
	v_and_b32_e32 v26, 0xff00, v18
	;; [unrolled: 1-line block ×3, first 2 shown]
	v_or3_b32 v17, v17, 0, 0
	v_and_b32_e32 v18, 0xff000000, v18
	s_delay_alu instid0(VALU_DEP_4) | instskip(SKIP_1) | instid1(VALU_DEP_4)
	v_or3_b32 v20, 0, v20, v26
	v_and_b32_e32 v26, 0xff, v19
	v_or3_b32 v17, v17, 0, 0
	s_delay_alu instid0(VALU_DEP_3) | instskip(NEXT) | instid1(VALU_DEP_3)
	v_or3_b32 v18, v20, v27, v18
	v_cmpx_eq_u16_e32 0, v26
	s_cbranch_execz .LBB147_51
.LBB147_49:                             ; =>This Inner Loop Header: Depth=1
	;;#ASMSTART
	global_load_dwordx4 v[17:20], v[15:16] off glc	
s_waitcnt vmcnt(0)
	;;#ASMEND
	v_and_b32_e32 v20, 0xff, v19
	s_delay_alu instid0(VALU_DEP_1) | instskip(SKIP_1) | instid1(SALU_CYCLE_1)
	v_cmp_ne_u16_e32 vcc_lo, 0, v20
	s_or_b32 s16, vcc_lo, s16
	s_and_not1_b32 exec_lo, exec_lo, s16
	s_cbranch_execnz .LBB147_49
; %bb.50:
	s_or_b32 exec_lo, exec_lo, s16
.LBB147_51:
	s_delay_alu instid0(SALU_CYCLE_1)
	s_or_b32 exec_lo, exec_lo, s11
	v_cmp_ne_u32_e32 vcc_lo, 31, v42
	v_and_b32_e32 v16, 0xff, v19
	v_lshlrev_b32_e64 v46, v42, -1
	s_mov_b32 s11, exec_lo
	v_add_co_ci_u32_e32 v15, vcc_lo, 0, v42, vcc_lo
	s_delay_alu instid0(VALU_DEP_3) | instskip(NEXT) | instid1(VALU_DEP_2)
	v_cmp_eq_u16_e32 vcc_lo, 2, v16
	v_dual_mov_b32 v16, v17 :: v_dual_lshlrev_b32 v45, 2, v15
	v_and_or_b32 v15, vcc_lo, v46, 0x80000000
	ds_bpermute_b32 v26, v45, v17
	ds_bpermute_b32 v20, v45, v18
	v_ctz_i32_b32_e32 v15, v15
	s_delay_alu instid0(VALU_DEP_1)
	v_cmpx_lt_u32_e64 v42, v15
	s_cbranch_execz .LBB147_53
; %bb.52:
	s_waitcnt lgkmcnt(1)
	v_add_co_u32 v16, vcc_lo, v17, v26
	v_add_co_ci_u32_e32 v18, vcc_lo, 0, v18, vcc_lo
	s_delay_alu instid0(VALU_DEP_2) | instskip(SKIP_1) | instid1(VALU_DEP_2)
	v_add_co_u32 v17, vcc_lo, 0, v16
	s_waitcnt lgkmcnt(0)
	v_add_co_ci_u32_e32 v18, vcc_lo, v20, v18, vcc_lo
.LBB147_53:
	s_or_b32 exec_lo, exec_lo, s11
	v_cmp_gt_u32_e32 vcc_lo, 30, v42
	v_add_nc_u32_e32 v48, 2, v42
	s_mov_b32 s11, exec_lo
	s_waitcnt lgkmcnt(0)
	v_cndmask_b32_e64 v20, 0, 1, vcc_lo
	s_delay_alu instid0(VALU_DEP_1) | instskip(NEXT) | instid1(VALU_DEP_1)
	v_lshlrev_b32_e32 v20, 1, v20
	v_add_lshl_u32 v47, v20, v42, 2
	ds_bpermute_b32 v26, v47, v16
	ds_bpermute_b32 v20, v47, v18
	v_cmpx_le_u32_e64 v48, v15
	s_cbranch_execz .LBB147_55
; %bb.54:
	s_waitcnt lgkmcnt(1)
	v_add_co_u32 v16, vcc_lo, v17, v26
	v_add_co_ci_u32_e32 v18, vcc_lo, 0, v18, vcc_lo
	s_delay_alu instid0(VALU_DEP_2) | instskip(SKIP_1) | instid1(VALU_DEP_2)
	v_add_co_u32 v17, vcc_lo, 0, v16
	s_waitcnt lgkmcnt(0)
	v_add_co_ci_u32_e32 v18, vcc_lo, v20, v18, vcc_lo
.LBB147_55:
	s_or_b32 exec_lo, exec_lo, s11
	v_cmp_gt_u32_e32 vcc_lo, 28, v42
	v_add_nc_u32_e32 v50, 4, v42
	s_mov_b32 s11, exec_lo
	s_waitcnt lgkmcnt(0)
	v_cndmask_b32_e64 v20, 0, 1, vcc_lo
	s_delay_alu instid0(VALU_DEP_1) | instskip(NEXT) | instid1(VALU_DEP_1)
	v_lshlrev_b32_e32 v20, 2, v20
	v_add_lshl_u32 v49, v20, v42, 2
	ds_bpermute_b32 v26, v49, v16
	ds_bpermute_b32 v20, v49, v18
	v_cmpx_le_u32_e64 v50, v15
	;; [unrolled: 22-line block ×4, first 2 shown]
	s_cbranch_execz .LBB147_61
; %bb.60:
	s_waitcnt lgkmcnt(1)
	v_add_co_u32 v15, vcc_lo, v17, v20
	v_add_co_ci_u32_e32 v18, vcc_lo, 0, v18, vcc_lo
	s_delay_alu instid0(VALU_DEP_2) | instskip(SKIP_1) | instid1(VALU_DEP_2)
	v_add_co_u32 v17, vcc_lo, v15, 0
	s_waitcnt lgkmcnt(0)
	v_add_co_ci_u32_e32 v18, vcc_lo, v18, v16, vcc_lo
.LBB147_61:
	s_or_b32 exec_lo, exec_lo, s11
	v_mov_b32_e32 v26, 0
	s_branch .LBB147_63
.LBB147_62:                             ;   in Loop: Header=BB147_63 Depth=1
	s_or_b32 exec_lo, exec_lo, s11
	v_add_co_u32 v17, vcc_lo, v17, v15
	v_subrev_nc_u32_e32 v25, 32, v25
	v_add_co_ci_u32_e32 v18, vcc_lo, v18, v16, vcc_lo
.LBB147_63:                             ; =>This Loop Header: Depth=1
                                        ;     Child Loop BB147_66 Depth 2
	v_and_b32_e32 v15, 0xff, v19
	s_delay_alu instid0(VALU_DEP_1) | instskip(SKIP_2) | instid1(VALU_DEP_1)
	v_cmp_ne_u16_e32 vcc_lo, 2, v15
	v_cndmask_b32_e64 v15, 0, 1, vcc_lo
	;;#ASMSTART
	;;#ASMEND
	v_cmp_ne_u32_e32 vcc_lo, 0, v15
	s_waitcnt lgkmcnt(0)
	v_dual_mov_b32 v15, v17 :: v_dual_mov_b32 v16, v18
	s_cmp_lg_u32 vcc_lo, exec_lo
	s_cbranch_scc1 .LBB147_78
; %bb.64:                               ;   in Loop: Header=BB147_63 Depth=1
	v_lshlrev_b64 v[17:18], 4, v[25:26]
	s_mov_b32 s11, exec_lo
	s_delay_alu instid0(VALU_DEP_1) | instskip(NEXT) | instid1(VALU_DEP_2)
	v_add_co_u32 v27, vcc_lo, s14, v17
	v_add_co_ci_u32_e32 v28, vcc_lo, s15, v18, vcc_lo
	;;#ASMSTART
	global_load_dwordx4 v[17:20], v[27:28] off glc	
s_waitcnt vmcnt(0)
	;;#ASMEND
	v_and_b32_e32 v20, 0xff, v18
	v_and_b32_e32 v55, 0xff00, v18
	;; [unrolled: 1-line block ×3, first 2 shown]
	v_or3_b32 v17, v17, 0, 0
	v_and_b32_e32 v18, 0xff000000, v18
	s_delay_alu instid0(VALU_DEP_4) | instskip(SKIP_1) | instid1(VALU_DEP_4)
	v_or3_b32 v20, 0, v20, v55
	v_and_b32_e32 v55, 0xff, v19
	v_or3_b32 v17, v17, 0, 0
	s_delay_alu instid0(VALU_DEP_3) | instskip(NEXT) | instid1(VALU_DEP_3)
	v_or3_b32 v18, v20, v56, v18
	v_cmpx_eq_u16_e32 0, v55
	s_cbranch_execz .LBB147_68
; %bb.65:                               ;   in Loop: Header=BB147_63 Depth=1
	s_mov_b32 s16, 0
.LBB147_66:                             ;   Parent Loop BB147_63 Depth=1
                                        ; =>  This Inner Loop Header: Depth=2
	;;#ASMSTART
	global_load_dwordx4 v[17:20], v[27:28] off glc	
s_waitcnt vmcnt(0)
	;;#ASMEND
	v_and_b32_e32 v20, 0xff, v19
	s_delay_alu instid0(VALU_DEP_1) | instskip(SKIP_1) | instid1(SALU_CYCLE_1)
	v_cmp_ne_u16_e32 vcc_lo, 0, v20
	s_or_b32 s16, vcc_lo, s16
	s_and_not1_b32 exec_lo, exec_lo, s16
	s_cbranch_execnz .LBB147_66
; %bb.67:                               ;   in Loop: Header=BB147_63 Depth=1
	s_or_b32 exec_lo, exec_lo, s16
.LBB147_68:                             ;   in Loop: Header=BB147_63 Depth=1
	s_delay_alu instid0(SALU_CYCLE_1)
	s_or_b32 exec_lo, exec_lo, s11
	v_dual_mov_b32 v27, v17 :: v_dual_and_b32 v20, 0xff, v19
	ds_bpermute_b32 v55, v45, v17
	ds_bpermute_b32 v28, v45, v18
	s_mov_b32 s11, exec_lo
	v_cmp_eq_u16_e32 vcc_lo, 2, v20
	v_and_or_b32 v20, vcc_lo, v46, 0x80000000
	s_delay_alu instid0(VALU_DEP_1) | instskip(NEXT) | instid1(VALU_DEP_1)
	v_ctz_i32_b32_e32 v20, v20
	v_cmpx_lt_u32_e64 v42, v20
	s_cbranch_execz .LBB147_70
; %bb.69:                               ;   in Loop: Header=BB147_63 Depth=1
	s_waitcnt lgkmcnt(1)
	v_add_co_u32 v27, vcc_lo, v17, v55
	v_add_co_ci_u32_e32 v18, vcc_lo, 0, v18, vcc_lo
	s_delay_alu instid0(VALU_DEP_2) | instskip(SKIP_1) | instid1(VALU_DEP_2)
	v_add_co_u32 v17, vcc_lo, 0, v27
	s_waitcnt lgkmcnt(0)
	v_add_co_ci_u32_e32 v18, vcc_lo, v28, v18, vcc_lo
.LBB147_70:                             ;   in Loop: Header=BB147_63 Depth=1
	s_or_b32 exec_lo, exec_lo, s11
	s_waitcnt lgkmcnt(1)
	ds_bpermute_b32 v55, v47, v27
	s_waitcnt lgkmcnt(1)
	ds_bpermute_b32 v28, v47, v18
	s_mov_b32 s11, exec_lo
	v_cmpx_le_u32_e64 v48, v20
	s_cbranch_execz .LBB147_72
; %bb.71:                               ;   in Loop: Header=BB147_63 Depth=1
	s_waitcnt lgkmcnt(1)
	v_add_co_u32 v27, vcc_lo, v17, v55
	v_add_co_ci_u32_e32 v18, vcc_lo, 0, v18, vcc_lo
	s_delay_alu instid0(VALU_DEP_2) | instskip(SKIP_1) | instid1(VALU_DEP_2)
	v_add_co_u32 v17, vcc_lo, 0, v27
	s_waitcnt lgkmcnt(0)
	v_add_co_ci_u32_e32 v18, vcc_lo, v28, v18, vcc_lo
.LBB147_72:                             ;   in Loop: Header=BB147_63 Depth=1
	s_or_b32 exec_lo, exec_lo, s11
	s_waitcnt lgkmcnt(1)
	ds_bpermute_b32 v55, v49, v27
	s_waitcnt lgkmcnt(1)
	ds_bpermute_b32 v28, v49, v18
	s_mov_b32 s11, exec_lo
	v_cmpx_le_u32_e64 v50, v20
	;; [unrolled: 17-line block ×3, first 2 shown]
	s_cbranch_execz .LBB147_76
; %bb.75:                               ;   in Loop: Header=BB147_63 Depth=1
	s_waitcnt lgkmcnt(1)
	v_add_co_u32 v27, vcc_lo, v17, v55
	v_add_co_ci_u32_e32 v18, vcc_lo, 0, v18, vcc_lo
	s_delay_alu instid0(VALU_DEP_2) | instskip(SKIP_1) | instid1(VALU_DEP_2)
	v_add_co_u32 v17, vcc_lo, 0, v27
	s_waitcnt lgkmcnt(0)
	v_add_co_ci_u32_e32 v18, vcc_lo, v28, v18, vcc_lo
.LBB147_76:                             ;   in Loop: Header=BB147_63 Depth=1
	s_or_b32 exec_lo, exec_lo, s11
	s_waitcnt lgkmcnt(0)
	ds_bpermute_b32 v28, v53, v27
	ds_bpermute_b32 v27, v53, v18
	s_mov_b32 s11, exec_lo
	v_cmpx_le_u32_e64 v54, v20
	s_cbranch_execz .LBB147_62
; %bb.77:                               ;   in Loop: Header=BB147_63 Depth=1
	s_waitcnt lgkmcnt(1)
	v_add_co_u32 v17, vcc_lo, v17, v28
	v_add_co_ci_u32_e32 v18, vcc_lo, 0, v18, vcc_lo
	s_delay_alu instid0(VALU_DEP_2) | instskip(SKIP_1) | instid1(VALU_DEP_2)
	v_add_co_u32 v17, vcc_lo, v17, 0
	s_waitcnt lgkmcnt(0)
	v_add_co_ci_u32_e32 v18, vcc_lo, v18, v27, vcc_lo
	s_branch .LBB147_62
.LBB147_78:                             ;   in Loop: Header=BB147_63 Depth=1
                                        ; implicit-def: $vgpr17_vgpr18
	s_cbranch_execz .LBB147_63
; %bb.79:
	s_and_saveexec_b32 s11, s1
	s_cbranch_execz .LBB147_81
; %bb.80:
	s_add_i32 s16, s9, 32
	s_mov_b32 s17, 0
	v_add_co_u32 v17, vcc_lo, v15, v13
	s_lshl_b64 s[16:17], s[16:17], 4
	v_dual_mov_b32 v19, 2 :: v_dual_mov_b32 v20, 0
	s_add_u32 s16, s14, s16
	s_addc_u32 s17, s15, s17
	v_add_co_ci_u32_e32 v18, vcc_lo, v16, v14, vcc_lo
	v_dual_mov_b32 v26, s17 :: v_dual_mov_b32 v25, s16
	;;#ASMSTART
	global_store_dwordx4 v[25:26], v[17:20] off	
s_waitcnt vmcnt(0)
	;;#ASMEND
	ds_store_b128 v20, v[13:16] offset:6144
.LBB147_81:
	s_or_b32 exec_lo, exec_lo, s11
	s_delay_alu instid0(SALU_CYCLE_1)
	s_and_b32 exec_lo, exec_lo, s2
	s_cbranch_execz .LBB147_83
; %bb.82:
	v_mov_b32_e32 v13, 0
	ds_store_b64 v13, v[15:16] offset:24
.LBB147_83:
	s_or_b32 exec_lo, exec_lo, s10
	v_mov_b32_e32 v15, 0
	s_waitcnt lgkmcnt(0)
	s_barrier
	buffer_gl0_inv
	v_cndmask_b32_e64 v16, v29, v23, s1
	ds_load_b64 v[13:14], v15 offset:24
	v_cndmask_b32_e64 v17, v30, v24, s1
	s_waitcnt lgkmcnt(0)
	s_barrier
	v_cndmask_b32_e64 v16, v16, 0, s2
	buffer_gl0_inv
	v_cndmask_b32_e64 v17, v17, 0, s2
	v_add_co_u32 v29, vcc_lo, v13, v16
	s_delay_alu instid0(VALU_DEP_2) | instskip(SKIP_3) | instid1(VALU_DEP_2)
	v_add_co_ci_u32_e32 v30, vcc_lo, v14, v17, vcc_lo
	ds_load_b128 v[13:16], v15 offset:6144
	v_add_co_u32 v27, vcc_lo, v29, v41
	v_add_co_ci_u32_e32 v28, vcc_lo, 0, v30, vcc_lo
	v_add_co_u32 v25, vcc_lo, v27, v40
	s_delay_alu instid0(VALU_DEP_2) | instskip(NEXT) | instid1(VALU_DEP_2)
	v_add_co_ci_u32_e32 v26, vcc_lo, 0, v28, vcc_lo
	v_add_co_u32 v23, vcc_lo, v25, v39
	s_delay_alu instid0(VALU_DEP_2) | instskip(NEXT) | instid1(VALU_DEP_2)
	;; [unrolled: 3-line block ×3, first 2 shown]
	v_add_co_ci_u32_e32 v20, vcc_lo, 0, v24, vcc_lo
	v_add_co_u32 v17, vcc_lo, v19, v37
	s_delay_alu instid0(VALU_DEP_2)
	v_add_co_ci_u32_e32 v18, vcc_lo, 0, v20, vcc_lo
.LBB147_84:
	s_waitcnt lgkmcnt(0)
	v_cmp_gt_u64_e32 vcc_lo, 0x81, v[13:14]
	s_mov_b32 s0, -1
	s_cbranch_vccnz .LBB147_112
.LBB147_85:
	s_and_b32 vcc_lo, exec_lo, s0
	s_cbranch_vccnz .LBB147_131
.LBB147_86:
	s_and_b32 s0, s2, s3
	s_delay_alu instid0(SALU_CYCLE_1)
	s_and_saveexec_b32 s1, s0
	s_cbranch_execnz .LBB147_147
.LBB147_87:
	s_nop 0
	s_sendmsg sendmsg(MSG_DEALLOC_VGPRS)
	s_endpgm
.LBB147_88:
                                        ; kill: def $vgpr13_vgpr14 killed $sgpr0_sgpr1 killed $exec
                                        ; implicit-def: $vgpr17_vgpr18
                                        ; implicit-def: $vgpr19_vgpr20
                                        ; implicit-def: $vgpr23_vgpr24
                                        ; implicit-def: $vgpr25_vgpr26
                                        ; implicit-def: $vgpr27_vgpr28
                                        ; implicit-def: $vgpr29_vgpr30
                                        ; implicit-def: $vgpr15_vgpr16
	s_and_b32 vcc_lo, exec_lo, s1
	s_cbranch_vccz .LBB147_84
; %bb.89:
	s_waitcnt lgkmcnt(0)
	v_dual_mov_b32 v14, 0 :: v_dual_mov_b32 v15, v21
	v_mov_b32_dpp v16, v21 row_shr:1 row_mask:0xf bank_mask:0xf
	s_delay_alu instid0(VALU_DEP_2)
	v_mov_b32_dpp v13, v14 row_shr:1 row_mask:0xf bank_mask:0xf
	s_and_saveexec_b32 s1, s0
; %bb.90:
	s_delay_alu instid0(VALU_DEP_2) | instskip(SKIP_1) | instid1(VALU_DEP_2)
	v_add_co_u32 v15, vcc_lo, v21, v16
	v_add_co_ci_u32_e32 v14, vcc_lo, 0, v22, vcc_lo
	v_add_co_u32 v21, vcc_lo, 0, v15
	s_delay_alu instid0(VALU_DEP_2) | instskip(NEXT) | instid1(VALU_DEP_1)
	v_add_co_ci_u32_e32 v22, vcc_lo, v13, v14, vcc_lo
	v_mov_b32_e32 v14, v22
; %bb.91:
	s_or_b32 exec_lo, exec_lo, s1
	v_mov_b32_dpp v13, v15 row_shr:2 row_mask:0xf bank_mask:0xf
	s_delay_alu instid0(VALU_DEP_2)
	v_mov_b32_dpp v16, v14 row_shr:2 row_mask:0xf bank_mask:0xf
	s_mov_b32 s0, exec_lo
	v_cmpx_lt_u32_e32 1, v44
; %bb.92:
	s_delay_alu instid0(VALU_DEP_3) | instskip(SKIP_1) | instid1(VALU_DEP_2)
	v_add_co_u32 v15, vcc_lo, v21, v13
	v_add_co_ci_u32_e32 v14, vcc_lo, 0, v22, vcc_lo
	v_add_co_u32 v13, vcc_lo, 0, v15
	s_delay_alu instid0(VALU_DEP_2) | instskip(NEXT) | instid1(VALU_DEP_1)
	v_add_co_ci_u32_e32 v14, vcc_lo, v16, v14, vcc_lo
	v_dual_mov_b32 v22, v14 :: v_dual_mov_b32 v21, v13
; %bb.93:
	s_or_b32 exec_lo, exec_lo, s0
	v_mov_b32_dpp v13, v15 row_shr:4 row_mask:0xf bank_mask:0xf
	v_mov_b32_dpp v16, v14 row_shr:4 row_mask:0xf bank_mask:0xf
	s_mov_b32 s0, exec_lo
	v_cmpx_lt_u32_e32 3, v44
; %bb.94:
	s_delay_alu instid0(VALU_DEP_3) | instskip(SKIP_1) | instid1(VALU_DEP_2)
	v_add_co_u32 v15, vcc_lo, v21, v13
	v_add_co_ci_u32_e32 v14, vcc_lo, 0, v22, vcc_lo
	v_add_co_u32 v13, vcc_lo, 0, v15
	s_delay_alu instid0(VALU_DEP_2) | instskip(NEXT) | instid1(VALU_DEP_1)
	v_add_co_ci_u32_e32 v14, vcc_lo, v16, v14, vcc_lo
	v_dual_mov_b32 v22, v14 :: v_dual_mov_b32 v21, v13
; %bb.95:
	s_or_b32 exec_lo, exec_lo, s0
	v_mov_b32_dpp v16, v15 row_shr:8 row_mask:0xf bank_mask:0xf
	v_mov_b32_dpp v13, v14 row_shr:8 row_mask:0xf bank_mask:0xf
	s_mov_b32 s0, exec_lo
	v_cmpx_lt_u32_e32 7, v44
; %bb.96:
	s_delay_alu instid0(VALU_DEP_3) | instskip(SKIP_1) | instid1(VALU_DEP_2)
	v_add_co_u32 v15, vcc_lo, v21, v16
	v_add_co_ci_u32_e32 v14, vcc_lo, 0, v22, vcc_lo
	v_add_co_u32 v21, vcc_lo, 0, v15
	s_delay_alu instid0(VALU_DEP_2) | instskip(NEXT) | instid1(VALU_DEP_1)
	v_add_co_ci_u32_e32 v22, vcc_lo, v13, v14, vcc_lo
	v_mov_b32_e32 v14, v22
; %bb.97:
	s_or_b32 exec_lo, exec_lo, s0
	ds_swizzle_b32 v15, v15 offset:swizzle(BROADCAST,32,15)
	ds_swizzle_b32 v13, v14 offset:swizzle(BROADCAST,32,15)
	v_and_b32_e32 v14, 16, v42
	s_mov_b32 s0, exec_lo
	s_delay_alu instid0(VALU_DEP_1)
	v_cmpx_ne_u32_e32 0, v14
	s_cbranch_execz .LBB147_99
; %bb.98:
	s_waitcnt lgkmcnt(1)
	v_add_co_u32 v14, vcc_lo, v21, v15
	v_add_co_ci_u32_e32 v15, vcc_lo, 0, v22, vcc_lo
	s_delay_alu instid0(VALU_DEP_2) | instskip(SKIP_1) | instid1(VALU_DEP_2)
	v_add_co_u32 v21, vcc_lo, v14, 0
	s_waitcnt lgkmcnt(0)
	v_add_co_ci_u32_e32 v22, vcc_lo, v15, v13, vcc_lo
.LBB147_99:
	s_or_b32 exec_lo, exec_lo, s0
	s_waitcnt lgkmcnt(0)
	v_or_b32_e32 v13, 31, v0
	v_lshrrev_b32_e32 v15, 5, v0
	s_mov_b32 s0, exec_lo
	s_delay_alu instid0(VALU_DEP_2)
	v_cmpx_eq_u32_e64 v13, v0
	s_cbranch_execz .LBB147_101
; %bb.100:
	s_delay_alu instid0(VALU_DEP_2)
	v_lshlrev_b32_e32 v13, 3, v15
	ds_store_b64 v13, v[21:22]
.LBB147_101:
	s_or_b32 exec_lo, exec_lo, s0
	s_delay_alu instid0(SALU_CYCLE_1)
	s_mov_b32 s0, exec_lo
	s_waitcnt lgkmcnt(0)
	s_barrier
	buffer_gl0_inv
	v_cmpx_gt_u32_e32 4, v0
	s_cbranch_execz .LBB147_107
; %bb.102:
	v_lshlrev_b32_e32 v13, 1, v0
	s_mov_b32 s1, exec_lo
	s_delay_alu instid0(VALU_DEP_1)
	v_add_nc_u32_e32 v16, v43, v13
	ds_load_b64 v[13:14], v16
	s_waitcnt lgkmcnt(0)
	v_dual_mov_b32 v18, v13 :: v_dual_and_b32 v17, 3, v42
	v_mov_b32_dpp v20, v13 row_shr:1 row_mask:0xf bank_mask:0xf
	v_mov_b32_dpp v19, v14 row_shr:1 row_mask:0xf bank_mask:0xf
	s_delay_alu instid0(VALU_DEP_3)
	v_cmpx_ne_u32_e32 0, v17
; %bb.103:
	s_delay_alu instid0(VALU_DEP_3) | instskip(SKIP_1) | instid1(VALU_DEP_2)
	v_add_co_u32 v18, vcc_lo, v13, v20
	v_add_co_ci_u32_e32 v14, vcc_lo, 0, v14, vcc_lo
	v_add_co_u32 v13, vcc_lo, 0, v18
	s_delay_alu instid0(VALU_DEP_2)
	v_add_co_ci_u32_e32 v14, vcc_lo, v19, v14, vcc_lo
; %bb.104:
	s_or_b32 exec_lo, exec_lo, s1
	v_mov_b32_dpp v19, v18 row_shr:2 row_mask:0xf bank_mask:0xf
	s_delay_alu instid0(VALU_DEP_2)
	v_mov_b32_dpp v18, v14 row_shr:2 row_mask:0xf bank_mask:0xf
	s_mov_b32 s1, exec_lo
	v_cmpx_lt_u32_e32 1, v17
; %bb.105:
	s_delay_alu instid0(VALU_DEP_3) | instskip(SKIP_1) | instid1(VALU_DEP_2)
	v_add_co_u32 v13, vcc_lo, v13, v19
	v_add_co_ci_u32_e32 v14, vcc_lo, 0, v14, vcc_lo
	v_add_co_u32 v13, vcc_lo, v13, 0
	s_delay_alu instid0(VALU_DEP_2)
	v_add_co_ci_u32_e32 v14, vcc_lo, v14, v18, vcc_lo
; %bb.106:
	s_or_b32 exec_lo, exec_lo, s1
	ds_store_b64 v16, v[13:14]
.LBB147_107:
	s_or_b32 exec_lo, exec_lo, s0
	v_mov_b32_e32 v17, 0
	v_mov_b32_e32 v18, 0
	s_mov_b32 s0, exec_lo
	s_waitcnt lgkmcnt(0)
	s_barrier
	buffer_gl0_inv
	v_cmpx_lt_u32_e32 31, v0
	s_cbranch_execz .LBB147_109
; %bb.108:
	v_lshl_add_u32 v13, v15, 3, -8
	ds_load_b64 v[17:18], v13
.LBB147_109:
	s_or_b32 exec_lo, exec_lo, s0
	v_dual_mov_b32 v16, 0 :: v_dual_add_nc_u32 v13, -1, v42
	s_delay_alu instid0(VALU_DEP_1) | instskip(SKIP_4) | instid1(VALU_DEP_3)
	v_cmp_gt_i32_e32 vcc_lo, 0, v13
	v_cndmask_b32_e32 v13, v13, v42, vcc_lo
	s_waitcnt lgkmcnt(0)
	v_add_co_u32 v14, vcc_lo, v17, v21
	v_add_co_ci_u32_e32 v15, vcc_lo, v18, v22, vcc_lo
	v_lshlrev_b32_e32 v13, 2, v13
	ds_bpermute_b32 v19, v13, v14
	ds_bpermute_b32 v20, v13, v15
	ds_load_b64 v[13:14], v16 offset:24
	s_and_saveexec_b32 s0, s2
	s_cbranch_execz .LBB147_111
; %bb.110:
	s_add_u32 s10, s14, 0x200
	s_addc_u32 s11, s15, 0
	s_delay_alu instid0(SALU_CYCLE_1)
	v_dual_mov_b32 v15, 2 :: v_dual_mov_b32 v22, s11
	v_mov_b32_e32 v21, s10
	s_waitcnt lgkmcnt(0)
	;;#ASMSTART
	global_store_dwordx4 v[21:22], v[13:16] off	
s_waitcnt vmcnt(0)
	;;#ASMEND
.LBB147_111:
	s_or_b32 exec_lo, exec_lo, s0
	v_cmp_eq_u32_e32 vcc_lo, 0, v42
	s_waitcnt lgkmcnt(0)
	s_barrier
	buffer_gl0_inv
	v_dual_cndmask_b32 v15, v19, v17 :: v_dual_cndmask_b32 v16, v20, v18
	s_delay_alu instid0(VALU_DEP_1) | instskip(NEXT) | instid1(VALU_DEP_2)
	v_cndmask_b32_e64 v29, v15, 0, s2
	v_cndmask_b32_e64 v30, v16, 0, s2
	v_mov_b32_e32 v15, 0
	v_mov_b32_e32 v16, 0
	s_delay_alu instid0(VALU_DEP_4) | instskip(NEXT) | instid1(VALU_DEP_4)
	v_add_co_u32 v27, vcc_lo, v29, v41
	v_add_co_ci_u32_e32 v28, vcc_lo, 0, v30, vcc_lo
	s_delay_alu instid0(VALU_DEP_2) | instskip(NEXT) | instid1(VALU_DEP_2)
	v_add_co_u32 v25, vcc_lo, v27, v40
	v_add_co_ci_u32_e32 v26, vcc_lo, 0, v28, vcc_lo
	s_delay_alu instid0(VALU_DEP_2) | instskip(NEXT) | instid1(VALU_DEP_2)
	;; [unrolled: 3-line block ×4, first 2 shown]
	v_add_co_u32 v17, vcc_lo, v19, v37
	v_add_co_ci_u32_e32 v18, vcc_lo, 0, v20, vcc_lo
	v_cmp_gt_u64_e32 vcc_lo, 0x81, v[13:14]
	s_mov_b32 s0, -1
	s_cbranch_vccz .LBB147_85
.LBB147_112:
	v_add_co_u32 v21, vcc_lo, v15, v13
	v_add_co_ci_u32_e32 v22, vcc_lo, v16, v14, vcc_lo
	s_delay_alu instid0(VALU_DEP_1) | instskip(SKIP_1) | instid1(SALU_CYCLE_1)
	v_cmp_lt_u64_e32 vcc_lo, v[29:30], v[21:22]
	s_or_b32 s1, s8, vcc_lo
	s_and_saveexec_b32 s0, s1
	s_cbranch_execz .LBB147_115
; %bb.113:
	v_and_b32_e32 v37, 1, v36
	s_delay_alu instid0(VALU_DEP_1)
	v_cmp_eq_u32_e32 vcc_lo, 1, v37
	s_and_b32 exec_lo, exec_lo, vcc_lo
	s_cbranch_execz .LBB147_115
; %bb.114:
	v_lshlrev_b64 v[37:38], 3, v[29:30]
	s_lshl_b64 s[10:11], s[6:7], 3
	s_delay_alu instid0(SALU_CYCLE_1) | instskip(SKIP_1) | instid1(VALU_DEP_1)
	s_add_u32 s1, s12, s10
	s_addc_u32 s9, s13, s11
	v_add_co_u32 v37, vcc_lo, s1, v37
	s_delay_alu instid0(VALU_DEP_2)
	v_add_co_ci_u32_e32 v38, vcc_lo, s9, v38, vcc_lo
	global_store_b64 v[37:38], v[9:10], off
.LBB147_115:
	s_or_b32 exec_lo, exec_lo, s0
	v_cmp_lt_u64_e32 vcc_lo, v[27:28], v[21:22]
	s_or_b32 s1, s8, vcc_lo
	s_delay_alu instid0(SALU_CYCLE_1)
	s_and_saveexec_b32 s0, s1
	s_cbranch_execz .LBB147_118
; %bb.116:
	v_and_b32_e32 v30, 1, v34
	s_delay_alu instid0(VALU_DEP_1)
	v_cmp_eq_u32_e32 vcc_lo, 1, v30
	s_and_b32 exec_lo, exec_lo, vcc_lo
	s_cbranch_execz .LBB147_118
; %bb.117:
	v_lshlrev_b64 v[37:38], 3, v[27:28]
	s_lshl_b64 s[10:11], s[6:7], 3
	s_delay_alu instid0(SALU_CYCLE_1) | instskip(SKIP_1) | instid1(VALU_DEP_1)
	s_add_u32 s1, s12, s10
	s_addc_u32 s9, s13, s11
	v_add_co_u32 v37, vcc_lo, s1, v37
	s_delay_alu instid0(VALU_DEP_2)
	v_add_co_ci_u32_e32 v38, vcc_lo, s9, v38, vcc_lo
	global_store_b64 v[37:38], v[11:12], off
.LBB147_118:
	s_or_b32 exec_lo, exec_lo, s0
	v_cmp_lt_u64_e32 vcc_lo, v[25:26], v[21:22]
	s_or_b32 s1, s8, vcc_lo
	s_delay_alu instid0(SALU_CYCLE_1)
	;; [unrolled: 23-line block ×5, first 2 shown]
	s_and_saveexec_b32 s0, s1
	s_cbranch_execz .LBB147_130
; %bb.128:
	v_and_b32_e32 v20, 1, v32
	s_delay_alu instid0(VALU_DEP_1)
	v_cmp_eq_u32_e32 vcc_lo, 1, v20
	s_and_b32 exec_lo, exec_lo, vcc_lo
	s_cbranch_execz .LBB147_130
; %bb.129:
	v_lshlrev_b64 v[20:21], 3, v[17:18]
	s_lshl_b64 s[8:9], s[6:7], 3
	s_delay_alu instid0(SALU_CYCLE_1) | instskip(SKIP_1) | instid1(VALU_DEP_1)
	s_add_u32 s1, s12, s8
	s_addc_u32 s8, s13, s9
	v_add_co_u32 v20, vcc_lo, s1, v20
	s_delay_alu instid0(VALU_DEP_2)
	v_add_co_ci_u32_e32 v21, vcc_lo, s8, v21, vcc_lo
	global_store_b64 v[20:21], v[3:4], off
.LBB147_130:
	s_or_b32 exec_lo, exec_lo, s0
	s_branch .LBB147_86
.LBB147_131:
	v_and_b32_e32 v18, 1, v36
	s_mov_b32 s0, exec_lo
	s_delay_alu instid0(VALU_DEP_1)
	v_cmpx_eq_u32_e32 1, v18
	s_cbranch_execz .LBB147_133
; %bb.132:
	v_sub_nc_u32_e32 v18, v29, v15
	s_delay_alu instid0(VALU_DEP_1)
	v_lshlrev_b32_e32 v18, 3, v18
	ds_store_b64 v18, v[9:10]
.LBB147_133:
	s_or_b32 exec_lo, exec_lo, s0
	v_and_b32_e32 v9, 1, v34
	s_mov_b32 s0, exec_lo
	s_delay_alu instid0(VALU_DEP_1)
	v_cmpx_eq_u32_e32 1, v9
	s_cbranch_execz .LBB147_135
; %bb.134:
	v_sub_nc_u32_e32 v9, v27, v15
	s_delay_alu instid0(VALU_DEP_1)
	v_lshlrev_b32_e32 v9, 3, v9
	ds_store_b64 v9, v[11:12]
.LBB147_135:
	s_or_b32 exec_lo, exec_lo, s0
	;; [unrolled: 12-line block ×6, first 2 shown]
	v_mov_b32_e32 v1, 0
	s_mov_b32 s1, exec_lo
	s_waitcnt lgkmcnt(0)
	s_waitcnt_vscnt null, 0x0
	s_barrier
	buffer_gl0_inv
	v_cmpx_gt_u64_e64 v[13:14], v[0:1]
	s_cbranch_execz .LBB147_146
; %bb.144:
	v_lshlrev_b64 v[4:5], 3, v[15:16]
	s_lshl_b64 s[8:9], s[6:7], 3
	v_dual_mov_b32 v3, v1 :: v_dual_mov_b32 v2, v0
	v_or_b32_e32 v0, 0x80, v0
	s_delay_alu instid0(VALU_DEP_3) | instskip(NEXT) | instid1(VALU_DEP_4)
	v_add_co_u32 v4, vcc_lo, s12, v4
	v_add_co_ci_u32_e32 v5, vcc_lo, s13, v5, vcc_lo
	s_delay_alu instid0(VALU_DEP_2) | instskip(NEXT) | instid1(VALU_DEP_2)
	v_add_co_u32 v4, vcc_lo, v4, s8
	v_add_co_ci_u32_e32 v5, vcc_lo, s9, v5, vcc_lo
	s_mov_b32 s8, 0
	.p2align	6
.LBB147_145:                            ; =>This Inner Loop Header: Depth=1
	v_lshlrev_b32_e32 v6, 3, v2
	v_lshlrev_b64 v[8:9], 3, v[2:3]
	v_mov_b32_e32 v3, v1
	v_cmp_le_u64_e32 vcc_lo, v[13:14], v[0:1]
	v_mov_b32_e32 v2, v0
	ds_load_b64 v[6:7], v6
	v_add_nc_u32_e32 v0, 0x80, v0
	v_add_co_u32 v8, s0, v4, v8
	s_delay_alu instid0(VALU_DEP_1)
	v_add_co_ci_u32_e64 v9, s0, v5, v9, s0
	s_or_b32 s8, vcc_lo, s8
	s_waitcnt lgkmcnt(0)
	global_store_b64 v[8:9], v[6:7], off
	s_and_not1_b32 exec_lo, exec_lo, s8
	s_cbranch_execnz .LBB147_145
.LBB147_146:
	s_or_b32 exec_lo, exec_lo, s1
	s_and_b32 s0, s2, s3
	s_delay_alu instid0(SALU_CYCLE_1)
	s_and_saveexec_b32 s1, s0
	s_cbranch_execz .LBB147_87
.LBB147_147:
	v_add_co_u32 v0, vcc_lo, v15, v13
	v_add_co_ci_u32_e32 v1, vcc_lo, v16, v14, vcc_lo
	v_mov_b32_e32 v2, 0
	s_delay_alu instid0(VALU_DEP_3) | instskip(NEXT) | instid1(VALU_DEP_3)
	v_add_co_u32 v0, vcc_lo, v0, s6
	v_add_co_ci_u32_e32 v1, vcc_lo, s7, v1, vcc_lo
	global_store_b64 v2, v[0:1], s[4:5]
	s_nop 0
	s_sendmsg sendmsg(MSG_DEALLOC_VGPRS)
	s_endpgm
	.section	.rodata,"a",@progbits
	.p2align	6, 0x0
	.amdhsa_kernel _ZN7rocprim17ROCPRIM_400000_NS6detail17trampoline_kernelINS0_14default_configENS1_25partition_config_selectorILNS1_17partition_subalgoE5ElNS0_10empty_typeEbEEZZNS1_14partition_implILS5_5ELb0ES3_mN6hipcub16HIPCUB_304000_NS21CountingInputIteratorIllEEPS6_NSA_22TransformInputIteratorIb7NonZeroIsEPslEENS0_5tupleIJPlS6_EEENSJ_IJSD_SD_EEES6_SK_JS6_EEE10hipError_tPvRmT3_T4_T5_T6_T7_T9_mT8_P12ihipStream_tbDpT10_ENKUlT_T0_E_clISt17integral_constantIbLb0EES15_IbLb1EEEEDaS11_S12_EUlS11_E_NS1_11comp_targetILNS1_3genE9ELNS1_11target_archE1100ELNS1_3gpuE3ELNS1_3repE0EEENS1_30default_config_static_selectorELNS0_4arch9wavefront6targetE0EEEvT1_
		.amdhsa_group_segment_fixed_size 6160
		.amdhsa_private_segment_fixed_size 0
		.amdhsa_kernarg_size 136
		.amdhsa_user_sgpr_count 15
		.amdhsa_user_sgpr_dispatch_ptr 0
		.amdhsa_user_sgpr_queue_ptr 0
		.amdhsa_user_sgpr_kernarg_segment_ptr 1
		.amdhsa_user_sgpr_dispatch_id 0
		.amdhsa_user_sgpr_private_segment_size 0
		.amdhsa_wavefront_size32 1
		.amdhsa_uses_dynamic_stack 0
		.amdhsa_enable_private_segment 0
		.amdhsa_system_sgpr_workgroup_id_x 1
		.amdhsa_system_sgpr_workgroup_id_y 0
		.amdhsa_system_sgpr_workgroup_id_z 0
		.amdhsa_system_sgpr_workgroup_info 0
		.amdhsa_system_vgpr_workitem_id 0
		.amdhsa_next_free_vgpr 57
		.amdhsa_next_free_sgpr 24
		.amdhsa_reserve_vcc 1
		.amdhsa_float_round_mode_32 0
		.amdhsa_float_round_mode_16_64 0
		.amdhsa_float_denorm_mode_32 3
		.amdhsa_float_denorm_mode_16_64 3
		.amdhsa_dx10_clamp 1
		.amdhsa_ieee_mode 1
		.amdhsa_fp16_overflow 0
		.amdhsa_workgroup_processor_mode 1
		.amdhsa_memory_ordered 1
		.amdhsa_forward_progress 0
		.amdhsa_shared_vgpr_count 0
		.amdhsa_exception_fp_ieee_invalid_op 0
		.amdhsa_exception_fp_denorm_src 0
		.amdhsa_exception_fp_ieee_div_zero 0
		.amdhsa_exception_fp_ieee_overflow 0
		.amdhsa_exception_fp_ieee_underflow 0
		.amdhsa_exception_fp_ieee_inexact 0
		.amdhsa_exception_int_div_zero 0
	.end_amdhsa_kernel
	.section	.text._ZN7rocprim17ROCPRIM_400000_NS6detail17trampoline_kernelINS0_14default_configENS1_25partition_config_selectorILNS1_17partition_subalgoE5ElNS0_10empty_typeEbEEZZNS1_14partition_implILS5_5ELb0ES3_mN6hipcub16HIPCUB_304000_NS21CountingInputIteratorIllEEPS6_NSA_22TransformInputIteratorIb7NonZeroIsEPslEENS0_5tupleIJPlS6_EEENSJ_IJSD_SD_EEES6_SK_JS6_EEE10hipError_tPvRmT3_T4_T5_T6_T7_T9_mT8_P12ihipStream_tbDpT10_ENKUlT_T0_E_clISt17integral_constantIbLb0EES15_IbLb1EEEEDaS11_S12_EUlS11_E_NS1_11comp_targetILNS1_3genE9ELNS1_11target_archE1100ELNS1_3gpuE3ELNS1_3repE0EEENS1_30default_config_static_selectorELNS0_4arch9wavefront6targetE0EEEvT1_,"axG",@progbits,_ZN7rocprim17ROCPRIM_400000_NS6detail17trampoline_kernelINS0_14default_configENS1_25partition_config_selectorILNS1_17partition_subalgoE5ElNS0_10empty_typeEbEEZZNS1_14partition_implILS5_5ELb0ES3_mN6hipcub16HIPCUB_304000_NS21CountingInputIteratorIllEEPS6_NSA_22TransformInputIteratorIb7NonZeroIsEPslEENS0_5tupleIJPlS6_EEENSJ_IJSD_SD_EEES6_SK_JS6_EEE10hipError_tPvRmT3_T4_T5_T6_T7_T9_mT8_P12ihipStream_tbDpT10_ENKUlT_T0_E_clISt17integral_constantIbLb0EES15_IbLb1EEEEDaS11_S12_EUlS11_E_NS1_11comp_targetILNS1_3genE9ELNS1_11target_archE1100ELNS1_3gpuE3ELNS1_3repE0EEENS1_30default_config_static_selectorELNS0_4arch9wavefront6targetE0EEEvT1_,comdat
.Lfunc_end147:
	.size	_ZN7rocprim17ROCPRIM_400000_NS6detail17trampoline_kernelINS0_14default_configENS1_25partition_config_selectorILNS1_17partition_subalgoE5ElNS0_10empty_typeEbEEZZNS1_14partition_implILS5_5ELb0ES3_mN6hipcub16HIPCUB_304000_NS21CountingInputIteratorIllEEPS6_NSA_22TransformInputIteratorIb7NonZeroIsEPslEENS0_5tupleIJPlS6_EEENSJ_IJSD_SD_EEES6_SK_JS6_EEE10hipError_tPvRmT3_T4_T5_T6_T7_T9_mT8_P12ihipStream_tbDpT10_ENKUlT_T0_E_clISt17integral_constantIbLb0EES15_IbLb1EEEEDaS11_S12_EUlS11_E_NS1_11comp_targetILNS1_3genE9ELNS1_11target_archE1100ELNS1_3gpuE3ELNS1_3repE0EEENS1_30default_config_static_selectorELNS0_4arch9wavefront6targetE0EEEvT1_, .Lfunc_end147-_ZN7rocprim17ROCPRIM_400000_NS6detail17trampoline_kernelINS0_14default_configENS1_25partition_config_selectorILNS1_17partition_subalgoE5ElNS0_10empty_typeEbEEZZNS1_14partition_implILS5_5ELb0ES3_mN6hipcub16HIPCUB_304000_NS21CountingInputIteratorIllEEPS6_NSA_22TransformInputIteratorIb7NonZeroIsEPslEENS0_5tupleIJPlS6_EEENSJ_IJSD_SD_EEES6_SK_JS6_EEE10hipError_tPvRmT3_T4_T5_T6_T7_T9_mT8_P12ihipStream_tbDpT10_ENKUlT_T0_E_clISt17integral_constantIbLb0EES15_IbLb1EEEEDaS11_S12_EUlS11_E_NS1_11comp_targetILNS1_3genE9ELNS1_11target_archE1100ELNS1_3gpuE3ELNS1_3repE0EEENS1_30default_config_static_selectorELNS0_4arch9wavefront6targetE0EEEvT1_
                                        ; -- End function
	.section	.AMDGPU.csdata,"",@progbits
; Kernel info:
; codeLenInByte = 6508
; NumSgprs: 26
; NumVgprs: 57
; ScratchSize: 0
; MemoryBound: 0
; FloatMode: 240
; IeeeMode: 1
; LDSByteSize: 6160 bytes/workgroup (compile time only)
; SGPRBlocks: 3
; VGPRBlocks: 7
; NumSGPRsForWavesPerEU: 26
; NumVGPRsForWavesPerEU: 57
; Occupancy: 16
; WaveLimiterHint : 1
; COMPUTE_PGM_RSRC2:SCRATCH_EN: 0
; COMPUTE_PGM_RSRC2:USER_SGPR: 15
; COMPUTE_PGM_RSRC2:TRAP_HANDLER: 0
; COMPUTE_PGM_RSRC2:TGID_X_EN: 1
; COMPUTE_PGM_RSRC2:TGID_Y_EN: 0
; COMPUTE_PGM_RSRC2:TGID_Z_EN: 0
; COMPUTE_PGM_RSRC2:TIDIG_COMP_CNT: 0
	.section	.text._ZN7rocprim17ROCPRIM_400000_NS6detail17trampoline_kernelINS0_14default_configENS1_25partition_config_selectorILNS1_17partition_subalgoE5ElNS0_10empty_typeEbEEZZNS1_14partition_implILS5_5ELb0ES3_mN6hipcub16HIPCUB_304000_NS21CountingInputIteratorIllEEPS6_NSA_22TransformInputIteratorIb7NonZeroIsEPslEENS0_5tupleIJPlS6_EEENSJ_IJSD_SD_EEES6_SK_JS6_EEE10hipError_tPvRmT3_T4_T5_T6_T7_T9_mT8_P12ihipStream_tbDpT10_ENKUlT_T0_E_clISt17integral_constantIbLb0EES15_IbLb1EEEEDaS11_S12_EUlS11_E_NS1_11comp_targetILNS1_3genE8ELNS1_11target_archE1030ELNS1_3gpuE2ELNS1_3repE0EEENS1_30default_config_static_selectorELNS0_4arch9wavefront6targetE0EEEvT1_,"axG",@progbits,_ZN7rocprim17ROCPRIM_400000_NS6detail17trampoline_kernelINS0_14default_configENS1_25partition_config_selectorILNS1_17partition_subalgoE5ElNS0_10empty_typeEbEEZZNS1_14partition_implILS5_5ELb0ES3_mN6hipcub16HIPCUB_304000_NS21CountingInputIteratorIllEEPS6_NSA_22TransformInputIteratorIb7NonZeroIsEPslEENS0_5tupleIJPlS6_EEENSJ_IJSD_SD_EEES6_SK_JS6_EEE10hipError_tPvRmT3_T4_T5_T6_T7_T9_mT8_P12ihipStream_tbDpT10_ENKUlT_T0_E_clISt17integral_constantIbLb0EES15_IbLb1EEEEDaS11_S12_EUlS11_E_NS1_11comp_targetILNS1_3genE8ELNS1_11target_archE1030ELNS1_3gpuE2ELNS1_3repE0EEENS1_30default_config_static_selectorELNS0_4arch9wavefront6targetE0EEEvT1_,comdat
	.protected	_ZN7rocprim17ROCPRIM_400000_NS6detail17trampoline_kernelINS0_14default_configENS1_25partition_config_selectorILNS1_17partition_subalgoE5ElNS0_10empty_typeEbEEZZNS1_14partition_implILS5_5ELb0ES3_mN6hipcub16HIPCUB_304000_NS21CountingInputIteratorIllEEPS6_NSA_22TransformInputIteratorIb7NonZeroIsEPslEENS0_5tupleIJPlS6_EEENSJ_IJSD_SD_EEES6_SK_JS6_EEE10hipError_tPvRmT3_T4_T5_T6_T7_T9_mT8_P12ihipStream_tbDpT10_ENKUlT_T0_E_clISt17integral_constantIbLb0EES15_IbLb1EEEEDaS11_S12_EUlS11_E_NS1_11comp_targetILNS1_3genE8ELNS1_11target_archE1030ELNS1_3gpuE2ELNS1_3repE0EEENS1_30default_config_static_selectorELNS0_4arch9wavefront6targetE0EEEvT1_ ; -- Begin function _ZN7rocprim17ROCPRIM_400000_NS6detail17trampoline_kernelINS0_14default_configENS1_25partition_config_selectorILNS1_17partition_subalgoE5ElNS0_10empty_typeEbEEZZNS1_14partition_implILS5_5ELb0ES3_mN6hipcub16HIPCUB_304000_NS21CountingInputIteratorIllEEPS6_NSA_22TransformInputIteratorIb7NonZeroIsEPslEENS0_5tupleIJPlS6_EEENSJ_IJSD_SD_EEES6_SK_JS6_EEE10hipError_tPvRmT3_T4_T5_T6_T7_T9_mT8_P12ihipStream_tbDpT10_ENKUlT_T0_E_clISt17integral_constantIbLb0EES15_IbLb1EEEEDaS11_S12_EUlS11_E_NS1_11comp_targetILNS1_3genE8ELNS1_11target_archE1030ELNS1_3gpuE2ELNS1_3repE0EEENS1_30default_config_static_selectorELNS0_4arch9wavefront6targetE0EEEvT1_
	.globl	_ZN7rocprim17ROCPRIM_400000_NS6detail17trampoline_kernelINS0_14default_configENS1_25partition_config_selectorILNS1_17partition_subalgoE5ElNS0_10empty_typeEbEEZZNS1_14partition_implILS5_5ELb0ES3_mN6hipcub16HIPCUB_304000_NS21CountingInputIteratorIllEEPS6_NSA_22TransformInputIteratorIb7NonZeroIsEPslEENS0_5tupleIJPlS6_EEENSJ_IJSD_SD_EEES6_SK_JS6_EEE10hipError_tPvRmT3_T4_T5_T6_T7_T9_mT8_P12ihipStream_tbDpT10_ENKUlT_T0_E_clISt17integral_constantIbLb0EES15_IbLb1EEEEDaS11_S12_EUlS11_E_NS1_11comp_targetILNS1_3genE8ELNS1_11target_archE1030ELNS1_3gpuE2ELNS1_3repE0EEENS1_30default_config_static_selectorELNS0_4arch9wavefront6targetE0EEEvT1_
	.p2align	8
	.type	_ZN7rocprim17ROCPRIM_400000_NS6detail17trampoline_kernelINS0_14default_configENS1_25partition_config_selectorILNS1_17partition_subalgoE5ElNS0_10empty_typeEbEEZZNS1_14partition_implILS5_5ELb0ES3_mN6hipcub16HIPCUB_304000_NS21CountingInputIteratorIllEEPS6_NSA_22TransformInputIteratorIb7NonZeroIsEPslEENS0_5tupleIJPlS6_EEENSJ_IJSD_SD_EEES6_SK_JS6_EEE10hipError_tPvRmT3_T4_T5_T6_T7_T9_mT8_P12ihipStream_tbDpT10_ENKUlT_T0_E_clISt17integral_constantIbLb0EES15_IbLb1EEEEDaS11_S12_EUlS11_E_NS1_11comp_targetILNS1_3genE8ELNS1_11target_archE1030ELNS1_3gpuE2ELNS1_3repE0EEENS1_30default_config_static_selectorELNS0_4arch9wavefront6targetE0EEEvT1_,@function
_ZN7rocprim17ROCPRIM_400000_NS6detail17trampoline_kernelINS0_14default_configENS1_25partition_config_selectorILNS1_17partition_subalgoE5ElNS0_10empty_typeEbEEZZNS1_14partition_implILS5_5ELb0ES3_mN6hipcub16HIPCUB_304000_NS21CountingInputIteratorIllEEPS6_NSA_22TransformInputIteratorIb7NonZeroIsEPslEENS0_5tupleIJPlS6_EEENSJ_IJSD_SD_EEES6_SK_JS6_EEE10hipError_tPvRmT3_T4_T5_T6_T7_T9_mT8_P12ihipStream_tbDpT10_ENKUlT_T0_E_clISt17integral_constantIbLb0EES15_IbLb1EEEEDaS11_S12_EUlS11_E_NS1_11comp_targetILNS1_3genE8ELNS1_11target_archE1030ELNS1_3gpuE2ELNS1_3repE0EEENS1_30default_config_static_selectorELNS0_4arch9wavefront6targetE0EEEvT1_: ; @_ZN7rocprim17ROCPRIM_400000_NS6detail17trampoline_kernelINS0_14default_configENS1_25partition_config_selectorILNS1_17partition_subalgoE5ElNS0_10empty_typeEbEEZZNS1_14partition_implILS5_5ELb0ES3_mN6hipcub16HIPCUB_304000_NS21CountingInputIteratorIllEEPS6_NSA_22TransformInputIteratorIb7NonZeroIsEPslEENS0_5tupleIJPlS6_EEENSJ_IJSD_SD_EEES6_SK_JS6_EEE10hipError_tPvRmT3_T4_T5_T6_T7_T9_mT8_P12ihipStream_tbDpT10_ENKUlT_T0_E_clISt17integral_constantIbLb0EES15_IbLb1EEEEDaS11_S12_EUlS11_E_NS1_11comp_targetILNS1_3genE8ELNS1_11target_archE1030ELNS1_3gpuE2ELNS1_3repE0EEENS1_30default_config_static_selectorELNS0_4arch9wavefront6targetE0EEEvT1_
; %bb.0:
	.section	.rodata,"a",@progbits
	.p2align	6, 0x0
	.amdhsa_kernel _ZN7rocprim17ROCPRIM_400000_NS6detail17trampoline_kernelINS0_14default_configENS1_25partition_config_selectorILNS1_17partition_subalgoE5ElNS0_10empty_typeEbEEZZNS1_14partition_implILS5_5ELb0ES3_mN6hipcub16HIPCUB_304000_NS21CountingInputIteratorIllEEPS6_NSA_22TransformInputIteratorIb7NonZeroIsEPslEENS0_5tupleIJPlS6_EEENSJ_IJSD_SD_EEES6_SK_JS6_EEE10hipError_tPvRmT3_T4_T5_T6_T7_T9_mT8_P12ihipStream_tbDpT10_ENKUlT_T0_E_clISt17integral_constantIbLb0EES15_IbLb1EEEEDaS11_S12_EUlS11_E_NS1_11comp_targetILNS1_3genE8ELNS1_11target_archE1030ELNS1_3gpuE2ELNS1_3repE0EEENS1_30default_config_static_selectorELNS0_4arch9wavefront6targetE0EEEvT1_
		.amdhsa_group_segment_fixed_size 0
		.amdhsa_private_segment_fixed_size 0
		.amdhsa_kernarg_size 136
		.amdhsa_user_sgpr_count 15
		.amdhsa_user_sgpr_dispatch_ptr 0
		.amdhsa_user_sgpr_queue_ptr 0
		.amdhsa_user_sgpr_kernarg_segment_ptr 1
		.amdhsa_user_sgpr_dispatch_id 0
		.amdhsa_user_sgpr_private_segment_size 0
		.amdhsa_wavefront_size32 1
		.amdhsa_uses_dynamic_stack 0
		.amdhsa_enable_private_segment 0
		.amdhsa_system_sgpr_workgroup_id_x 1
		.amdhsa_system_sgpr_workgroup_id_y 0
		.amdhsa_system_sgpr_workgroup_id_z 0
		.amdhsa_system_sgpr_workgroup_info 0
		.amdhsa_system_vgpr_workitem_id 0
		.amdhsa_next_free_vgpr 1
		.amdhsa_next_free_sgpr 1
		.amdhsa_reserve_vcc 0
		.amdhsa_float_round_mode_32 0
		.amdhsa_float_round_mode_16_64 0
		.amdhsa_float_denorm_mode_32 3
		.amdhsa_float_denorm_mode_16_64 3
		.amdhsa_dx10_clamp 1
		.amdhsa_ieee_mode 1
		.amdhsa_fp16_overflow 0
		.amdhsa_workgroup_processor_mode 1
		.amdhsa_memory_ordered 1
		.amdhsa_forward_progress 0
		.amdhsa_shared_vgpr_count 0
		.amdhsa_exception_fp_ieee_invalid_op 0
		.amdhsa_exception_fp_denorm_src 0
		.amdhsa_exception_fp_ieee_div_zero 0
		.amdhsa_exception_fp_ieee_overflow 0
		.amdhsa_exception_fp_ieee_underflow 0
		.amdhsa_exception_fp_ieee_inexact 0
		.amdhsa_exception_int_div_zero 0
	.end_amdhsa_kernel
	.section	.text._ZN7rocprim17ROCPRIM_400000_NS6detail17trampoline_kernelINS0_14default_configENS1_25partition_config_selectorILNS1_17partition_subalgoE5ElNS0_10empty_typeEbEEZZNS1_14partition_implILS5_5ELb0ES3_mN6hipcub16HIPCUB_304000_NS21CountingInputIteratorIllEEPS6_NSA_22TransformInputIteratorIb7NonZeroIsEPslEENS0_5tupleIJPlS6_EEENSJ_IJSD_SD_EEES6_SK_JS6_EEE10hipError_tPvRmT3_T4_T5_T6_T7_T9_mT8_P12ihipStream_tbDpT10_ENKUlT_T0_E_clISt17integral_constantIbLb0EES15_IbLb1EEEEDaS11_S12_EUlS11_E_NS1_11comp_targetILNS1_3genE8ELNS1_11target_archE1030ELNS1_3gpuE2ELNS1_3repE0EEENS1_30default_config_static_selectorELNS0_4arch9wavefront6targetE0EEEvT1_,"axG",@progbits,_ZN7rocprim17ROCPRIM_400000_NS6detail17trampoline_kernelINS0_14default_configENS1_25partition_config_selectorILNS1_17partition_subalgoE5ElNS0_10empty_typeEbEEZZNS1_14partition_implILS5_5ELb0ES3_mN6hipcub16HIPCUB_304000_NS21CountingInputIteratorIllEEPS6_NSA_22TransformInputIteratorIb7NonZeroIsEPslEENS0_5tupleIJPlS6_EEENSJ_IJSD_SD_EEES6_SK_JS6_EEE10hipError_tPvRmT3_T4_T5_T6_T7_T9_mT8_P12ihipStream_tbDpT10_ENKUlT_T0_E_clISt17integral_constantIbLb0EES15_IbLb1EEEEDaS11_S12_EUlS11_E_NS1_11comp_targetILNS1_3genE8ELNS1_11target_archE1030ELNS1_3gpuE2ELNS1_3repE0EEENS1_30default_config_static_selectorELNS0_4arch9wavefront6targetE0EEEvT1_,comdat
.Lfunc_end148:
	.size	_ZN7rocprim17ROCPRIM_400000_NS6detail17trampoline_kernelINS0_14default_configENS1_25partition_config_selectorILNS1_17partition_subalgoE5ElNS0_10empty_typeEbEEZZNS1_14partition_implILS5_5ELb0ES3_mN6hipcub16HIPCUB_304000_NS21CountingInputIteratorIllEEPS6_NSA_22TransformInputIteratorIb7NonZeroIsEPslEENS0_5tupleIJPlS6_EEENSJ_IJSD_SD_EEES6_SK_JS6_EEE10hipError_tPvRmT3_T4_T5_T6_T7_T9_mT8_P12ihipStream_tbDpT10_ENKUlT_T0_E_clISt17integral_constantIbLb0EES15_IbLb1EEEEDaS11_S12_EUlS11_E_NS1_11comp_targetILNS1_3genE8ELNS1_11target_archE1030ELNS1_3gpuE2ELNS1_3repE0EEENS1_30default_config_static_selectorELNS0_4arch9wavefront6targetE0EEEvT1_, .Lfunc_end148-_ZN7rocprim17ROCPRIM_400000_NS6detail17trampoline_kernelINS0_14default_configENS1_25partition_config_selectorILNS1_17partition_subalgoE5ElNS0_10empty_typeEbEEZZNS1_14partition_implILS5_5ELb0ES3_mN6hipcub16HIPCUB_304000_NS21CountingInputIteratorIllEEPS6_NSA_22TransformInputIteratorIb7NonZeroIsEPslEENS0_5tupleIJPlS6_EEENSJ_IJSD_SD_EEES6_SK_JS6_EEE10hipError_tPvRmT3_T4_T5_T6_T7_T9_mT8_P12ihipStream_tbDpT10_ENKUlT_T0_E_clISt17integral_constantIbLb0EES15_IbLb1EEEEDaS11_S12_EUlS11_E_NS1_11comp_targetILNS1_3genE8ELNS1_11target_archE1030ELNS1_3gpuE2ELNS1_3repE0EEENS1_30default_config_static_selectorELNS0_4arch9wavefront6targetE0EEEvT1_
                                        ; -- End function
	.section	.AMDGPU.csdata,"",@progbits
; Kernel info:
; codeLenInByte = 0
; NumSgprs: 0
; NumVgprs: 0
; ScratchSize: 0
; MemoryBound: 0
; FloatMode: 240
; IeeeMode: 1
; LDSByteSize: 0 bytes/workgroup (compile time only)
; SGPRBlocks: 0
; VGPRBlocks: 0
; NumSGPRsForWavesPerEU: 1
; NumVGPRsForWavesPerEU: 1
; Occupancy: 16
; WaveLimiterHint : 0
; COMPUTE_PGM_RSRC2:SCRATCH_EN: 0
; COMPUTE_PGM_RSRC2:USER_SGPR: 15
; COMPUTE_PGM_RSRC2:TRAP_HANDLER: 0
; COMPUTE_PGM_RSRC2:TGID_X_EN: 1
; COMPUTE_PGM_RSRC2:TGID_Y_EN: 0
; COMPUTE_PGM_RSRC2:TGID_Z_EN: 0
; COMPUTE_PGM_RSRC2:TIDIG_COMP_CNT: 0
	.section	.text._ZN7rocprim17ROCPRIM_400000_NS6detail17trampoline_kernelINS0_14default_configENS1_22reduce_config_selectorIlEEZNS1_11reduce_implILb1ES3_PlS7_lN6hipcub16HIPCUB_304000_NS6detail34convert_binary_result_type_wrapperINS9_3SumENS9_22TransformInputIteratorIb7NonZeroIiEPilEElEEEE10hipError_tPvRmT1_T2_T3_mT4_P12ihipStream_tbEUlT_E0_NS1_11comp_targetILNS1_3genE0ELNS1_11target_archE4294967295ELNS1_3gpuE0ELNS1_3repE0EEENS1_30default_config_static_selectorELNS0_4arch9wavefront6targetE0EEEvSM_,"axG",@progbits,_ZN7rocprim17ROCPRIM_400000_NS6detail17trampoline_kernelINS0_14default_configENS1_22reduce_config_selectorIlEEZNS1_11reduce_implILb1ES3_PlS7_lN6hipcub16HIPCUB_304000_NS6detail34convert_binary_result_type_wrapperINS9_3SumENS9_22TransformInputIteratorIb7NonZeroIiEPilEElEEEE10hipError_tPvRmT1_T2_T3_mT4_P12ihipStream_tbEUlT_E0_NS1_11comp_targetILNS1_3genE0ELNS1_11target_archE4294967295ELNS1_3gpuE0ELNS1_3repE0EEENS1_30default_config_static_selectorELNS0_4arch9wavefront6targetE0EEEvSM_,comdat
	.protected	_ZN7rocprim17ROCPRIM_400000_NS6detail17trampoline_kernelINS0_14default_configENS1_22reduce_config_selectorIlEEZNS1_11reduce_implILb1ES3_PlS7_lN6hipcub16HIPCUB_304000_NS6detail34convert_binary_result_type_wrapperINS9_3SumENS9_22TransformInputIteratorIb7NonZeroIiEPilEElEEEE10hipError_tPvRmT1_T2_T3_mT4_P12ihipStream_tbEUlT_E0_NS1_11comp_targetILNS1_3genE0ELNS1_11target_archE4294967295ELNS1_3gpuE0ELNS1_3repE0EEENS1_30default_config_static_selectorELNS0_4arch9wavefront6targetE0EEEvSM_ ; -- Begin function _ZN7rocprim17ROCPRIM_400000_NS6detail17trampoline_kernelINS0_14default_configENS1_22reduce_config_selectorIlEEZNS1_11reduce_implILb1ES3_PlS7_lN6hipcub16HIPCUB_304000_NS6detail34convert_binary_result_type_wrapperINS9_3SumENS9_22TransformInputIteratorIb7NonZeroIiEPilEElEEEE10hipError_tPvRmT1_T2_T3_mT4_P12ihipStream_tbEUlT_E0_NS1_11comp_targetILNS1_3genE0ELNS1_11target_archE4294967295ELNS1_3gpuE0ELNS1_3repE0EEENS1_30default_config_static_selectorELNS0_4arch9wavefront6targetE0EEEvSM_
	.globl	_ZN7rocprim17ROCPRIM_400000_NS6detail17trampoline_kernelINS0_14default_configENS1_22reduce_config_selectorIlEEZNS1_11reduce_implILb1ES3_PlS7_lN6hipcub16HIPCUB_304000_NS6detail34convert_binary_result_type_wrapperINS9_3SumENS9_22TransformInputIteratorIb7NonZeroIiEPilEElEEEE10hipError_tPvRmT1_T2_T3_mT4_P12ihipStream_tbEUlT_E0_NS1_11comp_targetILNS1_3genE0ELNS1_11target_archE4294967295ELNS1_3gpuE0ELNS1_3repE0EEENS1_30default_config_static_selectorELNS0_4arch9wavefront6targetE0EEEvSM_
	.p2align	8
	.type	_ZN7rocprim17ROCPRIM_400000_NS6detail17trampoline_kernelINS0_14default_configENS1_22reduce_config_selectorIlEEZNS1_11reduce_implILb1ES3_PlS7_lN6hipcub16HIPCUB_304000_NS6detail34convert_binary_result_type_wrapperINS9_3SumENS9_22TransformInputIteratorIb7NonZeroIiEPilEElEEEE10hipError_tPvRmT1_T2_T3_mT4_P12ihipStream_tbEUlT_E0_NS1_11comp_targetILNS1_3genE0ELNS1_11target_archE4294967295ELNS1_3gpuE0ELNS1_3repE0EEENS1_30default_config_static_selectorELNS0_4arch9wavefront6targetE0EEEvSM_,@function
_ZN7rocprim17ROCPRIM_400000_NS6detail17trampoline_kernelINS0_14default_configENS1_22reduce_config_selectorIlEEZNS1_11reduce_implILb1ES3_PlS7_lN6hipcub16HIPCUB_304000_NS6detail34convert_binary_result_type_wrapperINS9_3SumENS9_22TransformInputIteratorIb7NonZeroIiEPilEElEEEE10hipError_tPvRmT1_T2_T3_mT4_P12ihipStream_tbEUlT_E0_NS1_11comp_targetILNS1_3genE0ELNS1_11target_archE4294967295ELNS1_3gpuE0ELNS1_3repE0EEENS1_30default_config_static_selectorELNS0_4arch9wavefront6targetE0EEEvSM_: ; @_ZN7rocprim17ROCPRIM_400000_NS6detail17trampoline_kernelINS0_14default_configENS1_22reduce_config_selectorIlEEZNS1_11reduce_implILb1ES3_PlS7_lN6hipcub16HIPCUB_304000_NS6detail34convert_binary_result_type_wrapperINS9_3SumENS9_22TransformInputIteratorIb7NonZeroIiEPilEElEEEE10hipError_tPvRmT1_T2_T3_mT4_P12ihipStream_tbEUlT_E0_NS1_11comp_targetILNS1_3genE0ELNS1_11target_archE4294967295ELNS1_3gpuE0ELNS1_3repE0EEENS1_30default_config_static_selectorELNS0_4arch9wavefront6targetE0EEEvSM_
; %bb.0:
	.section	.rodata,"a",@progbits
	.p2align	6, 0x0
	.amdhsa_kernel _ZN7rocprim17ROCPRIM_400000_NS6detail17trampoline_kernelINS0_14default_configENS1_22reduce_config_selectorIlEEZNS1_11reduce_implILb1ES3_PlS7_lN6hipcub16HIPCUB_304000_NS6detail34convert_binary_result_type_wrapperINS9_3SumENS9_22TransformInputIteratorIb7NonZeroIiEPilEElEEEE10hipError_tPvRmT1_T2_T3_mT4_P12ihipStream_tbEUlT_E0_NS1_11comp_targetILNS1_3genE0ELNS1_11target_archE4294967295ELNS1_3gpuE0ELNS1_3repE0EEENS1_30default_config_static_selectorELNS0_4arch9wavefront6targetE0EEEvSM_
		.amdhsa_group_segment_fixed_size 0
		.amdhsa_private_segment_fixed_size 0
		.amdhsa_kernarg_size 64
		.amdhsa_user_sgpr_count 15
		.amdhsa_user_sgpr_dispatch_ptr 0
		.amdhsa_user_sgpr_queue_ptr 0
		.amdhsa_user_sgpr_kernarg_segment_ptr 1
		.amdhsa_user_sgpr_dispatch_id 0
		.amdhsa_user_sgpr_private_segment_size 0
		.amdhsa_wavefront_size32 1
		.amdhsa_uses_dynamic_stack 0
		.amdhsa_enable_private_segment 0
		.amdhsa_system_sgpr_workgroup_id_x 1
		.amdhsa_system_sgpr_workgroup_id_y 0
		.amdhsa_system_sgpr_workgroup_id_z 0
		.amdhsa_system_sgpr_workgroup_info 0
		.amdhsa_system_vgpr_workitem_id 0
		.amdhsa_next_free_vgpr 1
		.amdhsa_next_free_sgpr 1
		.amdhsa_reserve_vcc 0
		.amdhsa_float_round_mode_32 0
		.amdhsa_float_round_mode_16_64 0
		.amdhsa_float_denorm_mode_32 3
		.amdhsa_float_denorm_mode_16_64 3
		.amdhsa_dx10_clamp 1
		.amdhsa_ieee_mode 1
		.amdhsa_fp16_overflow 0
		.amdhsa_workgroup_processor_mode 1
		.amdhsa_memory_ordered 1
		.amdhsa_forward_progress 0
		.amdhsa_shared_vgpr_count 0
		.amdhsa_exception_fp_ieee_invalid_op 0
		.amdhsa_exception_fp_denorm_src 0
		.amdhsa_exception_fp_ieee_div_zero 0
		.amdhsa_exception_fp_ieee_overflow 0
		.amdhsa_exception_fp_ieee_underflow 0
		.amdhsa_exception_fp_ieee_inexact 0
		.amdhsa_exception_int_div_zero 0
	.end_amdhsa_kernel
	.section	.text._ZN7rocprim17ROCPRIM_400000_NS6detail17trampoline_kernelINS0_14default_configENS1_22reduce_config_selectorIlEEZNS1_11reduce_implILb1ES3_PlS7_lN6hipcub16HIPCUB_304000_NS6detail34convert_binary_result_type_wrapperINS9_3SumENS9_22TransformInputIteratorIb7NonZeroIiEPilEElEEEE10hipError_tPvRmT1_T2_T3_mT4_P12ihipStream_tbEUlT_E0_NS1_11comp_targetILNS1_3genE0ELNS1_11target_archE4294967295ELNS1_3gpuE0ELNS1_3repE0EEENS1_30default_config_static_selectorELNS0_4arch9wavefront6targetE0EEEvSM_,"axG",@progbits,_ZN7rocprim17ROCPRIM_400000_NS6detail17trampoline_kernelINS0_14default_configENS1_22reduce_config_selectorIlEEZNS1_11reduce_implILb1ES3_PlS7_lN6hipcub16HIPCUB_304000_NS6detail34convert_binary_result_type_wrapperINS9_3SumENS9_22TransformInputIteratorIb7NonZeroIiEPilEElEEEE10hipError_tPvRmT1_T2_T3_mT4_P12ihipStream_tbEUlT_E0_NS1_11comp_targetILNS1_3genE0ELNS1_11target_archE4294967295ELNS1_3gpuE0ELNS1_3repE0EEENS1_30default_config_static_selectorELNS0_4arch9wavefront6targetE0EEEvSM_,comdat
.Lfunc_end149:
	.size	_ZN7rocprim17ROCPRIM_400000_NS6detail17trampoline_kernelINS0_14default_configENS1_22reduce_config_selectorIlEEZNS1_11reduce_implILb1ES3_PlS7_lN6hipcub16HIPCUB_304000_NS6detail34convert_binary_result_type_wrapperINS9_3SumENS9_22TransformInputIteratorIb7NonZeroIiEPilEElEEEE10hipError_tPvRmT1_T2_T3_mT4_P12ihipStream_tbEUlT_E0_NS1_11comp_targetILNS1_3genE0ELNS1_11target_archE4294967295ELNS1_3gpuE0ELNS1_3repE0EEENS1_30default_config_static_selectorELNS0_4arch9wavefront6targetE0EEEvSM_, .Lfunc_end149-_ZN7rocprim17ROCPRIM_400000_NS6detail17trampoline_kernelINS0_14default_configENS1_22reduce_config_selectorIlEEZNS1_11reduce_implILb1ES3_PlS7_lN6hipcub16HIPCUB_304000_NS6detail34convert_binary_result_type_wrapperINS9_3SumENS9_22TransformInputIteratorIb7NonZeroIiEPilEElEEEE10hipError_tPvRmT1_T2_T3_mT4_P12ihipStream_tbEUlT_E0_NS1_11comp_targetILNS1_3genE0ELNS1_11target_archE4294967295ELNS1_3gpuE0ELNS1_3repE0EEENS1_30default_config_static_selectorELNS0_4arch9wavefront6targetE0EEEvSM_
                                        ; -- End function
	.section	.AMDGPU.csdata,"",@progbits
; Kernel info:
; codeLenInByte = 0
; NumSgprs: 0
; NumVgprs: 0
; ScratchSize: 0
; MemoryBound: 0
; FloatMode: 240
; IeeeMode: 1
; LDSByteSize: 0 bytes/workgroup (compile time only)
; SGPRBlocks: 0
; VGPRBlocks: 0
; NumSGPRsForWavesPerEU: 1
; NumVGPRsForWavesPerEU: 1
; Occupancy: 16
; WaveLimiterHint : 0
; COMPUTE_PGM_RSRC2:SCRATCH_EN: 0
; COMPUTE_PGM_RSRC2:USER_SGPR: 15
; COMPUTE_PGM_RSRC2:TRAP_HANDLER: 0
; COMPUTE_PGM_RSRC2:TGID_X_EN: 1
; COMPUTE_PGM_RSRC2:TGID_Y_EN: 0
; COMPUTE_PGM_RSRC2:TGID_Z_EN: 0
; COMPUTE_PGM_RSRC2:TIDIG_COMP_CNT: 0
	.section	.text._ZN7rocprim17ROCPRIM_400000_NS6detail17trampoline_kernelINS0_14default_configENS1_22reduce_config_selectorIlEEZNS1_11reduce_implILb1ES3_PlS7_lN6hipcub16HIPCUB_304000_NS6detail34convert_binary_result_type_wrapperINS9_3SumENS9_22TransformInputIteratorIb7NonZeroIiEPilEElEEEE10hipError_tPvRmT1_T2_T3_mT4_P12ihipStream_tbEUlT_E0_NS1_11comp_targetILNS1_3genE5ELNS1_11target_archE942ELNS1_3gpuE9ELNS1_3repE0EEENS1_30default_config_static_selectorELNS0_4arch9wavefront6targetE0EEEvSM_,"axG",@progbits,_ZN7rocprim17ROCPRIM_400000_NS6detail17trampoline_kernelINS0_14default_configENS1_22reduce_config_selectorIlEEZNS1_11reduce_implILb1ES3_PlS7_lN6hipcub16HIPCUB_304000_NS6detail34convert_binary_result_type_wrapperINS9_3SumENS9_22TransformInputIteratorIb7NonZeroIiEPilEElEEEE10hipError_tPvRmT1_T2_T3_mT4_P12ihipStream_tbEUlT_E0_NS1_11comp_targetILNS1_3genE5ELNS1_11target_archE942ELNS1_3gpuE9ELNS1_3repE0EEENS1_30default_config_static_selectorELNS0_4arch9wavefront6targetE0EEEvSM_,comdat
	.protected	_ZN7rocprim17ROCPRIM_400000_NS6detail17trampoline_kernelINS0_14default_configENS1_22reduce_config_selectorIlEEZNS1_11reduce_implILb1ES3_PlS7_lN6hipcub16HIPCUB_304000_NS6detail34convert_binary_result_type_wrapperINS9_3SumENS9_22TransformInputIteratorIb7NonZeroIiEPilEElEEEE10hipError_tPvRmT1_T2_T3_mT4_P12ihipStream_tbEUlT_E0_NS1_11comp_targetILNS1_3genE5ELNS1_11target_archE942ELNS1_3gpuE9ELNS1_3repE0EEENS1_30default_config_static_selectorELNS0_4arch9wavefront6targetE0EEEvSM_ ; -- Begin function _ZN7rocprim17ROCPRIM_400000_NS6detail17trampoline_kernelINS0_14default_configENS1_22reduce_config_selectorIlEEZNS1_11reduce_implILb1ES3_PlS7_lN6hipcub16HIPCUB_304000_NS6detail34convert_binary_result_type_wrapperINS9_3SumENS9_22TransformInputIteratorIb7NonZeroIiEPilEElEEEE10hipError_tPvRmT1_T2_T3_mT4_P12ihipStream_tbEUlT_E0_NS1_11comp_targetILNS1_3genE5ELNS1_11target_archE942ELNS1_3gpuE9ELNS1_3repE0EEENS1_30default_config_static_selectorELNS0_4arch9wavefront6targetE0EEEvSM_
	.globl	_ZN7rocprim17ROCPRIM_400000_NS6detail17trampoline_kernelINS0_14default_configENS1_22reduce_config_selectorIlEEZNS1_11reduce_implILb1ES3_PlS7_lN6hipcub16HIPCUB_304000_NS6detail34convert_binary_result_type_wrapperINS9_3SumENS9_22TransformInputIteratorIb7NonZeroIiEPilEElEEEE10hipError_tPvRmT1_T2_T3_mT4_P12ihipStream_tbEUlT_E0_NS1_11comp_targetILNS1_3genE5ELNS1_11target_archE942ELNS1_3gpuE9ELNS1_3repE0EEENS1_30default_config_static_selectorELNS0_4arch9wavefront6targetE0EEEvSM_
	.p2align	8
	.type	_ZN7rocprim17ROCPRIM_400000_NS6detail17trampoline_kernelINS0_14default_configENS1_22reduce_config_selectorIlEEZNS1_11reduce_implILb1ES3_PlS7_lN6hipcub16HIPCUB_304000_NS6detail34convert_binary_result_type_wrapperINS9_3SumENS9_22TransformInputIteratorIb7NonZeroIiEPilEElEEEE10hipError_tPvRmT1_T2_T3_mT4_P12ihipStream_tbEUlT_E0_NS1_11comp_targetILNS1_3genE5ELNS1_11target_archE942ELNS1_3gpuE9ELNS1_3repE0EEENS1_30default_config_static_selectorELNS0_4arch9wavefront6targetE0EEEvSM_,@function
_ZN7rocprim17ROCPRIM_400000_NS6detail17trampoline_kernelINS0_14default_configENS1_22reduce_config_selectorIlEEZNS1_11reduce_implILb1ES3_PlS7_lN6hipcub16HIPCUB_304000_NS6detail34convert_binary_result_type_wrapperINS9_3SumENS9_22TransformInputIteratorIb7NonZeroIiEPilEElEEEE10hipError_tPvRmT1_T2_T3_mT4_P12ihipStream_tbEUlT_E0_NS1_11comp_targetILNS1_3genE5ELNS1_11target_archE942ELNS1_3gpuE9ELNS1_3repE0EEENS1_30default_config_static_selectorELNS0_4arch9wavefront6targetE0EEEvSM_: ; @_ZN7rocprim17ROCPRIM_400000_NS6detail17trampoline_kernelINS0_14default_configENS1_22reduce_config_selectorIlEEZNS1_11reduce_implILb1ES3_PlS7_lN6hipcub16HIPCUB_304000_NS6detail34convert_binary_result_type_wrapperINS9_3SumENS9_22TransformInputIteratorIb7NonZeroIiEPilEElEEEE10hipError_tPvRmT1_T2_T3_mT4_P12ihipStream_tbEUlT_E0_NS1_11comp_targetILNS1_3genE5ELNS1_11target_archE942ELNS1_3gpuE9ELNS1_3repE0EEENS1_30default_config_static_selectorELNS0_4arch9wavefront6targetE0EEEvSM_
; %bb.0:
	.section	.rodata,"a",@progbits
	.p2align	6, 0x0
	.amdhsa_kernel _ZN7rocprim17ROCPRIM_400000_NS6detail17trampoline_kernelINS0_14default_configENS1_22reduce_config_selectorIlEEZNS1_11reduce_implILb1ES3_PlS7_lN6hipcub16HIPCUB_304000_NS6detail34convert_binary_result_type_wrapperINS9_3SumENS9_22TransformInputIteratorIb7NonZeroIiEPilEElEEEE10hipError_tPvRmT1_T2_T3_mT4_P12ihipStream_tbEUlT_E0_NS1_11comp_targetILNS1_3genE5ELNS1_11target_archE942ELNS1_3gpuE9ELNS1_3repE0EEENS1_30default_config_static_selectorELNS0_4arch9wavefront6targetE0EEEvSM_
		.amdhsa_group_segment_fixed_size 0
		.amdhsa_private_segment_fixed_size 0
		.amdhsa_kernarg_size 64
		.amdhsa_user_sgpr_count 15
		.amdhsa_user_sgpr_dispatch_ptr 0
		.amdhsa_user_sgpr_queue_ptr 0
		.amdhsa_user_sgpr_kernarg_segment_ptr 1
		.amdhsa_user_sgpr_dispatch_id 0
		.amdhsa_user_sgpr_private_segment_size 0
		.amdhsa_wavefront_size32 1
		.amdhsa_uses_dynamic_stack 0
		.amdhsa_enable_private_segment 0
		.amdhsa_system_sgpr_workgroup_id_x 1
		.amdhsa_system_sgpr_workgroup_id_y 0
		.amdhsa_system_sgpr_workgroup_id_z 0
		.amdhsa_system_sgpr_workgroup_info 0
		.amdhsa_system_vgpr_workitem_id 0
		.amdhsa_next_free_vgpr 1
		.amdhsa_next_free_sgpr 1
		.amdhsa_reserve_vcc 0
		.amdhsa_float_round_mode_32 0
		.amdhsa_float_round_mode_16_64 0
		.amdhsa_float_denorm_mode_32 3
		.amdhsa_float_denorm_mode_16_64 3
		.amdhsa_dx10_clamp 1
		.amdhsa_ieee_mode 1
		.amdhsa_fp16_overflow 0
		.amdhsa_workgroup_processor_mode 1
		.amdhsa_memory_ordered 1
		.amdhsa_forward_progress 0
		.amdhsa_shared_vgpr_count 0
		.amdhsa_exception_fp_ieee_invalid_op 0
		.amdhsa_exception_fp_denorm_src 0
		.amdhsa_exception_fp_ieee_div_zero 0
		.amdhsa_exception_fp_ieee_overflow 0
		.amdhsa_exception_fp_ieee_underflow 0
		.amdhsa_exception_fp_ieee_inexact 0
		.amdhsa_exception_int_div_zero 0
	.end_amdhsa_kernel
	.section	.text._ZN7rocprim17ROCPRIM_400000_NS6detail17trampoline_kernelINS0_14default_configENS1_22reduce_config_selectorIlEEZNS1_11reduce_implILb1ES3_PlS7_lN6hipcub16HIPCUB_304000_NS6detail34convert_binary_result_type_wrapperINS9_3SumENS9_22TransformInputIteratorIb7NonZeroIiEPilEElEEEE10hipError_tPvRmT1_T2_T3_mT4_P12ihipStream_tbEUlT_E0_NS1_11comp_targetILNS1_3genE5ELNS1_11target_archE942ELNS1_3gpuE9ELNS1_3repE0EEENS1_30default_config_static_selectorELNS0_4arch9wavefront6targetE0EEEvSM_,"axG",@progbits,_ZN7rocprim17ROCPRIM_400000_NS6detail17trampoline_kernelINS0_14default_configENS1_22reduce_config_selectorIlEEZNS1_11reduce_implILb1ES3_PlS7_lN6hipcub16HIPCUB_304000_NS6detail34convert_binary_result_type_wrapperINS9_3SumENS9_22TransformInputIteratorIb7NonZeroIiEPilEElEEEE10hipError_tPvRmT1_T2_T3_mT4_P12ihipStream_tbEUlT_E0_NS1_11comp_targetILNS1_3genE5ELNS1_11target_archE942ELNS1_3gpuE9ELNS1_3repE0EEENS1_30default_config_static_selectorELNS0_4arch9wavefront6targetE0EEEvSM_,comdat
.Lfunc_end150:
	.size	_ZN7rocprim17ROCPRIM_400000_NS6detail17trampoline_kernelINS0_14default_configENS1_22reduce_config_selectorIlEEZNS1_11reduce_implILb1ES3_PlS7_lN6hipcub16HIPCUB_304000_NS6detail34convert_binary_result_type_wrapperINS9_3SumENS9_22TransformInputIteratorIb7NonZeroIiEPilEElEEEE10hipError_tPvRmT1_T2_T3_mT4_P12ihipStream_tbEUlT_E0_NS1_11comp_targetILNS1_3genE5ELNS1_11target_archE942ELNS1_3gpuE9ELNS1_3repE0EEENS1_30default_config_static_selectorELNS0_4arch9wavefront6targetE0EEEvSM_, .Lfunc_end150-_ZN7rocprim17ROCPRIM_400000_NS6detail17trampoline_kernelINS0_14default_configENS1_22reduce_config_selectorIlEEZNS1_11reduce_implILb1ES3_PlS7_lN6hipcub16HIPCUB_304000_NS6detail34convert_binary_result_type_wrapperINS9_3SumENS9_22TransformInputIteratorIb7NonZeroIiEPilEElEEEE10hipError_tPvRmT1_T2_T3_mT4_P12ihipStream_tbEUlT_E0_NS1_11comp_targetILNS1_3genE5ELNS1_11target_archE942ELNS1_3gpuE9ELNS1_3repE0EEENS1_30default_config_static_selectorELNS0_4arch9wavefront6targetE0EEEvSM_
                                        ; -- End function
	.section	.AMDGPU.csdata,"",@progbits
; Kernel info:
; codeLenInByte = 0
; NumSgprs: 0
; NumVgprs: 0
; ScratchSize: 0
; MemoryBound: 0
; FloatMode: 240
; IeeeMode: 1
; LDSByteSize: 0 bytes/workgroup (compile time only)
; SGPRBlocks: 0
; VGPRBlocks: 0
; NumSGPRsForWavesPerEU: 1
; NumVGPRsForWavesPerEU: 1
; Occupancy: 16
; WaveLimiterHint : 0
; COMPUTE_PGM_RSRC2:SCRATCH_EN: 0
; COMPUTE_PGM_RSRC2:USER_SGPR: 15
; COMPUTE_PGM_RSRC2:TRAP_HANDLER: 0
; COMPUTE_PGM_RSRC2:TGID_X_EN: 1
; COMPUTE_PGM_RSRC2:TGID_Y_EN: 0
; COMPUTE_PGM_RSRC2:TGID_Z_EN: 0
; COMPUTE_PGM_RSRC2:TIDIG_COMP_CNT: 0
	.section	.text._ZN7rocprim17ROCPRIM_400000_NS6detail17trampoline_kernelINS0_14default_configENS1_22reduce_config_selectorIlEEZNS1_11reduce_implILb1ES3_PlS7_lN6hipcub16HIPCUB_304000_NS6detail34convert_binary_result_type_wrapperINS9_3SumENS9_22TransformInputIteratorIb7NonZeroIiEPilEElEEEE10hipError_tPvRmT1_T2_T3_mT4_P12ihipStream_tbEUlT_E0_NS1_11comp_targetILNS1_3genE4ELNS1_11target_archE910ELNS1_3gpuE8ELNS1_3repE0EEENS1_30default_config_static_selectorELNS0_4arch9wavefront6targetE0EEEvSM_,"axG",@progbits,_ZN7rocprim17ROCPRIM_400000_NS6detail17trampoline_kernelINS0_14default_configENS1_22reduce_config_selectorIlEEZNS1_11reduce_implILb1ES3_PlS7_lN6hipcub16HIPCUB_304000_NS6detail34convert_binary_result_type_wrapperINS9_3SumENS9_22TransformInputIteratorIb7NonZeroIiEPilEElEEEE10hipError_tPvRmT1_T2_T3_mT4_P12ihipStream_tbEUlT_E0_NS1_11comp_targetILNS1_3genE4ELNS1_11target_archE910ELNS1_3gpuE8ELNS1_3repE0EEENS1_30default_config_static_selectorELNS0_4arch9wavefront6targetE0EEEvSM_,comdat
	.protected	_ZN7rocprim17ROCPRIM_400000_NS6detail17trampoline_kernelINS0_14default_configENS1_22reduce_config_selectorIlEEZNS1_11reduce_implILb1ES3_PlS7_lN6hipcub16HIPCUB_304000_NS6detail34convert_binary_result_type_wrapperINS9_3SumENS9_22TransformInputIteratorIb7NonZeroIiEPilEElEEEE10hipError_tPvRmT1_T2_T3_mT4_P12ihipStream_tbEUlT_E0_NS1_11comp_targetILNS1_3genE4ELNS1_11target_archE910ELNS1_3gpuE8ELNS1_3repE0EEENS1_30default_config_static_selectorELNS0_4arch9wavefront6targetE0EEEvSM_ ; -- Begin function _ZN7rocprim17ROCPRIM_400000_NS6detail17trampoline_kernelINS0_14default_configENS1_22reduce_config_selectorIlEEZNS1_11reduce_implILb1ES3_PlS7_lN6hipcub16HIPCUB_304000_NS6detail34convert_binary_result_type_wrapperINS9_3SumENS9_22TransformInputIteratorIb7NonZeroIiEPilEElEEEE10hipError_tPvRmT1_T2_T3_mT4_P12ihipStream_tbEUlT_E0_NS1_11comp_targetILNS1_3genE4ELNS1_11target_archE910ELNS1_3gpuE8ELNS1_3repE0EEENS1_30default_config_static_selectorELNS0_4arch9wavefront6targetE0EEEvSM_
	.globl	_ZN7rocprim17ROCPRIM_400000_NS6detail17trampoline_kernelINS0_14default_configENS1_22reduce_config_selectorIlEEZNS1_11reduce_implILb1ES3_PlS7_lN6hipcub16HIPCUB_304000_NS6detail34convert_binary_result_type_wrapperINS9_3SumENS9_22TransformInputIteratorIb7NonZeroIiEPilEElEEEE10hipError_tPvRmT1_T2_T3_mT4_P12ihipStream_tbEUlT_E0_NS1_11comp_targetILNS1_3genE4ELNS1_11target_archE910ELNS1_3gpuE8ELNS1_3repE0EEENS1_30default_config_static_selectorELNS0_4arch9wavefront6targetE0EEEvSM_
	.p2align	8
	.type	_ZN7rocprim17ROCPRIM_400000_NS6detail17trampoline_kernelINS0_14default_configENS1_22reduce_config_selectorIlEEZNS1_11reduce_implILb1ES3_PlS7_lN6hipcub16HIPCUB_304000_NS6detail34convert_binary_result_type_wrapperINS9_3SumENS9_22TransformInputIteratorIb7NonZeroIiEPilEElEEEE10hipError_tPvRmT1_T2_T3_mT4_P12ihipStream_tbEUlT_E0_NS1_11comp_targetILNS1_3genE4ELNS1_11target_archE910ELNS1_3gpuE8ELNS1_3repE0EEENS1_30default_config_static_selectorELNS0_4arch9wavefront6targetE0EEEvSM_,@function
_ZN7rocprim17ROCPRIM_400000_NS6detail17trampoline_kernelINS0_14default_configENS1_22reduce_config_selectorIlEEZNS1_11reduce_implILb1ES3_PlS7_lN6hipcub16HIPCUB_304000_NS6detail34convert_binary_result_type_wrapperINS9_3SumENS9_22TransformInputIteratorIb7NonZeroIiEPilEElEEEE10hipError_tPvRmT1_T2_T3_mT4_P12ihipStream_tbEUlT_E0_NS1_11comp_targetILNS1_3genE4ELNS1_11target_archE910ELNS1_3gpuE8ELNS1_3repE0EEENS1_30default_config_static_selectorELNS0_4arch9wavefront6targetE0EEEvSM_: ; @_ZN7rocprim17ROCPRIM_400000_NS6detail17trampoline_kernelINS0_14default_configENS1_22reduce_config_selectorIlEEZNS1_11reduce_implILb1ES3_PlS7_lN6hipcub16HIPCUB_304000_NS6detail34convert_binary_result_type_wrapperINS9_3SumENS9_22TransformInputIteratorIb7NonZeroIiEPilEElEEEE10hipError_tPvRmT1_T2_T3_mT4_P12ihipStream_tbEUlT_E0_NS1_11comp_targetILNS1_3genE4ELNS1_11target_archE910ELNS1_3gpuE8ELNS1_3repE0EEENS1_30default_config_static_selectorELNS0_4arch9wavefront6targetE0EEEvSM_
; %bb.0:
	.section	.rodata,"a",@progbits
	.p2align	6, 0x0
	.amdhsa_kernel _ZN7rocprim17ROCPRIM_400000_NS6detail17trampoline_kernelINS0_14default_configENS1_22reduce_config_selectorIlEEZNS1_11reduce_implILb1ES3_PlS7_lN6hipcub16HIPCUB_304000_NS6detail34convert_binary_result_type_wrapperINS9_3SumENS9_22TransformInputIteratorIb7NonZeroIiEPilEElEEEE10hipError_tPvRmT1_T2_T3_mT4_P12ihipStream_tbEUlT_E0_NS1_11comp_targetILNS1_3genE4ELNS1_11target_archE910ELNS1_3gpuE8ELNS1_3repE0EEENS1_30default_config_static_selectorELNS0_4arch9wavefront6targetE0EEEvSM_
		.amdhsa_group_segment_fixed_size 0
		.amdhsa_private_segment_fixed_size 0
		.amdhsa_kernarg_size 64
		.amdhsa_user_sgpr_count 15
		.amdhsa_user_sgpr_dispatch_ptr 0
		.amdhsa_user_sgpr_queue_ptr 0
		.amdhsa_user_sgpr_kernarg_segment_ptr 1
		.amdhsa_user_sgpr_dispatch_id 0
		.amdhsa_user_sgpr_private_segment_size 0
		.amdhsa_wavefront_size32 1
		.amdhsa_uses_dynamic_stack 0
		.amdhsa_enable_private_segment 0
		.amdhsa_system_sgpr_workgroup_id_x 1
		.amdhsa_system_sgpr_workgroup_id_y 0
		.amdhsa_system_sgpr_workgroup_id_z 0
		.amdhsa_system_sgpr_workgroup_info 0
		.amdhsa_system_vgpr_workitem_id 0
		.amdhsa_next_free_vgpr 1
		.amdhsa_next_free_sgpr 1
		.amdhsa_reserve_vcc 0
		.amdhsa_float_round_mode_32 0
		.amdhsa_float_round_mode_16_64 0
		.amdhsa_float_denorm_mode_32 3
		.amdhsa_float_denorm_mode_16_64 3
		.amdhsa_dx10_clamp 1
		.amdhsa_ieee_mode 1
		.amdhsa_fp16_overflow 0
		.amdhsa_workgroup_processor_mode 1
		.amdhsa_memory_ordered 1
		.amdhsa_forward_progress 0
		.amdhsa_shared_vgpr_count 0
		.amdhsa_exception_fp_ieee_invalid_op 0
		.amdhsa_exception_fp_denorm_src 0
		.amdhsa_exception_fp_ieee_div_zero 0
		.amdhsa_exception_fp_ieee_overflow 0
		.amdhsa_exception_fp_ieee_underflow 0
		.amdhsa_exception_fp_ieee_inexact 0
		.amdhsa_exception_int_div_zero 0
	.end_amdhsa_kernel
	.section	.text._ZN7rocprim17ROCPRIM_400000_NS6detail17trampoline_kernelINS0_14default_configENS1_22reduce_config_selectorIlEEZNS1_11reduce_implILb1ES3_PlS7_lN6hipcub16HIPCUB_304000_NS6detail34convert_binary_result_type_wrapperINS9_3SumENS9_22TransformInputIteratorIb7NonZeroIiEPilEElEEEE10hipError_tPvRmT1_T2_T3_mT4_P12ihipStream_tbEUlT_E0_NS1_11comp_targetILNS1_3genE4ELNS1_11target_archE910ELNS1_3gpuE8ELNS1_3repE0EEENS1_30default_config_static_selectorELNS0_4arch9wavefront6targetE0EEEvSM_,"axG",@progbits,_ZN7rocprim17ROCPRIM_400000_NS6detail17trampoline_kernelINS0_14default_configENS1_22reduce_config_selectorIlEEZNS1_11reduce_implILb1ES3_PlS7_lN6hipcub16HIPCUB_304000_NS6detail34convert_binary_result_type_wrapperINS9_3SumENS9_22TransformInputIteratorIb7NonZeroIiEPilEElEEEE10hipError_tPvRmT1_T2_T3_mT4_P12ihipStream_tbEUlT_E0_NS1_11comp_targetILNS1_3genE4ELNS1_11target_archE910ELNS1_3gpuE8ELNS1_3repE0EEENS1_30default_config_static_selectorELNS0_4arch9wavefront6targetE0EEEvSM_,comdat
.Lfunc_end151:
	.size	_ZN7rocprim17ROCPRIM_400000_NS6detail17trampoline_kernelINS0_14default_configENS1_22reduce_config_selectorIlEEZNS1_11reduce_implILb1ES3_PlS7_lN6hipcub16HIPCUB_304000_NS6detail34convert_binary_result_type_wrapperINS9_3SumENS9_22TransformInputIteratorIb7NonZeroIiEPilEElEEEE10hipError_tPvRmT1_T2_T3_mT4_P12ihipStream_tbEUlT_E0_NS1_11comp_targetILNS1_3genE4ELNS1_11target_archE910ELNS1_3gpuE8ELNS1_3repE0EEENS1_30default_config_static_selectorELNS0_4arch9wavefront6targetE0EEEvSM_, .Lfunc_end151-_ZN7rocprim17ROCPRIM_400000_NS6detail17trampoline_kernelINS0_14default_configENS1_22reduce_config_selectorIlEEZNS1_11reduce_implILb1ES3_PlS7_lN6hipcub16HIPCUB_304000_NS6detail34convert_binary_result_type_wrapperINS9_3SumENS9_22TransformInputIteratorIb7NonZeroIiEPilEElEEEE10hipError_tPvRmT1_T2_T3_mT4_P12ihipStream_tbEUlT_E0_NS1_11comp_targetILNS1_3genE4ELNS1_11target_archE910ELNS1_3gpuE8ELNS1_3repE0EEENS1_30default_config_static_selectorELNS0_4arch9wavefront6targetE0EEEvSM_
                                        ; -- End function
	.section	.AMDGPU.csdata,"",@progbits
; Kernel info:
; codeLenInByte = 0
; NumSgprs: 0
; NumVgprs: 0
; ScratchSize: 0
; MemoryBound: 0
; FloatMode: 240
; IeeeMode: 1
; LDSByteSize: 0 bytes/workgroup (compile time only)
; SGPRBlocks: 0
; VGPRBlocks: 0
; NumSGPRsForWavesPerEU: 1
; NumVGPRsForWavesPerEU: 1
; Occupancy: 16
; WaveLimiterHint : 0
; COMPUTE_PGM_RSRC2:SCRATCH_EN: 0
; COMPUTE_PGM_RSRC2:USER_SGPR: 15
; COMPUTE_PGM_RSRC2:TRAP_HANDLER: 0
; COMPUTE_PGM_RSRC2:TGID_X_EN: 1
; COMPUTE_PGM_RSRC2:TGID_Y_EN: 0
; COMPUTE_PGM_RSRC2:TGID_Z_EN: 0
; COMPUTE_PGM_RSRC2:TIDIG_COMP_CNT: 0
	.section	.text._ZN7rocprim17ROCPRIM_400000_NS6detail17trampoline_kernelINS0_14default_configENS1_22reduce_config_selectorIlEEZNS1_11reduce_implILb1ES3_PlS7_lN6hipcub16HIPCUB_304000_NS6detail34convert_binary_result_type_wrapperINS9_3SumENS9_22TransformInputIteratorIb7NonZeroIiEPilEElEEEE10hipError_tPvRmT1_T2_T3_mT4_P12ihipStream_tbEUlT_E0_NS1_11comp_targetILNS1_3genE3ELNS1_11target_archE908ELNS1_3gpuE7ELNS1_3repE0EEENS1_30default_config_static_selectorELNS0_4arch9wavefront6targetE0EEEvSM_,"axG",@progbits,_ZN7rocprim17ROCPRIM_400000_NS6detail17trampoline_kernelINS0_14default_configENS1_22reduce_config_selectorIlEEZNS1_11reduce_implILb1ES3_PlS7_lN6hipcub16HIPCUB_304000_NS6detail34convert_binary_result_type_wrapperINS9_3SumENS9_22TransformInputIteratorIb7NonZeroIiEPilEElEEEE10hipError_tPvRmT1_T2_T3_mT4_P12ihipStream_tbEUlT_E0_NS1_11comp_targetILNS1_3genE3ELNS1_11target_archE908ELNS1_3gpuE7ELNS1_3repE0EEENS1_30default_config_static_selectorELNS0_4arch9wavefront6targetE0EEEvSM_,comdat
	.protected	_ZN7rocprim17ROCPRIM_400000_NS6detail17trampoline_kernelINS0_14default_configENS1_22reduce_config_selectorIlEEZNS1_11reduce_implILb1ES3_PlS7_lN6hipcub16HIPCUB_304000_NS6detail34convert_binary_result_type_wrapperINS9_3SumENS9_22TransformInputIteratorIb7NonZeroIiEPilEElEEEE10hipError_tPvRmT1_T2_T3_mT4_P12ihipStream_tbEUlT_E0_NS1_11comp_targetILNS1_3genE3ELNS1_11target_archE908ELNS1_3gpuE7ELNS1_3repE0EEENS1_30default_config_static_selectorELNS0_4arch9wavefront6targetE0EEEvSM_ ; -- Begin function _ZN7rocprim17ROCPRIM_400000_NS6detail17trampoline_kernelINS0_14default_configENS1_22reduce_config_selectorIlEEZNS1_11reduce_implILb1ES3_PlS7_lN6hipcub16HIPCUB_304000_NS6detail34convert_binary_result_type_wrapperINS9_3SumENS9_22TransformInputIteratorIb7NonZeroIiEPilEElEEEE10hipError_tPvRmT1_T2_T3_mT4_P12ihipStream_tbEUlT_E0_NS1_11comp_targetILNS1_3genE3ELNS1_11target_archE908ELNS1_3gpuE7ELNS1_3repE0EEENS1_30default_config_static_selectorELNS0_4arch9wavefront6targetE0EEEvSM_
	.globl	_ZN7rocprim17ROCPRIM_400000_NS6detail17trampoline_kernelINS0_14default_configENS1_22reduce_config_selectorIlEEZNS1_11reduce_implILb1ES3_PlS7_lN6hipcub16HIPCUB_304000_NS6detail34convert_binary_result_type_wrapperINS9_3SumENS9_22TransformInputIteratorIb7NonZeroIiEPilEElEEEE10hipError_tPvRmT1_T2_T3_mT4_P12ihipStream_tbEUlT_E0_NS1_11comp_targetILNS1_3genE3ELNS1_11target_archE908ELNS1_3gpuE7ELNS1_3repE0EEENS1_30default_config_static_selectorELNS0_4arch9wavefront6targetE0EEEvSM_
	.p2align	8
	.type	_ZN7rocprim17ROCPRIM_400000_NS6detail17trampoline_kernelINS0_14default_configENS1_22reduce_config_selectorIlEEZNS1_11reduce_implILb1ES3_PlS7_lN6hipcub16HIPCUB_304000_NS6detail34convert_binary_result_type_wrapperINS9_3SumENS9_22TransformInputIteratorIb7NonZeroIiEPilEElEEEE10hipError_tPvRmT1_T2_T3_mT4_P12ihipStream_tbEUlT_E0_NS1_11comp_targetILNS1_3genE3ELNS1_11target_archE908ELNS1_3gpuE7ELNS1_3repE0EEENS1_30default_config_static_selectorELNS0_4arch9wavefront6targetE0EEEvSM_,@function
_ZN7rocprim17ROCPRIM_400000_NS6detail17trampoline_kernelINS0_14default_configENS1_22reduce_config_selectorIlEEZNS1_11reduce_implILb1ES3_PlS7_lN6hipcub16HIPCUB_304000_NS6detail34convert_binary_result_type_wrapperINS9_3SumENS9_22TransformInputIteratorIb7NonZeroIiEPilEElEEEE10hipError_tPvRmT1_T2_T3_mT4_P12ihipStream_tbEUlT_E0_NS1_11comp_targetILNS1_3genE3ELNS1_11target_archE908ELNS1_3gpuE7ELNS1_3repE0EEENS1_30default_config_static_selectorELNS0_4arch9wavefront6targetE0EEEvSM_: ; @_ZN7rocprim17ROCPRIM_400000_NS6detail17trampoline_kernelINS0_14default_configENS1_22reduce_config_selectorIlEEZNS1_11reduce_implILb1ES3_PlS7_lN6hipcub16HIPCUB_304000_NS6detail34convert_binary_result_type_wrapperINS9_3SumENS9_22TransformInputIteratorIb7NonZeroIiEPilEElEEEE10hipError_tPvRmT1_T2_T3_mT4_P12ihipStream_tbEUlT_E0_NS1_11comp_targetILNS1_3genE3ELNS1_11target_archE908ELNS1_3gpuE7ELNS1_3repE0EEENS1_30default_config_static_selectorELNS0_4arch9wavefront6targetE0EEEvSM_
; %bb.0:
	.section	.rodata,"a",@progbits
	.p2align	6, 0x0
	.amdhsa_kernel _ZN7rocprim17ROCPRIM_400000_NS6detail17trampoline_kernelINS0_14default_configENS1_22reduce_config_selectorIlEEZNS1_11reduce_implILb1ES3_PlS7_lN6hipcub16HIPCUB_304000_NS6detail34convert_binary_result_type_wrapperINS9_3SumENS9_22TransformInputIteratorIb7NonZeroIiEPilEElEEEE10hipError_tPvRmT1_T2_T3_mT4_P12ihipStream_tbEUlT_E0_NS1_11comp_targetILNS1_3genE3ELNS1_11target_archE908ELNS1_3gpuE7ELNS1_3repE0EEENS1_30default_config_static_selectorELNS0_4arch9wavefront6targetE0EEEvSM_
		.amdhsa_group_segment_fixed_size 0
		.amdhsa_private_segment_fixed_size 0
		.amdhsa_kernarg_size 64
		.amdhsa_user_sgpr_count 15
		.amdhsa_user_sgpr_dispatch_ptr 0
		.amdhsa_user_sgpr_queue_ptr 0
		.amdhsa_user_sgpr_kernarg_segment_ptr 1
		.amdhsa_user_sgpr_dispatch_id 0
		.amdhsa_user_sgpr_private_segment_size 0
		.amdhsa_wavefront_size32 1
		.amdhsa_uses_dynamic_stack 0
		.amdhsa_enable_private_segment 0
		.amdhsa_system_sgpr_workgroup_id_x 1
		.amdhsa_system_sgpr_workgroup_id_y 0
		.amdhsa_system_sgpr_workgroup_id_z 0
		.amdhsa_system_sgpr_workgroup_info 0
		.amdhsa_system_vgpr_workitem_id 0
		.amdhsa_next_free_vgpr 1
		.amdhsa_next_free_sgpr 1
		.amdhsa_reserve_vcc 0
		.amdhsa_float_round_mode_32 0
		.amdhsa_float_round_mode_16_64 0
		.amdhsa_float_denorm_mode_32 3
		.amdhsa_float_denorm_mode_16_64 3
		.amdhsa_dx10_clamp 1
		.amdhsa_ieee_mode 1
		.amdhsa_fp16_overflow 0
		.amdhsa_workgroup_processor_mode 1
		.amdhsa_memory_ordered 1
		.amdhsa_forward_progress 0
		.amdhsa_shared_vgpr_count 0
		.amdhsa_exception_fp_ieee_invalid_op 0
		.amdhsa_exception_fp_denorm_src 0
		.amdhsa_exception_fp_ieee_div_zero 0
		.amdhsa_exception_fp_ieee_overflow 0
		.amdhsa_exception_fp_ieee_underflow 0
		.amdhsa_exception_fp_ieee_inexact 0
		.amdhsa_exception_int_div_zero 0
	.end_amdhsa_kernel
	.section	.text._ZN7rocprim17ROCPRIM_400000_NS6detail17trampoline_kernelINS0_14default_configENS1_22reduce_config_selectorIlEEZNS1_11reduce_implILb1ES3_PlS7_lN6hipcub16HIPCUB_304000_NS6detail34convert_binary_result_type_wrapperINS9_3SumENS9_22TransformInputIteratorIb7NonZeroIiEPilEElEEEE10hipError_tPvRmT1_T2_T3_mT4_P12ihipStream_tbEUlT_E0_NS1_11comp_targetILNS1_3genE3ELNS1_11target_archE908ELNS1_3gpuE7ELNS1_3repE0EEENS1_30default_config_static_selectorELNS0_4arch9wavefront6targetE0EEEvSM_,"axG",@progbits,_ZN7rocprim17ROCPRIM_400000_NS6detail17trampoline_kernelINS0_14default_configENS1_22reduce_config_selectorIlEEZNS1_11reduce_implILb1ES3_PlS7_lN6hipcub16HIPCUB_304000_NS6detail34convert_binary_result_type_wrapperINS9_3SumENS9_22TransformInputIteratorIb7NonZeroIiEPilEElEEEE10hipError_tPvRmT1_T2_T3_mT4_P12ihipStream_tbEUlT_E0_NS1_11comp_targetILNS1_3genE3ELNS1_11target_archE908ELNS1_3gpuE7ELNS1_3repE0EEENS1_30default_config_static_selectorELNS0_4arch9wavefront6targetE0EEEvSM_,comdat
.Lfunc_end152:
	.size	_ZN7rocprim17ROCPRIM_400000_NS6detail17trampoline_kernelINS0_14default_configENS1_22reduce_config_selectorIlEEZNS1_11reduce_implILb1ES3_PlS7_lN6hipcub16HIPCUB_304000_NS6detail34convert_binary_result_type_wrapperINS9_3SumENS9_22TransformInputIteratorIb7NonZeroIiEPilEElEEEE10hipError_tPvRmT1_T2_T3_mT4_P12ihipStream_tbEUlT_E0_NS1_11comp_targetILNS1_3genE3ELNS1_11target_archE908ELNS1_3gpuE7ELNS1_3repE0EEENS1_30default_config_static_selectorELNS0_4arch9wavefront6targetE0EEEvSM_, .Lfunc_end152-_ZN7rocprim17ROCPRIM_400000_NS6detail17trampoline_kernelINS0_14default_configENS1_22reduce_config_selectorIlEEZNS1_11reduce_implILb1ES3_PlS7_lN6hipcub16HIPCUB_304000_NS6detail34convert_binary_result_type_wrapperINS9_3SumENS9_22TransformInputIteratorIb7NonZeroIiEPilEElEEEE10hipError_tPvRmT1_T2_T3_mT4_P12ihipStream_tbEUlT_E0_NS1_11comp_targetILNS1_3genE3ELNS1_11target_archE908ELNS1_3gpuE7ELNS1_3repE0EEENS1_30default_config_static_selectorELNS0_4arch9wavefront6targetE0EEEvSM_
                                        ; -- End function
	.section	.AMDGPU.csdata,"",@progbits
; Kernel info:
; codeLenInByte = 0
; NumSgprs: 0
; NumVgprs: 0
; ScratchSize: 0
; MemoryBound: 0
; FloatMode: 240
; IeeeMode: 1
; LDSByteSize: 0 bytes/workgroup (compile time only)
; SGPRBlocks: 0
; VGPRBlocks: 0
; NumSGPRsForWavesPerEU: 1
; NumVGPRsForWavesPerEU: 1
; Occupancy: 16
; WaveLimiterHint : 0
; COMPUTE_PGM_RSRC2:SCRATCH_EN: 0
; COMPUTE_PGM_RSRC2:USER_SGPR: 15
; COMPUTE_PGM_RSRC2:TRAP_HANDLER: 0
; COMPUTE_PGM_RSRC2:TGID_X_EN: 1
; COMPUTE_PGM_RSRC2:TGID_Y_EN: 0
; COMPUTE_PGM_RSRC2:TGID_Z_EN: 0
; COMPUTE_PGM_RSRC2:TIDIG_COMP_CNT: 0
	.section	.text._ZN7rocprim17ROCPRIM_400000_NS6detail17trampoline_kernelINS0_14default_configENS1_22reduce_config_selectorIlEEZNS1_11reduce_implILb1ES3_PlS7_lN6hipcub16HIPCUB_304000_NS6detail34convert_binary_result_type_wrapperINS9_3SumENS9_22TransformInputIteratorIb7NonZeroIiEPilEElEEEE10hipError_tPvRmT1_T2_T3_mT4_P12ihipStream_tbEUlT_E0_NS1_11comp_targetILNS1_3genE2ELNS1_11target_archE906ELNS1_3gpuE6ELNS1_3repE0EEENS1_30default_config_static_selectorELNS0_4arch9wavefront6targetE0EEEvSM_,"axG",@progbits,_ZN7rocprim17ROCPRIM_400000_NS6detail17trampoline_kernelINS0_14default_configENS1_22reduce_config_selectorIlEEZNS1_11reduce_implILb1ES3_PlS7_lN6hipcub16HIPCUB_304000_NS6detail34convert_binary_result_type_wrapperINS9_3SumENS9_22TransformInputIteratorIb7NonZeroIiEPilEElEEEE10hipError_tPvRmT1_T2_T3_mT4_P12ihipStream_tbEUlT_E0_NS1_11comp_targetILNS1_3genE2ELNS1_11target_archE906ELNS1_3gpuE6ELNS1_3repE0EEENS1_30default_config_static_selectorELNS0_4arch9wavefront6targetE0EEEvSM_,comdat
	.protected	_ZN7rocprim17ROCPRIM_400000_NS6detail17trampoline_kernelINS0_14default_configENS1_22reduce_config_selectorIlEEZNS1_11reduce_implILb1ES3_PlS7_lN6hipcub16HIPCUB_304000_NS6detail34convert_binary_result_type_wrapperINS9_3SumENS9_22TransformInputIteratorIb7NonZeroIiEPilEElEEEE10hipError_tPvRmT1_T2_T3_mT4_P12ihipStream_tbEUlT_E0_NS1_11comp_targetILNS1_3genE2ELNS1_11target_archE906ELNS1_3gpuE6ELNS1_3repE0EEENS1_30default_config_static_selectorELNS0_4arch9wavefront6targetE0EEEvSM_ ; -- Begin function _ZN7rocprim17ROCPRIM_400000_NS6detail17trampoline_kernelINS0_14default_configENS1_22reduce_config_selectorIlEEZNS1_11reduce_implILb1ES3_PlS7_lN6hipcub16HIPCUB_304000_NS6detail34convert_binary_result_type_wrapperINS9_3SumENS9_22TransformInputIteratorIb7NonZeroIiEPilEElEEEE10hipError_tPvRmT1_T2_T3_mT4_P12ihipStream_tbEUlT_E0_NS1_11comp_targetILNS1_3genE2ELNS1_11target_archE906ELNS1_3gpuE6ELNS1_3repE0EEENS1_30default_config_static_selectorELNS0_4arch9wavefront6targetE0EEEvSM_
	.globl	_ZN7rocprim17ROCPRIM_400000_NS6detail17trampoline_kernelINS0_14default_configENS1_22reduce_config_selectorIlEEZNS1_11reduce_implILb1ES3_PlS7_lN6hipcub16HIPCUB_304000_NS6detail34convert_binary_result_type_wrapperINS9_3SumENS9_22TransformInputIteratorIb7NonZeroIiEPilEElEEEE10hipError_tPvRmT1_T2_T3_mT4_P12ihipStream_tbEUlT_E0_NS1_11comp_targetILNS1_3genE2ELNS1_11target_archE906ELNS1_3gpuE6ELNS1_3repE0EEENS1_30default_config_static_selectorELNS0_4arch9wavefront6targetE0EEEvSM_
	.p2align	8
	.type	_ZN7rocprim17ROCPRIM_400000_NS6detail17trampoline_kernelINS0_14default_configENS1_22reduce_config_selectorIlEEZNS1_11reduce_implILb1ES3_PlS7_lN6hipcub16HIPCUB_304000_NS6detail34convert_binary_result_type_wrapperINS9_3SumENS9_22TransformInputIteratorIb7NonZeroIiEPilEElEEEE10hipError_tPvRmT1_T2_T3_mT4_P12ihipStream_tbEUlT_E0_NS1_11comp_targetILNS1_3genE2ELNS1_11target_archE906ELNS1_3gpuE6ELNS1_3repE0EEENS1_30default_config_static_selectorELNS0_4arch9wavefront6targetE0EEEvSM_,@function
_ZN7rocprim17ROCPRIM_400000_NS6detail17trampoline_kernelINS0_14default_configENS1_22reduce_config_selectorIlEEZNS1_11reduce_implILb1ES3_PlS7_lN6hipcub16HIPCUB_304000_NS6detail34convert_binary_result_type_wrapperINS9_3SumENS9_22TransformInputIteratorIb7NonZeroIiEPilEElEEEE10hipError_tPvRmT1_T2_T3_mT4_P12ihipStream_tbEUlT_E0_NS1_11comp_targetILNS1_3genE2ELNS1_11target_archE906ELNS1_3gpuE6ELNS1_3repE0EEENS1_30default_config_static_selectorELNS0_4arch9wavefront6targetE0EEEvSM_: ; @_ZN7rocprim17ROCPRIM_400000_NS6detail17trampoline_kernelINS0_14default_configENS1_22reduce_config_selectorIlEEZNS1_11reduce_implILb1ES3_PlS7_lN6hipcub16HIPCUB_304000_NS6detail34convert_binary_result_type_wrapperINS9_3SumENS9_22TransformInputIteratorIb7NonZeroIiEPilEElEEEE10hipError_tPvRmT1_T2_T3_mT4_P12ihipStream_tbEUlT_E0_NS1_11comp_targetILNS1_3genE2ELNS1_11target_archE906ELNS1_3gpuE6ELNS1_3repE0EEENS1_30default_config_static_selectorELNS0_4arch9wavefront6targetE0EEEvSM_
; %bb.0:
	.section	.rodata,"a",@progbits
	.p2align	6, 0x0
	.amdhsa_kernel _ZN7rocprim17ROCPRIM_400000_NS6detail17trampoline_kernelINS0_14default_configENS1_22reduce_config_selectorIlEEZNS1_11reduce_implILb1ES3_PlS7_lN6hipcub16HIPCUB_304000_NS6detail34convert_binary_result_type_wrapperINS9_3SumENS9_22TransformInputIteratorIb7NonZeroIiEPilEElEEEE10hipError_tPvRmT1_T2_T3_mT4_P12ihipStream_tbEUlT_E0_NS1_11comp_targetILNS1_3genE2ELNS1_11target_archE906ELNS1_3gpuE6ELNS1_3repE0EEENS1_30default_config_static_selectorELNS0_4arch9wavefront6targetE0EEEvSM_
		.amdhsa_group_segment_fixed_size 0
		.amdhsa_private_segment_fixed_size 0
		.amdhsa_kernarg_size 64
		.amdhsa_user_sgpr_count 15
		.amdhsa_user_sgpr_dispatch_ptr 0
		.amdhsa_user_sgpr_queue_ptr 0
		.amdhsa_user_sgpr_kernarg_segment_ptr 1
		.amdhsa_user_sgpr_dispatch_id 0
		.amdhsa_user_sgpr_private_segment_size 0
		.amdhsa_wavefront_size32 1
		.amdhsa_uses_dynamic_stack 0
		.amdhsa_enable_private_segment 0
		.amdhsa_system_sgpr_workgroup_id_x 1
		.amdhsa_system_sgpr_workgroup_id_y 0
		.amdhsa_system_sgpr_workgroup_id_z 0
		.amdhsa_system_sgpr_workgroup_info 0
		.amdhsa_system_vgpr_workitem_id 0
		.amdhsa_next_free_vgpr 1
		.amdhsa_next_free_sgpr 1
		.amdhsa_reserve_vcc 0
		.amdhsa_float_round_mode_32 0
		.amdhsa_float_round_mode_16_64 0
		.amdhsa_float_denorm_mode_32 3
		.amdhsa_float_denorm_mode_16_64 3
		.amdhsa_dx10_clamp 1
		.amdhsa_ieee_mode 1
		.amdhsa_fp16_overflow 0
		.amdhsa_workgroup_processor_mode 1
		.amdhsa_memory_ordered 1
		.amdhsa_forward_progress 0
		.amdhsa_shared_vgpr_count 0
		.amdhsa_exception_fp_ieee_invalid_op 0
		.amdhsa_exception_fp_denorm_src 0
		.amdhsa_exception_fp_ieee_div_zero 0
		.amdhsa_exception_fp_ieee_overflow 0
		.amdhsa_exception_fp_ieee_underflow 0
		.amdhsa_exception_fp_ieee_inexact 0
		.amdhsa_exception_int_div_zero 0
	.end_amdhsa_kernel
	.section	.text._ZN7rocprim17ROCPRIM_400000_NS6detail17trampoline_kernelINS0_14default_configENS1_22reduce_config_selectorIlEEZNS1_11reduce_implILb1ES3_PlS7_lN6hipcub16HIPCUB_304000_NS6detail34convert_binary_result_type_wrapperINS9_3SumENS9_22TransformInputIteratorIb7NonZeroIiEPilEElEEEE10hipError_tPvRmT1_T2_T3_mT4_P12ihipStream_tbEUlT_E0_NS1_11comp_targetILNS1_3genE2ELNS1_11target_archE906ELNS1_3gpuE6ELNS1_3repE0EEENS1_30default_config_static_selectorELNS0_4arch9wavefront6targetE0EEEvSM_,"axG",@progbits,_ZN7rocprim17ROCPRIM_400000_NS6detail17trampoline_kernelINS0_14default_configENS1_22reduce_config_selectorIlEEZNS1_11reduce_implILb1ES3_PlS7_lN6hipcub16HIPCUB_304000_NS6detail34convert_binary_result_type_wrapperINS9_3SumENS9_22TransformInputIteratorIb7NonZeroIiEPilEElEEEE10hipError_tPvRmT1_T2_T3_mT4_P12ihipStream_tbEUlT_E0_NS1_11comp_targetILNS1_3genE2ELNS1_11target_archE906ELNS1_3gpuE6ELNS1_3repE0EEENS1_30default_config_static_selectorELNS0_4arch9wavefront6targetE0EEEvSM_,comdat
.Lfunc_end153:
	.size	_ZN7rocprim17ROCPRIM_400000_NS6detail17trampoline_kernelINS0_14default_configENS1_22reduce_config_selectorIlEEZNS1_11reduce_implILb1ES3_PlS7_lN6hipcub16HIPCUB_304000_NS6detail34convert_binary_result_type_wrapperINS9_3SumENS9_22TransformInputIteratorIb7NonZeroIiEPilEElEEEE10hipError_tPvRmT1_T2_T3_mT4_P12ihipStream_tbEUlT_E0_NS1_11comp_targetILNS1_3genE2ELNS1_11target_archE906ELNS1_3gpuE6ELNS1_3repE0EEENS1_30default_config_static_selectorELNS0_4arch9wavefront6targetE0EEEvSM_, .Lfunc_end153-_ZN7rocprim17ROCPRIM_400000_NS6detail17trampoline_kernelINS0_14default_configENS1_22reduce_config_selectorIlEEZNS1_11reduce_implILb1ES3_PlS7_lN6hipcub16HIPCUB_304000_NS6detail34convert_binary_result_type_wrapperINS9_3SumENS9_22TransformInputIteratorIb7NonZeroIiEPilEElEEEE10hipError_tPvRmT1_T2_T3_mT4_P12ihipStream_tbEUlT_E0_NS1_11comp_targetILNS1_3genE2ELNS1_11target_archE906ELNS1_3gpuE6ELNS1_3repE0EEENS1_30default_config_static_selectorELNS0_4arch9wavefront6targetE0EEEvSM_
                                        ; -- End function
	.section	.AMDGPU.csdata,"",@progbits
; Kernel info:
; codeLenInByte = 0
; NumSgprs: 0
; NumVgprs: 0
; ScratchSize: 0
; MemoryBound: 0
; FloatMode: 240
; IeeeMode: 1
; LDSByteSize: 0 bytes/workgroup (compile time only)
; SGPRBlocks: 0
; VGPRBlocks: 0
; NumSGPRsForWavesPerEU: 1
; NumVGPRsForWavesPerEU: 1
; Occupancy: 16
; WaveLimiterHint : 0
; COMPUTE_PGM_RSRC2:SCRATCH_EN: 0
; COMPUTE_PGM_RSRC2:USER_SGPR: 15
; COMPUTE_PGM_RSRC2:TRAP_HANDLER: 0
; COMPUTE_PGM_RSRC2:TGID_X_EN: 1
; COMPUTE_PGM_RSRC2:TGID_Y_EN: 0
; COMPUTE_PGM_RSRC2:TGID_Z_EN: 0
; COMPUTE_PGM_RSRC2:TIDIG_COMP_CNT: 0
	.section	.text._ZN7rocprim17ROCPRIM_400000_NS6detail17trampoline_kernelINS0_14default_configENS1_22reduce_config_selectorIlEEZNS1_11reduce_implILb1ES3_PlS7_lN6hipcub16HIPCUB_304000_NS6detail34convert_binary_result_type_wrapperINS9_3SumENS9_22TransformInputIteratorIb7NonZeroIiEPilEElEEEE10hipError_tPvRmT1_T2_T3_mT4_P12ihipStream_tbEUlT_E0_NS1_11comp_targetILNS1_3genE10ELNS1_11target_archE1201ELNS1_3gpuE5ELNS1_3repE0EEENS1_30default_config_static_selectorELNS0_4arch9wavefront6targetE0EEEvSM_,"axG",@progbits,_ZN7rocprim17ROCPRIM_400000_NS6detail17trampoline_kernelINS0_14default_configENS1_22reduce_config_selectorIlEEZNS1_11reduce_implILb1ES3_PlS7_lN6hipcub16HIPCUB_304000_NS6detail34convert_binary_result_type_wrapperINS9_3SumENS9_22TransformInputIteratorIb7NonZeroIiEPilEElEEEE10hipError_tPvRmT1_T2_T3_mT4_P12ihipStream_tbEUlT_E0_NS1_11comp_targetILNS1_3genE10ELNS1_11target_archE1201ELNS1_3gpuE5ELNS1_3repE0EEENS1_30default_config_static_selectorELNS0_4arch9wavefront6targetE0EEEvSM_,comdat
	.protected	_ZN7rocprim17ROCPRIM_400000_NS6detail17trampoline_kernelINS0_14default_configENS1_22reduce_config_selectorIlEEZNS1_11reduce_implILb1ES3_PlS7_lN6hipcub16HIPCUB_304000_NS6detail34convert_binary_result_type_wrapperINS9_3SumENS9_22TransformInputIteratorIb7NonZeroIiEPilEElEEEE10hipError_tPvRmT1_T2_T3_mT4_P12ihipStream_tbEUlT_E0_NS1_11comp_targetILNS1_3genE10ELNS1_11target_archE1201ELNS1_3gpuE5ELNS1_3repE0EEENS1_30default_config_static_selectorELNS0_4arch9wavefront6targetE0EEEvSM_ ; -- Begin function _ZN7rocprim17ROCPRIM_400000_NS6detail17trampoline_kernelINS0_14default_configENS1_22reduce_config_selectorIlEEZNS1_11reduce_implILb1ES3_PlS7_lN6hipcub16HIPCUB_304000_NS6detail34convert_binary_result_type_wrapperINS9_3SumENS9_22TransformInputIteratorIb7NonZeroIiEPilEElEEEE10hipError_tPvRmT1_T2_T3_mT4_P12ihipStream_tbEUlT_E0_NS1_11comp_targetILNS1_3genE10ELNS1_11target_archE1201ELNS1_3gpuE5ELNS1_3repE0EEENS1_30default_config_static_selectorELNS0_4arch9wavefront6targetE0EEEvSM_
	.globl	_ZN7rocprim17ROCPRIM_400000_NS6detail17trampoline_kernelINS0_14default_configENS1_22reduce_config_selectorIlEEZNS1_11reduce_implILb1ES3_PlS7_lN6hipcub16HIPCUB_304000_NS6detail34convert_binary_result_type_wrapperINS9_3SumENS9_22TransformInputIteratorIb7NonZeroIiEPilEElEEEE10hipError_tPvRmT1_T2_T3_mT4_P12ihipStream_tbEUlT_E0_NS1_11comp_targetILNS1_3genE10ELNS1_11target_archE1201ELNS1_3gpuE5ELNS1_3repE0EEENS1_30default_config_static_selectorELNS0_4arch9wavefront6targetE0EEEvSM_
	.p2align	8
	.type	_ZN7rocprim17ROCPRIM_400000_NS6detail17trampoline_kernelINS0_14default_configENS1_22reduce_config_selectorIlEEZNS1_11reduce_implILb1ES3_PlS7_lN6hipcub16HIPCUB_304000_NS6detail34convert_binary_result_type_wrapperINS9_3SumENS9_22TransformInputIteratorIb7NonZeroIiEPilEElEEEE10hipError_tPvRmT1_T2_T3_mT4_P12ihipStream_tbEUlT_E0_NS1_11comp_targetILNS1_3genE10ELNS1_11target_archE1201ELNS1_3gpuE5ELNS1_3repE0EEENS1_30default_config_static_selectorELNS0_4arch9wavefront6targetE0EEEvSM_,@function
_ZN7rocprim17ROCPRIM_400000_NS6detail17trampoline_kernelINS0_14default_configENS1_22reduce_config_selectorIlEEZNS1_11reduce_implILb1ES3_PlS7_lN6hipcub16HIPCUB_304000_NS6detail34convert_binary_result_type_wrapperINS9_3SumENS9_22TransformInputIteratorIb7NonZeroIiEPilEElEEEE10hipError_tPvRmT1_T2_T3_mT4_P12ihipStream_tbEUlT_E0_NS1_11comp_targetILNS1_3genE10ELNS1_11target_archE1201ELNS1_3gpuE5ELNS1_3repE0EEENS1_30default_config_static_selectorELNS0_4arch9wavefront6targetE0EEEvSM_: ; @_ZN7rocprim17ROCPRIM_400000_NS6detail17trampoline_kernelINS0_14default_configENS1_22reduce_config_selectorIlEEZNS1_11reduce_implILb1ES3_PlS7_lN6hipcub16HIPCUB_304000_NS6detail34convert_binary_result_type_wrapperINS9_3SumENS9_22TransformInputIteratorIb7NonZeroIiEPilEElEEEE10hipError_tPvRmT1_T2_T3_mT4_P12ihipStream_tbEUlT_E0_NS1_11comp_targetILNS1_3genE10ELNS1_11target_archE1201ELNS1_3gpuE5ELNS1_3repE0EEENS1_30default_config_static_selectorELNS0_4arch9wavefront6targetE0EEEvSM_
; %bb.0:
	.section	.rodata,"a",@progbits
	.p2align	6, 0x0
	.amdhsa_kernel _ZN7rocprim17ROCPRIM_400000_NS6detail17trampoline_kernelINS0_14default_configENS1_22reduce_config_selectorIlEEZNS1_11reduce_implILb1ES3_PlS7_lN6hipcub16HIPCUB_304000_NS6detail34convert_binary_result_type_wrapperINS9_3SumENS9_22TransformInputIteratorIb7NonZeroIiEPilEElEEEE10hipError_tPvRmT1_T2_T3_mT4_P12ihipStream_tbEUlT_E0_NS1_11comp_targetILNS1_3genE10ELNS1_11target_archE1201ELNS1_3gpuE5ELNS1_3repE0EEENS1_30default_config_static_selectorELNS0_4arch9wavefront6targetE0EEEvSM_
		.amdhsa_group_segment_fixed_size 0
		.amdhsa_private_segment_fixed_size 0
		.amdhsa_kernarg_size 64
		.amdhsa_user_sgpr_count 15
		.amdhsa_user_sgpr_dispatch_ptr 0
		.amdhsa_user_sgpr_queue_ptr 0
		.amdhsa_user_sgpr_kernarg_segment_ptr 1
		.amdhsa_user_sgpr_dispatch_id 0
		.amdhsa_user_sgpr_private_segment_size 0
		.amdhsa_wavefront_size32 1
		.amdhsa_uses_dynamic_stack 0
		.amdhsa_enable_private_segment 0
		.amdhsa_system_sgpr_workgroup_id_x 1
		.amdhsa_system_sgpr_workgroup_id_y 0
		.amdhsa_system_sgpr_workgroup_id_z 0
		.amdhsa_system_sgpr_workgroup_info 0
		.amdhsa_system_vgpr_workitem_id 0
		.amdhsa_next_free_vgpr 1
		.amdhsa_next_free_sgpr 1
		.amdhsa_reserve_vcc 0
		.amdhsa_float_round_mode_32 0
		.amdhsa_float_round_mode_16_64 0
		.amdhsa_float_denorm_mode_32 3
		.amdhsa_float_denorm_mode_16_64 3
		.amdhsa_dx10_clamp 1
		.amdhsa_ieee_mode 1
		.amdhsa_fp16_overflow 0
		.amdhsa_workgroup_processor_mode 1
		.amdhsa_memory_ordered 1
		.amdhsa_forward_progress 0
		.amdhsa_shared_vgpr_count 0
		.amdhsa_exception_fp_ieee_invalid_op 0
		.amdhsa_exception_fp_denorm_src 0
		.amdhsa_exception_fp_ieee_div_zero 0
		.amdhsa_exception_fp_ieee_overflow 0
		.amdhsa_exception_fp_ieee_underflow 0
		.amdhsa_exception_fp_ieee_inexact 0
		.amdhsa_exception_int_div_zero 0
	.end_amdhsa_kernel
	.section	.text._ZN7rocprim17ROCPRIM_400000_NS6detail17trampoline_kernelINS0_14default_configENS1_22reduce_config_selectorIlEEZNS1_11reduce_implILb1ES3_PlS7_lN6hipcub16HIPCUB_304000_NS6detail34convert_binary_result_type_wrapperINS9_3SumENS9_22TransformInputIteratorIb7NonZeroIiEPilEElEEEE10hipError_tPvRmT1_T2_T3_mT4_P12ihipStream_tbEUlT_E0_NS1_11comp_targetILNS1_3genE10ELNS1_11target_archE1201ELNS1_3gpuE5ELNS1_3repE0EEENS1_30default_config_static_selectorELNS0_4arch9wavefront6targetE0EEEvSM_,"axG",@progbits,_ZN7rocprim17ROCPRIM_400000_NS6detail17trampoline_kernelINS0_14default_configENS1_22reduce_config_selectorIlEEZNS1_11reduce_implILb1ES3_PlS7_lN6hipcub16HIPCUB_304000_NS6detail34convert_binary_result_type_wrapperINS9_3SumENS9_22TransformInputIteratorIb7NonZeroIiEPilEElEEEE10hipError_tPvRmT1_T2_T3_mT4_P12ihipStream_tbEUlT_E0_NS1_11comp_targetILNS1_3genE10ELNS1_11target_archE1201ELNS1_3gpuE5ELNS1_3repE0EEENS1_30default_config_static_selectorELNS0_4arch9wavefront6targetE0EEEvSM_,comdat
.Lfunc_end154:
	.size	_ZN7rocprim17ROCPRIM_400000_NS6detail17trampoline_kernelINS0_14default_configENS1_22reduce_config_selectorIlEEZNS1_11reduce_implILb1ES3_PlS7_lN6hipcub16HIPCUB_304000_NS6detail34convert_binary_result_type_wrapperINS9_3SumENS9_22TransformInputIteratorIb7NonZeroIiEPilEElEEEE10hipError_tPvRmT1_T2_T3_mT4_P12ihipStream_tbEUlT_E0_NS1_11comp_targetILNS1_3genE10ELNS1_11target_archE1201ELNS1_3gpuE5ELNS1_3repE0EEENS1_30default_config_static_selectorELNS0_4arch9wavefront6targetE0EEEvSM_, .Lfunc_end154-_ZN7rocprim17ROCPRIM_400000_NS6detail17trampoline_kernelINS0_14default_configENS1_22reduce_config_selectorIlEEZNS1_11reduce_implILb1ES3_PlS7_lN6hipcub16HIPCUB_304000_NS6detail34convert_binary_result_type_wrapperINS9_3SumENS9_22TransformInputIteratorIb7NonZeroIiEPilEElEEEE10hipError_tPvRmT1_T2_T3_mT4_P12ihipStream_tbEUlT_E0_NS1_11comp_targetILNS1_3genE10ELNS1_11target_archE1201ELNS1_3gpuE5ELNS1_3repE0EEENS1_30default_config_static_selectorELNS0_4arch9wavefront6targetE0EEEvSM_
                                        ; -- End function
	.section	.AMDGPU.csdata,"",@progbits
; Kernel info:
; codeLenInByte = 0
; NumSgprs: 0
; NumVgprs: 0
; ScratchSize: 0
; MemoryBound: 0
; FloatMode: 240
; IeeeMode: 1
; LDSByteSize: 0 bytes/workgroup (compile time only)
; SGPRBlocks: 0
; VGPRBlocks: 0
; NumSGPRsForWavesPerEU: 1
; NumVGPRsForWavesPerEU: 1
; Occupancy: 16
; WaveLimiterHint : 0
; COMPUTE_PGM_RSRC2:SCRATCH_EN: 0
; COMPUTE_PGM_RSRC2:USER_SGPR: 15
; COMPUTE_PGM_RSRC2:TRAP_HANDLER: 0
; COMPUTE_PGM_RSRC2:TGID_X_EN: 1
; COMPUTE_PGM_RSRC2:TGID_Y_EN: 0
; COMPUTE_PGM_RSRC2:TGID_Z_EN: 0
; COMPUTE_PGM_RSRC2:TIDIG_COMP_CNT: 0
	.section	.text._ZN7rocprim17ROCPRIM_400000_NS6detail17trampoline_kernelINS0_14default_configENS1_22reduce_config_selectorIlEEZNS1_11reduce_implILb1ES3_PlS7_lN6hipcub16HIPCUB_304000_NS6detail34convert_binary_result_type_wrapperINS9_3SumENS9_22TransformInputIteratorIb7NonZeroIiEPilEElEEEE10hipError_tPvRmT1_T2_T3_mT4_P12ihipStream_tbEUlT_E0_NS1_11comp_targetILNS1_3genE10ELNS1_11target_archE1200ELNS1_3gpuE4ELNS1_3repE0EEENS1_30default_config_static_selectorELNS0_4arch9wavefront6targetE0EEEvSM_,"axG",@progbits,_ZN7rocprim17ROCPRIM_400000_NS6detail17trampoline_kernelINS0_14default_configENS1_22reduce_config_selectorIlEEZNS1_11reduce_implILb1ES3_PlS7_lN6hipcub16HIPCUB_304000_NS6detail34convert_binary_result_type_wrapperINS9_3SumENS9_22TransformInputIteratorIb7NonZeroIiEPilEElEEEE10hipError_tPvRmT1_T2_T3_mT4_P12ihipStream_tbEUlT_E0_NS1_11comp_targetILNS1_3genE10ELNS1_11target_archE1200ELNS1_3gpuE4ELNS1_3repE0EEENS1_30default_config_static_selectorELNS0_4arch9wavefront6targetE0EEEvSM_,comdat
	.protected	_ZN7rocprim17ROCPRIM_400000_NS6detail17trampoline_kernelINS0_14default_configENS1_22reduce_config_selectorIlEEZNS1_11reduce_implILb1ES3_PlS7_lN6hipcub16HIPCUB_304000_NS6detail34convert_binary_result_type_wrapperINS9_3SumENS9_22TransformInputIteratorIb7NonZeroIiEPilEElEEEE10hipError_tPvRmT1_T2_T3_mT4_P12ihipStream_tbEUlT_E0_NS1_11comp_targetILNS1_3genE10ELNS1_11target_archE1200ELNS1_3gpuE4ELNS1_3repE0EEENS1_30default_config_static_selectorELNS0_4arch9wavefront6targetE0EEEvSM_ ; -- Begin function _ZN7rocprim17ROCPRIM_400000_NS6detail17trampoline_kernelINS0_14default_configENS1_22reduce_config_selectorIlEEZNS1_11reduce_implILb1ES3_PlS7_lN6hipcub16HIPCUB_304000_NS6detail34convert_binary_result_type_wrapperINS9_3SumENS9_22TransformInputIteratorIb7NonZeroIiEPilEElEEEE10hipError_tPvRmT1_T2_T3_mT4_P12ihipStream_tbEUlT_E0_NS1_11comp_targetILNS1_3genE10ELNS1_11target_archE1200ELNS1_3gpuE4ELNS1_3repE0EEENS1_30default_config_static_selectorELNS0_4arch9wavefront6targetE0EEEvSM_
	.globl	_ZN7rocprim17ROCPRIM_400000_NS6detail17trampoline_kernelINS0_14default_configENS1_22reduce_config_selectorIlEEZNS1_11reduce_implILb1ES3_PlS7_lN6hipcub16HIPCUB_304000_NS6detail34convert_binary_result_type_wrapperINS9_3SumENS9_22TransformInputIteratorIb7NonZeroIiEPilEElEEEE10hipError_tPvRmT1_T2_T3_mT4_P12ihipStream_tbEUlT_E0_NS1_11comp_targetILNS1_3genE10ELNS1_11target_archE1200ELNS1_3gpuE4ELNS1_3repE0EEENS1_30default_config_static_selectorELNS0_4arch9wavefront6targetE0EEEvSM_
	.p2align	8
	.type	_ZN7rocprim17ROCPRIM_400000_NS6detail17trampoline_kernelINS0_14default_configENS1_22reduce_config_selectorIlEEZNS1_11reduce_implILb1ES3_PlS7_lN6hipcub16HIPCUB_304000_NS6detail34convert_binary_result_type_wrapperINS9_3SumENS9_22TransformInputIteratorIb7NonZeroIiEPilEElEEEE10hipError_tPvRmT1_T2_T3_mT4_P12ihipStream_tbEUlT_E0_NS1_11comp_targetILNS1_3genE10ELNS1_11target_archE1200ELNS1_3gpuE4ELNS1_3repE0EEENS1_30default_config_static_selectorELNS0_4arch9wavefront6targetE0EEEvSM_,@function
_ZN7rocprim17ROCPRIM_400000_NS6detail17trampoline_kernelINS0_14default_configENS1_22reduce_config_selectorIlEEZNS1_11reduce_implILb1ES3_PlS7_lN6hipcub16HIPCUB_304000_NS6detail34convert_binary_result_type_wrapperINS9_3SumENS9_22TransformInputIteratorIb7NonZeroIiEPilEElEEEE10hipError_tPvRmT1_T2_T3_mT4_P12ihipStream_tbEUlT_E0_NS1_11comp_targetILNS1_3genE10ELNS1_11target_archE1200ELNS1_3gpuE4ELNS1_3repE0EEENS1_30default_config_static_selectorELNS0_4arch9wavefront6targetE0EEEvSM_: ; @_ZN7rocprim17ROCPRIM_400000_NS6detail17trampoline_kernelINS0_14default_configENS1_22reduce_config_selectorIlEEZNS1_11reduce_implILb1ES3_PlS7_lN6hipcub16HIPCUB_304000_NS6detail34convert_binary_result_type_wrapperINS9_3SumENS9_22TransformInputIteratorIb7NonZeroIiEPilEElEEEE10hipError_tPvRmT1_T2_T3_mT4_P12ihipStream_tbEUlT_E0_NS1_11comp_targetILNS1_3genE10ELNS1_11target_archE1200ELNS1_3gpuE4ELNS1_3repE0EEENS1_30default_config_static_selectorELNS0_4arch9wavefront6targetE0EEEvSM_
; %bb.0:
	.section	.rodata,"a",@progbits
	.p2align	6, 0x0
	.amdhsa_kernel _ZN7rocprim17ROCPRIM_400000_NS6detail17trampoline_kernelINS0_14default_configENS1_22reduce_config_selectorIlEEZNS1_11reduce_implILb1ES3_PlS7_lN6hipcub16HIPCUB_304000_NS6detail34convert_binary_result_type_wrapperINS9_3SumENS9_22TransformInputIteratorIb7NonZeroIiEPilEElEEEE10hipError_tPvRmT1_T2_T3_mT4_P12ihipStream_tbEUlT_E0_NS1_11comp_targetILNS1_3genE10ELNS1_11target_archE1200ELNS1_3gpuE4ELNS1_3repE0EEENS1_30default_config_static_selectorELNS0_4arch9wavefront6targetE0EEEvSM_
		.amdhsa_group_segment_fixed_size 0
		.amdhsa_private_segment_fixed_size 0
		.amdhsa_kernarg_size 64
		.amdhsa_user_sgpr_count 15
		.amdhsa_user_sgpr_dispatch_ptr 0
		.amdhsa_user_sgpr_queue_ptr 0
		.amdhsa_user_sgpr_kernarg_segment_ptr 1
		.amdhsa_user_sgpr_dispatch_id 0
		.amdhsa_user_sgpr_private_segment_size 0
		.amdhsa_wavefront_size32 1
		.amdhsa_uses_dynamic_stack 0
		.amdhsa_enable_private_segment 0
		.amdhsa_system_sgpr_workgroup_id_x 1
		.amdhsa_system_sgpr_workgroup_id_y 0
		.amdhsa_system_sgpr_workgroup_id_z 0
		.amdhsa_system_sgpr_workgroup_info 0
		.amdhsa_system_vgpr_workitem_id 0
		.amdhsa_next_free_vgpr 1
		.amdhsa_next_free_sgpr 1
		.amdhsa_reserve_vcc 0
		.amdhsa_float_round_mode_32 0
		.amdhsa_float_round_mode_16_64 0
		.amdhsa_float_denorm_mode_32 3
		.amdhsa_float_denorm_mode_16_64 3
		.amdhsa_dx10_clamp 1
		.amdhsa_ieee_mode 1
		.amdhsa_fp16_overflow 0
		.amdhsa_workgroup_processor_mode 1
		.amdhsa_memory_ordered 1
		.amdhsa_forward_progress 0
		.amdhsa_shared_vgpr_count 0
		.amdhsa_exception_fp_ieee_invalid_op 0
		.amdhsa_exception_fp_denorm_src 0
		.amdhsa_exception_fp_ieee_div_zero 0
		.amdhsa_exception_fp_ieee_overflow 0
		.amdhsa_exception_fp_ieee_underflow 0
		.amdhsa_exception_fp_ieee_inexact 0
		.amdhsa_exception_int_div_zero 0
	.end_amdhsa_kernel
	.section	.text._ZN7rocprim17ROCPRIM_400000_NS6detail17trampoline_kernelINS0_14default_configENS1_22reduce_config_selectorIlEEZNS1_11reduce_implILb1ES3_PlS7_lN6hipcub16HIPCUB_304000_NS6detail34convert_binary_result_type_wrapperINS9_3SumENS9_22TransformInputIteratorIb7NonZeroIiEPilEElEEEE10hipError_tPvRmT1_T2_T3_mT4_P12ihipStream_tbEUlT_E0_NS1_11comp_targetILNS1_3genE10ELNS1_11target_archE1200ELNS1_3gpuE4ELNS1_3repE0EEENS1_30default_config_static_selectorELNS0_4arch9wavefront6targetE0EEEvSM_,"axG",@progbits,_ZN7rocprim17ROCPRIM_400000_NS6detail17trampoline_kernelINS0_14default_configENS1_22reduce_config_selectorIlEEZNS1_11reduce_implILb1ES3_PlS7_lN6hipcub16HIPCUB_304000_NS6detail34convert_binary_result_type_wrapperINS9_3SumENS9_22TransformInputIteratorIb7NonZeroIiEPilEElEEEE10hipError_tPvRmT1_T2_T3_mT4_P12ihipStream_tbEUlT_E0_NS1_11comp_targetILNS1_3genE10ELNS1_11target_archE1200ELNS1_3gpuE4ELNS1_3repE0EEENS1_30default_config_static_selectorELNS0_4arch9wavefront6targetE0EEEvSM_,comdat
.Lfunc_end155:
	.size	_ZN7rocprim17ROCPRIM_400000_NS6detail17trampoline_kernelINS0_14default_configENS1_22reduce_config_selectorIlEEZNS1_11reduce_implILb1ES3_PlS7_lN6hipcub16HIPCUB_304000_NS6detail34convert_binary_result_type_wrapperINS9_3SumENS9_22TransformInputIteratorIb7NonZeroIiEPilEElEEEE10hipError_tPvRmT1_T2_T3_mT4_P12ihipStream_tbEUlT_E0_NS1_11comp_targetILNS1_3genE10ELNS1_11target_archE1200ELNS1_3gpuE4ELNS1_3repE0EEENS1_30default_config_static_selectorELNS0_4arch9wavefront6targetE0EEEvSM_, .Lfunc_end155-_ZN7rocprim17ROCPRIM_400000_NS6detail17trampoline_kernelINS0_14default_configENS1_22reduce_config_selectorIlEEZNS1_11reduce_implILb1ES3_PlS7_lN6hipcub16HIPCUB_304000_NS6detail34convert_binary_result_type_wrapperINS9_3SumENS9_22TransformInputIteratorIb7NonZeroIiEPilEElEEEE10hipError_tPvRmT1_T2_T3_mT4_P12ihipStream_tbEUlT_E0_NS1_11comp_targetILNS1_3genE10ELNS1_11target_archE1200ELNS1_3gpuE4ELNS1_3repE0EEENS1_30default_config_static_selectorELNS0_4arch9wavefront6targetE0EEEvSM_
                                        ; -- End function
	.section	.AMDGPU.csdata,"",@progbits
; Kernel info:
; codeLenInByte = 0
; NumSgprs: 0
; NumVgprs: 0
; ScratchSize: 0
; MemoryBound: 0
; FloatMode: 240
; IeeeMode: 1
; LDSByteSize: 0 bytes/workgroup (compile time only)
; SGPRBlocks: 0
; VGPRBlocks: 0
; NumSGPRsForWavesPerEU: 1
; NumVGPRsForWavesPerEU: 1
; Occupancy: 16
; WaveLimiterHint : 0
; COMPUTE_PGM_RSRC2:SCRATCH_EN: 0
; COMPUTE_PGM_RSRC2:USER_SGPR: 15
; COMPUTE_PGM_RSRC2:TRAP_HANDLER: 0
; COMPUTE_PGM_RSRC2:TGID_X_EN: 1
; COMPUTE_PGM_RSRC2:TGID_Y_EN: 0
; COMPUTE_PGM_RSRC2:TGID_Z_EN: 0
; COMPUTE_PGM_RSRC2:TIDIG_COMP_CNT: 0
	.section	.text._ZN7rocprim17ROCPRIM_400000_NS6detail17trampoline_kernelINS0_14default_configENS1_22reduce_config_selectorIlEEZNS1_11reduce_implILb1ES3_PlS7_lN6hipcub16HIPCUB_304000_NS6detail34convert_binary_result_type_wrapperINS9_3SumENS9_22TransformInputIteratorIb7NonZeroIiEPilEElEEEE10hipError_tPvRmT1_T2_T3_mT4_P12ihipStream_tbEUlT_E0_NS1_11comp_targetILNS1_3genE9ELNS1_11target_archE1100ELNS1_3gpuE3ELNS1_3repE0EEENS1_30default_config_static_selectorELNS0_4arch9wavefront6targetE0EEEvSM_,"axG",@progbits,_ZN7rocprim17ROCPRIM_400000_NS6detail17trampoline_kernelINS0_14default_configENS1_22reduce_config_selectorIlEEZNS1_11reduce_implILb1ES3_PlS7_lN6hipcub16HIPCUB_304000_NS6detail34convert_binary_result_type_wrapperINS9_3SumENS9_22TransformInputIteratorIb7NonZeroIiEPilEElEEEE10hipError_tPvRmT1_T2_T3_mT4_P12ihipStream_tbEUlT_E0_NS1_11comp_targetILNS1_3genE9ELNS1_11target_archE1100ELNS1_3gpuE3ELNS1_3repE0EEENS1_30default_config_static_selectorELNS0_4arch9wavefront6targetE0EEEvSM_,comdat
	.protected	_ZN7rocprim17ROCPRIM_400000_NS6detail17trampoline_kernelINS0_14default_configENS1_22reduce_config_selectorIlEEZNS1_11reduce_implILb1ES3_PlS7_lN6hipcub16HIPCUB_304000_NS6detail34convert_binary_result_type_wrapperINS9_3SumENS9_22TransformInputIteratorIb7NonZeroIiEPilEElEEEE10hipError_tPvRmT1_T2_T3_mT4_P12ihipStream_tbEUlT_E0_NS1_11comp_targetILNS1_3genE9ELNS1_11target_archE1100ELNS1_3gpuE3ELNS1_3repE0EEENS1_30default_config_static_selectorELNS0_4arch9wavefront6targetE0EEEvSM_ ; -- Begin function _ZN7rocprim17ROCPRIM_400000_NS6detail17trampoline_kernelINS0_14default_configENS1_22reduce_config_selectorIlEEZNS1_11reduce_implILb1ES3_PlS7_lN6hipcub16HIPCUB_304000_NS6detail34convert_binary_result_type_wrapperINS9_3SumENS9_22TransformInputIteratorIb7NonZeroIiEPilEElEEEE10hipError_tPvRmT1_T2_T3_mT4_P12ihipStream_tbEUlT_E0_NS1_11comp_targetILNS1_3genE9ELNS1_11target_archE1100ELNS1_3gpuE3ELNS1_3repE0EEENS1_30default_config_static_selectorELNS0_4arch9wavefront6targetE0EEEvSM_
	.globl	_ZN7rocprim17ROCPRIM_400000_NS6detail17trampoline_kernelINS0_14default_configENS1_22reduce_config_selectorIlEEZNS1_11reduce_implILb1ES3_PlS7_lN6hipcub16HIPCUB_304000_NS6detail34convert_binary_result_type_wrapperINS9_3SumENS9_22TransformInputIteratorIb7NonZeroIiEPilEElEEEE10hipError_tPvRmT1_T2_T3_mT4_P12ihipStream_tbEUlT_E0_NS1_11comp_targetILNS1_3genE9ELNS1_11target_archE1100ELNS1_3gpuE3ELNS1_3repE0EEENS1_30default_config_static_selectorELNS0_4arch9wavefront6targetE0EEEvSM_
	.p2align	8
	.type	_ZN7rocprim17ROCPRIM_400000_NS6detail17trampoline_kernelINS0_14default_configENS1_22reduce_config_selectorIlEEZNS1_11reduce_implILb1ES3_PlS7_lN6hipcub16HIPCUB_304000_NS6detail34convert_binary_result_type_wrapperINS9_3SumENS9_22TransformInputIteratorIb7NonZeroIiEPilEElEEEE10hipError_tPvRmT1_T2_T3_mT4_P12ihipStream_tbEUlT_E0_NS1_11comp_targetILNS1_3genE9ELNS1_11target_archE1100ELNS1_3gpuE3ELNS1_3repE0EEENS1_30default_config_static_selectorELNS0_4arch9wavefront6targetE0EEEvSM_,@function
_ZN7rocprim17ROCPRIM_400000_NS6detail17trampoline_kernelINS0_14default_configENS1_22reduce_config_selectorIlEEZNS1_11reduce_implILb1ES3_PlS7_lN6hipcub16HIPCUB_304000_NS6detail34convert_binary_result_type_wrapperINS9_3SumENS9_22TransformInputIteratorIb7NonZeroIiEPilEElEEEE10hipError_tPvRmT1_T2_T3_mT4_P12ihipStream_tbEUlT_E0_NS1_11comp_targetILNS1_3genE9ELNS1_11target_archE1100ELNS1_3gpuE3ELNS1_3repE0EEENS1_30default_config_static_selectorELNS0_4arch9wavefront6targetE0EEEvSM_: ; @_ZN7rocprim17ROCPRIM_400000_NS6detail17trampoline_kernelINS0_14default_configENS1_22reduce_config_selectorIlEEZNS1_11reduce_implILb1ES3_PlS7_lN6hipcub16HIPCUB_304000_NS6detail34convert_binary_result_type_wrapperINS9_3SumENS9_22TransformInputIteratorIb7NonZeroIiEPilEElEEEE10hipError_tPvRmT1_T2_T3_mT4_P12ihipStream_tbEUlT_E0_NS1_11comp_targetILNS1_3genE9ELNS1_11target_archE1100ELNS1_3gpuE3ELNS1_3repE0EEENS1_30default_config_static_selectorELNS0_4arch9wavefront6targetE0EEEvSM_
; %bb.0:
	s_mov_b32 s2, s15
	s_clause 0x2
	s_load_b256 s[4:11], s[0:1], 0x0
	s_load_b128 s[12:15], s[0:1], 0x20
	s_load_b64 s[16:17], s[0:1], 0x30
	s_mov_b32 s1, 0
	v_lshlrev_b32_e32 v10, 3, v0
	v_mbcnt_lo_u32_b32 v9, -1, 0
	s_mov_b32 s3, s1
	s_waitcnt lgkmcnt(0)
	s_lshl_b64 s[6:7], s[6:7], 3
	s_delay_alu instid0(SALU_CYCLE_1) | instskip(SKIP_4) | instid1(SALU_CYCLE_1)
	s_add_u32 s18, s4, s6
	s_addc_u32 s19, s5, s7
	s_lshl_b32 s0, s2, 10
	s_lshr_b64 s[6:7], s[8:9], 10
	s_lshl_b64 s[4:5], s[0:1], 3
	s_add_u32 s4, s18, s4
	s_addc_u32 s5, s19, s5
	s_cmp_lg_u64 s[6:7], s[2:3]
	s_cbranch_scc0 .LBB156_6
; %bb.1:
	v_add_co_u32 v3, s1, s4, v10
	s_delay_alu instid0(VALU_DEP_1)
	v_add_co_ci_u32_e64 v4, null, s5, 0, s1
	global_load_b64 v[1:2], v10, s[4:5] offset:2048
	v_add_co_u32 v3, vcc_lo, 0x1000, v3
	v_add_co_ci_u32_e32 v4, vcc_lo, 0, v4, vcc_lo
	s_mov_b32 s1, exec_lo
	s_clause 0x2
	global_load_b64 v[5:6], v10, s[4:5]
	global_load_b64 v[7:8], v[3:4], off
	global_load_b64 v[3:4], v[3:4], off offset:2048
	s_waitcnt vmcnt(2)
	v_add_co_u32 v1, vcc_lo, v1, v5
	v_add_co_ci_u32_e32 v2, vcc_lo, v2, v6, vcc_lo
	s_waitcnt vmcnt(1)
	s_delay_alu instid0(VALU_DEP_2) | instskip(NEXT) | instid1(VALU_DEP_2)
	v_add_co_u32 v1, vcc_lo, v1, v7
	v_add_co_ci_u32_e32 v2, vcc_lo, v2, v8, vcc_lo
	s_waitcnt vmcnt(0)
	s_delay_alu instid0(VALU_DEP_2) | instskip(NEXT) | instid1(VALU_DEP_2)
	v_add_co_u32 v1, vcc_lo, v1, v3
	v_add_co_ci_u32_e32 v2, vcc_lo, v2, v4, vcc_lo
	s_delay_alu instid0(VALU_DEP_2) | instskip(NEXT) | instid1(VALU_DEP_1)
	v_mov_b32_dpp v3, v1 quad_perm:[1,0,3,2] row_mask:0xf bank_mask:0xf
	v_add_co_u32 v1, vcc_lo, v1, v3
	s_delay_alu instid0(VALU_DEP_3) | instskip(SKIP_1) | instid1(VALU_DEP_3)
	v_mov_b32_dpp v3, v2 quad_perm:[1,0,3,2] row_mask:0xf bank_mask:0xf
	v_add_co_ci_u32_e32 v2, vcc_lo, 0, v2, vcc_lo
	v_mov_b32_dpp v4, v1 quad_perm:[2,3,0,1] row_mask:0xf bank_mask:0xf
	v_add_co_u32 v1, vcc_lo, 0, v1
	s_delay_alu instid0(VALU_DEP_3) | instskip(NEXT) | instid1(VALU_DEP_2)
	v_add_co_ci_u32_e32 v2, vcc_lo, v3, v2, vcc_lo
	v_add_co_u32 v1, vcc_lo, v1, v4
	s_delay_alu instid0(VALU_DEP_2) | instskip(SKIP_1) | instid1(VALU_DEP_3)
	v_mov_b32_dpp v3, v2 quad_perm:[2,3,0,1] row_mask:0xf bank_mask:0xf
	v_add_co_ci_u32_e32 v2, vcc_lo, 0, v2, vcc_lo
	v_mov_b32_dpp v4, v1 row_ror:4 row_mask:0xf bank_mask:0xf
	v_add_co_u32 v1, vcc_lo, v1, 0
	s_delay_alu instid0(VALU_DEP_3) | instskip(NEXT) | instid1(VALU_DEP_2)
	v_add_co_ci_u32_e32 v2, vcc_lo, v2, v3, vcc_lo
	v_add_co_u32 v1, vcc_lo, v1, v4
	s_delay_alu instid0(VALU_DEP_2) | instskip(SKIP_1) | instid1(VALU_DEP_3)
	v_mov_b32_dpp v3, v2 row_ror:4 row_mask:0xf bank_mask:0xf
	v_add_co_ci_u32_e32 v2, vcc_lo, 0, v2, vcc_lo
	v_mov_b32_dpp v4, v1 row_ror:8 row_mask:0xf bank_mask:0xf
	v_add_co_u32 v1, vcc_lo, v1, 0
	s_delay_alu instid0(VALU_DEP_3) | instskip(NEXT) | instid1(VALU_DEP_2)
	v_add_co_ci_u32_e32 v2, vcc_lo, v2, v3, vcc_lo
	v_add_co_u32 v1, vcc_lo, v1, v4
	s_delay_alu instid0(VALU_DEP_2)
	v_mov_b32_dpp v3, v2 row_ror:8 row_mask:0xf bank_mask:0xf
	v_add_co_ci_u32_e32 v2, vcc_lo, 0, v2, vcc_lo
	ds_swizzle_b32 v4, v1 offset:swizzle(BROADCAST,32,15)
	v_add_co_u32 v1, vcc_lo, v1, 0
	v_add_co_ci_u32_e32 v2, vcc_lo, v2, v3, vcc_lo
	ds_swizzle_b32 v3, v2 offset:swizzle(BROADCAST,32,15)
	s_waitcnt lgkmcnt(1)
	v_add_co_u32 v1, vcc_lo, v1, v4
	v_add_co_ci_u32_e32 v2, vcc_lo, 0, v2, vcc_lo
	v_mov_b32_e32 v4, 0
	s_waitcnt lgkmcnt(0)
	s_delay_alu instid0(VALU_DEP_2)
	v_add_nc_u32_e32 v2, v3, v2
	ds_bpermute_b32 v1, v4, v1 offset:124
	ds_bpermute_b32 v2, v4, v2 offset:124
	v_cmpx_eq_u32_e32 0, v9
	s_cbranch_execz .LBB156_3
; %bb.2:
	v_lshrrev_b32_e32 v3, 2, v0
	s_delay_alu instid0(VALU_DEP_1)
	v_and_b32_e32 v3, 56, v3
	s_waitcnt lgkmcnt(0)
	ds_store_b64 v3, v[1:2]
.LBB156_3:
	s_or_b32 exec_lo, exec_lo, s1
	s_delay_alu instid0(SALU_CYCLE_1)
	s_mov_b32 s1, exec_lo
	s_waitcnt lgkmcnt(0)
	s_barrier
	buffer_gl0_inv
	v_cmpx_gt_u32_e32 32, v0
	s_cbranch_execz .LBB156_5
; %bb.4:
	v_and_b32_e32 v3, 7, v9
	s_delay_alu instid0(VALU_DEP_1) | instskip(SKIP_4) | instid1(VALU_DEP_2)
	v_lshlrev_b32_e32 v1, 3, v3
	v_cmp_ne_u32_e32 vcc_lo, 7, v3
	ds_load_b64 v[1:2], v1
	v_add_co_ci_u32_e32 v4, vcc_lo, 0, v9, vcc_lo
	v_cmp_gt_u32_e32 vcc_lo, 6, v3
	v_lshlrev_b32_e32 v4, 2, v4
	v_cndmask_b32_e64 v6, 0, 1, vcc_lo
	s_delay_alu instid0(VALU_DEP_1) | instskip(NEXT) | instid1(VALU_DEP_1)
	v_lshlrev_b32_e32 v6, 1, v6
	v_add_lshl_u32 v6, v6, v9, 2
	s_waitcnt lgkmcnt(0)
	ds_bpermute_b32 v5, v4, v1
	ds_bpermute_b32 v4, v4, v2
	s_waitcnt lgkmcnt(1)
	v_add_co_u32 v1, vcc_lo, v1, v5
	v_add_co_ci_u32_e32 v2, vcc_lo, 0, v2, vcc_lo
	ds_bpermute_b32 v5, v6, v1
	v_add_co_u32 v1, vcc_lo, 0, v1
	s_waitcnt lgkmcnt(1)
	v_add_co_ci_u32_e32 v2, vcc_lo, v4, v2, vcc_lo
	v_cmp_gt_u32_e32 vcc_lo, 4, v3
	ds_bpermute_b32 v4, v6, v2
	v_cndmask_b32_e64 v3, 0, 1, vcc_lo
	s_delay_alu instid0(VALU_DEP_1) | instskip(NEXT) | instid1(VALU_DEP_1)
	v_lshlrev_b32_e32 v3, 2, v3
	v_add_lshl_u32 v3, v3, v9, 2
	s_waitcnt lgkmcnt(1)
	v_add_co_u32 v1, vcc_lo, v1, v5
	v_add_co_ci_u32_e32 v2, vcc_lo, 0, v2, vcc_lo
	ds_bpermute_b32 v5, v3, v1
	v_add_co_u32 v1, vcc_lo, v1, 0
	s_waitcnt lgkmcnt(1)
	v_add_co_ci_u32_e32 v2, vcc_lo, v2, v4, vcc_lo
	ds_bpermute_b32 v3, v3, v2
	s_waitcnt lgkmcnt(1)
	v_add_co_u32 v1, vcc_lo, v1, v5
	v_add_co_ci_u32_e32 v2, vcc_lo, 0, v2, vcc_lo
	s_delay_alu instid0(VALU_DEP_2) | instskip(SKIP_1) | instid1(VALU_DEP_2)
	v_add_co_u32 v1, vcc_lo, v1, 0
	s_waitcnt lgkmcnt(0)
	v_add_co_ci_u32_e32 v2, vcc_lo, v2, v3, vcc_lo
.LBB156_5:
	s_or_b32 exec_lo, exec_lo, s1
	s_branch .LBB156_36
.LBB156_6:
                                        ; implicit-def: $vgpr1_vgpr2
	s_cbranch_execz .LBB156_36
; %bb.7:
	s_sub_i32 s6, s8, s0
	s_mov_b32 s0, exec_lo
                                        ; implicit-def: $vgpr1_vgpr2_vgpr3_vgpr4_vgpr5_vgpr6_vgpr7_vgpr8
	v_cmpx_gt_u32_e64 s6, v0
	s_cbranch_execz .LBB156_9
; %bb.8:
	global_load_b64 v[1:2], v10, s[4:5]
.LBB156_9:
	s_or_b32 exec_lo, exec_lo, s0
	v_or_b32_e32 v11, 0x100, v0
	s_delay_alu instid0(VALU_DEP_1)
	v_cmp_gt_u32_e32 vcc_lo, s6, v11
	s_and_saveexec_b32 s0, vcc_lo
	s_cbranch_execz .LBB156_11
; %bb.10:
	global_load_b64 v[3:4], v10, s[4:5] offset:2048
.LBB156_11:
	s_or_b32 exec_lo, exec_lo, s0
	v_or_b32_e32 v10, 0x200, v0
	s_delay_alu instid0(VALU_DEP_1) | instskip(NEXT) | instid1(VALU_DEP_1)
	v_cmp_gt_u32_e64 s0, s6, v10
	s_and_saveexec_b32 s1, s0
	s_cbranch_execz .LBB156_13
; %bb.12:
	v_lshlrev_b32_e32 v5, 3, v10
	global_load_b64 v[5:6], v5, s[4:5]
.LBB156_13:
	s_or_b32 exec_lo, exec_lo, s1
	v_or_b32_e32 v10, 0x300, v0
	s_delay_alu instid0(VALU_DEP_1) | instskip(NEXT) | instid1(VALU_DEP_1)
	v_cmp_gt_u32_e64 s1, s6, v10
	s_and_saveexec_b32 s7, s1
	s_cbranch_execz .LBB156_15
; %bb.14:
	v_lshlrev_b32_e32 v7, 3, v10
	global_load_b64 v[7:8], v7, s[4:5]
.LBB156_15:
	s_or_b32 exec_lo, exec_lo, s7
	s_waitcnt vmcnt(0)
	v_dual_cndmask_b32 v3, 0, v3 :: v_dual_cndmask_b32 v4, 0, v4
	s_delay_alu instid0(VALU_DEP_1) | instskip(NEXT) | instid1(VALU_DEP_2)
	v_add_co_u32 v1, vcc_lo, v3, v1
	v_add_co_ci_u32_e32 v2, vcc_lo, v4, v2, vcc_lo
	v_cmp_ne_u32_e32 vcc_lo, 31, v9
	v_cndmask_b32_e64 v4, 0, v5, s0
	v_cndmask_b32_e64 v3, 0, v6, s0
	;; [unrolled: 1-line block ×3, first 2 shown]
	s_min_u32 s0, s6, 0x100
	v_add_co_ci_u32_e32 v6, vcc_lo, 0, v9, vcc_lo
	v_add_co_u32 v1, vcc_lo, v1, v4
	v_add_co_ci_u32_e32 v2, vcc_lo, v2, v3, vcc_lo
	v_cndmask_b32_e64 v3, 0, v8, s1
	s_delay_alu instid0(VALU_DEP_3) | instskip(SKIP_1) | instid1(VALU_DEP_3)
	v_add_co_u32 v1, vcc_lo, v1, v5
	v_lshlrev_b32_e32 v4, 2, v6
	v_add_co_ci_u32_e32 v2, vcc_lo, v2, v3, vcc_lo
	v_and_b32_e32 v3, 0xe0, v0
	ds_bpermute_b32 v6, v4, v1
	ds_bpermute_b32 v5, v4, v2
	v_add_nc_u32_e32 v4, 1, v9
	v_sub_nc_u32_e64 v3, s0, v3 clamp
	s_delay_alu instid0(VALU_DEP_1)
	v_cmp_lt_u32_e32 vcc_lo, v4, v3
	v_mov_b32_e32 v4, v1
	s_and_saveexec_b32 s1, vcc_lo
	s_cbranch_execz .LBB156_17
; %bb.16:
	s_waitcnt lgkmcnt(1)
	v_add_co_u32 v4, vcc_lo, v1, v6
	v_add_co_ci_u32_e32 v2, vcc_lo, 0, v2, vcc_lo
	s_delay_alu instid0(VALU_DEP_2) | instskip(SKIP_1) | instid1(VALU_DEP_2)
	v_add_co_u32 v1, vcc_lo, v4, 0
	s_waitcnt lgkmcnt(0)
	v_add_co_ci_u32_e32 v2, vcc_lo, v2, v5, vcc_lo
.LBB156_17:
	s_or_b32 exec_lo, exec_lo, s1
	v_cmp_gt_u32_e32 vcc_lo, 30, v9
	v_add_nc_u32_e32 v7, 2, v9
	s_mov_b32 s1, exec_lo
	s_waitcnt lgkmcnt(0)
	v_cndmask_b32_e64 v5, 0, 1, vcc_lo
	s_delay_alu instid0(VALU_DEP_1) | instskip(NEXT) | instid1(VALU_DEP_1)
	v_lshlrev_b32_e32 v5, 1, v5
	v_add_lshl_u32 v5, v5, v9, 2
	ds_bpermute_b32 v6, v5, v4
	ds_bpermute_b32 v5, v5, v2
	v_cmpx_lt_u32_e64 v7, v3
	s_cbranch_execz .LBB156_19
; %bb.18:
	s_waitcnt lgkmcnt(1)
	v_add_co_u32 v4, vcc_lo, v1, v6
	v_add_co_ci_u32_e32 v2, vcc_lo, 0, v2, vcc_lo
	s_delay_alu instid0(VALU_DEP_2) | instskip(SKIP_1) | instid1(VALU_DEP_2)
	v_add_co_u32 v1, vcc_lo, 0, v4
	s_waitcnt lgkmcnt(0)
	v_add_co_ci_u32_e32 v2, vcc_lo, v5, v2, vcc_lo
.LBB156_19:
	s_or_b32 exec_lo, exec_lo, s1
	v_cmp_gt_u32_e32 vcc_lo, 28, v9
	v_add_nc_u32_e32 v7, 4, v9
	s_mov_b32 s1, exec_lo
	s_waitcnt lgkmcnt(0)
	v_cndmask_b32_e64 v5, 0, 1, vcc_lo
	s_delay_alu instid0(VALU_DEP_1) | instskip(NEXT) | instid1(VALU_DEP_1)
	v_lshlrev_b32_e32 v5, 2, v5
	v_add_lshl_u32 v5, v5, v9, 2
	ds_bpermute_b32 v6, v5, v4
	ds_bpermute_b32 v5, v5, v2
	v_cmpx_lt_u32_e64 v7, v3
	;; [unrolled: 22-line block ×3, first 2 shown]
	s_cbranch_execz .LBB156_23
; %bb.22:
	s_waitcnt lgkmcnt(1)
	v_add_co_u32 v4, vcc_lo, v1, v6
	v_add_co_ci_u32_e32 v2, vcc_lo, 0, v2, vcc_lo
	s_delay_alu instid0(VALU_DEP_2) | instskip(SKIP_1) | instid1(VALU_DEP_2)
	v_add_co_u32 v1, vcc_lo, 0, v4
	s_waitcnt lgkmcnt(0)
	v_add_co_ci_u32_e32 v2, vcc_lo, v5, v2, vcc_lo
.LBB156_23:
	s_or_b32 exec_lo, exec_lo, s1
	v_cmp_gt_u32_e32 vcc_lo, 16, v9
	s_mov_b32 s1, exec_lo
	s_waitcnt lgkmcnt(0)
	v_cndmask_b32_e64 v5, 0, 1, vcc_lo
	s_delay_alu instid0(VALU_DEP_1) | instskip(NEXT) | instid1(VALU_DEP_1)
	v_lshlrev_b32_e32 v5, 4, v5
	v_add_lshl_u32 v6, v5, v9, 2
	ds_bpermute_b32 v5, v6, v4
	ds_bpermute_b32 v4, v6, v2
	v_add_nc_u32_e32 v6, 16, v9
	s_delay_alu instid0(VALU_DEP_1)
	v_cmpx_lt_u32_e64 v6, v3
	s_cbranch_execz .LBB156_25
; %bb.24:
	s_waitcnt lgkmcnt(1)
	v_add_co_u32 v1, vcc_lo, v1, v5
	v_add_co_ci_u32_e32 v2, vcc_lo, 0, v2, vcc_lo
	s_delay_alu instid0(VALU_DEP_2) | instskip(SKIP_1) | instid1(VALU_DEP_2)
	v_add_co_u32 v1, vcc_lo, v1, 0
	s_waitcnt lgkmcnt(0)
	v_add_co_ci_u32_e32 v2, vcc_lo, v2, v4, vcc_lo
.LBB156_25:
	s_or_b32 exec_lo, exec_lo, s1
	s_delay_alu instid0(SALU_CYCLE_1)
	s_mov_b32 s1, exec_lo
	v_cmpx_eq_u32_e32 0, v9
	s_cbranch_execz .LBB156_27
; %bb.26:
	v_lshrrev_b32_e32 v3, 2, v0
	s_delay_alu instid0(VALU_DEP_1)
	v_and_b32_e32 v3, 56, v3
	ds_store_b64 v3, v[1:2] offset:64
.LBB156_27:
	s_or_b32 exec_lo, exec_lo, s1
	s_delay_alu instid0(SALU_CYCLE_1)
	s_mov_b32 s1, exec_lo
	s_waitcnt lgkmcnt(0)
	s_barrier
	buffer_gl0_inv
	v_cmpx_gt_u32_e32 8, v0
	s_cbranch_execz .LBB156_35
; %bb.28:
	v_lshlrev_b32_e32 v1, 3, v9
	s_add_i32 s0, s0, 31
	s_delay_alu instid0(SALU_CYCLE_1) | instskip(SKIP_2) | instid1(VALU_DEP_1)
	s_lshr_b32 s0, s0, 5
	ds_load_b64 v[1:2], v1 offset:64
	v_and_b32_e32 v3, 7, v9
	v_cmp_ne_u32_e32 vcc_lo, 7, v3
	v_add_co_ci_u32_e32 v4, vcc_lo, 0, v9, vcc_lo
	s_delay_alu instid0(VALU_DEP_1) | instskip(SKIP_4) | instid1(VALU_DEP_1)
	v_lshlrev_b32_e32 v4, 2, v4
	s_waitcnt lgkmcnt(0)
	ds_bpermute_b32 v6, v4, v1
	ds_bpermute_b32 v5, v4, v2
	v_add_nc_u32_e32 v4, 1, v3
	v_cmp_gt_u32_e32 vcc_lo, s0, v4
	v_mov_b32_e32 v4, v1
	s_and_saveexec_b32 s4, vcc_lo
	s_cbranch_execz .LBB156_30
; %bb.29:
	s_waitcnt lgkmcnt(1)
	v_add_co_u32 v4, vcc_lo, v1, v6
	v_add_co_ci_u32_e32 v2, vcc_lo, 0, v2, vcc_lo
	s_delay_alu instid0(VALU_DEP_2) | instskip(SKIP_1) | instid1(VALU_DEP_2)
	v_add_co_u32 v1, vcc_lo, 0, v4
	s_waitcnt lgkmcnt(0)
	v_add_co_ci_u32_e32 v2, vcc_lo, v5, v2, vcc_lo
.LBB156_30:
	s_or_b32 exec_lo, exec_lo, s4
	v_cmp_gt_u32_e32 vcc_lo, 6, v3
	v_add_nc_u32_e32 v7, 2, v3
	s_mov_b32 s4, exec_lo
	s_waitcnt lgkmcnt(0)
	v_cndmask_b32_e64 v5, 0, 1, vcc_lo
	s_delay_alu instid0(VALU_DEP_1) | instskip(NEXT) | instid1(VALU_DEP_1)
	v_lshlrev_b32_e32 v5, 1, v5
	v_add_lshl_u32 v5, v5, v9, 2
	ds_bpermute_b32 v6, v5, v4
	ds_bpermute_b32 v5, v5, v2
	v_cmpx_gt_u32_e64 s0, v7
	s_cbranch_execz .LBB156_32
; %bb.31:
	s_waitcnt lgkmcnt(1)
	v_add_co_u32 v4, vcc_lo, v1, v6
	v_add_co_ci_u32_e32 v2, vcc_lo, 0, v2, vcc_lo
	s_delay_alu instid0(VALU_DEP_2) | instskip(SKIP_1) | instid1(VALU_DEP_2)
	v_add_co_u32 v1, vcc_lo, 0, v4
	s_waitcnt lgkmcnt(0)
	v_add_co_ci_u32_e32 v2, vcc_lo, v5, v2, vcc_lo
.LBB156_32:
	s_or_b32 exec_lo, exec_lo, s4
	v_cmp_gt_u32_e32 vcc_lo, 4, v3
	v_add_nc_u32_e32 v3, 4, v3
	s_waitcnt lgkmcnt(0)
	v_cndmask_b32_e64 v5, 0, 1, vcc_lo
	s_delay_alu instid0(VALU_DEP_2) | instskip(NEXT) | instid1(VALU_DEP_2)
	v_cmp_gt_u32_e32 vcc_lo, s0, v3
	v_lshlrev_b32_e32 v5, 2, v5
	s_delay_alu instid0(VALU_DEP_1)
	v_add_lshl_u32 v6, v5, v9, 2
	ds_bpermute_b32 v5, v6, v4
	ds_bpermute_b32 v4, v6, v2
	s_and_saveexec_b32 s0, vcc_lo
	s_cbranch_execz .LBB156_34
; %bb.33:
	s_waitcnt lgkmcnt(1)
	v_add_co_u32 v1, vcc_lo, v1, v5
	v_add_co_ci_u32_e32 v2, vcc_lo, 0, v2, vcc_lo
	s_delay_alu instid0(VALU_DEP_2) | instskip(SKIP_1) | instid1(VALU_DEP_2)
	v_add_co_u32 v1, vcc_lo, v1, 0
	s_waitcnt lgkmcnt(0)
	v_add_co_ci_u32_e32 v2, vcc_lo, v2, v4, vcc_lo
.LBB156_34:
	s_or_b32 exec_lo, exec_lo, s0
.LBB156_35:
	s_delay_alu instid0(SALU_CYCLE_1)
	s_or_b32 exec_lo, exec_lo, s1
.LBB156_36:
	s_delay_alu instid0(SALU_CYCLE_1)
	s_mov_b32 s0, exec_lo
	v_cmpx_eq_u32_e32 0, v0
	s_cbranch_execz .LBB156_38
; %bb.37:
	s_mul_i32 s0, s14, s13
	s_mul_hi_u32 s1, s14, s12
	s_mul_i32 s4, s15, s12
	s_add_i32 s1, s1, s0
	s_mul_i32 s0, s14, s12
	s_add_i32 s1, s1, s4
	v_mov_b32_e32 v0, 0
	s_lshl_b64 s[0:1], s[0:1], 3
	s_delay_alu instid0(SALU_CYCLE_1)
	s_add_u32 s4, s10, s0
	s_addc_u32 s5, s11, s1
	s_cmp_eq_u64 s[8:9], 0
	s_cselect_b32 s6, -1, 0
	s_lshl_b64 s[0:1], s[2:3], 3
	v_cndmask_b32_e64 v2, v2, s17, s6
	v_cndmask_b32_e64 v1, v1, s16, s6
	s_add_u32 s0, s4, s0
	s_addc_u32 s1, s5, s1
	global_store_b64 v0, v[1:2], s[0:1]
.LBB156_38:
	s_nop 0
	s_sendmsg sendmsg(MSG_DEALLOC_VGPRS)
	s_endpgm
	.section	.rodata,"a",@progbits
	.p2align	6, 0x0
	.amdhsa_kernel _ZN7rocprim17ROCPRIM_400000_NS6detail17trampoline_kernelINS0_14default_configENS1_22reduce_config_selectorIlEEZNS1_11reduce_implILb1ES3_PlS7_lN6hipcub16HIPCUB_304000_NS6detail34convert_binary_result_type_wrapperINS9_3SumENS9_22TransformInputIteratorIb7NonZeroIiEPilEElEEEE10hipError_tPvRmT1_T2_T3_mT4_P12ihipStream_tbEUlT_E0_NS1_11comp_targetILNS1_3genE9ELNS1_11target_archE1100ELNS1_3gpuE3ELNS1_3repE0EEENS1_30default_config_static_selectorELNS0_4arch9wavefront6targetE0EEEvSM_
		.amdhsa_group_segment_fixed_size 128
		.amdhsa_private_segment_fixed_size 0
		.amdhsa_kernarg_size 64
		.amdhsa_user_sgpr_count 15
		.amdhsa_user_sgpr_dispatch_ptr 0
		.amdhsa_user_sgpr_queue_ptr 0
		.amdhsa_user_sgpr_kernarg_segment_ptr 1
		.amdhsa_user_sgpr_dispatch_id 0
		.amdhsa_user_sgpr_private_segment_size 0
		.amdhsa_wavefront_size32 1
		.amdhsa_uses_dynamic_stack 0
		.amdhsa_enable_private_segment 0
		.amdhsa_system_sgpr_workgroup_id_x 1
		.amdhsa_system_sgpr_workgroup_id_y 0
		.amdhsa_system_sgpr_workgroup_id_z 0
		.amdhsa_system_sgpr_workgroup_info 0
		.amdhsa_system_vgpr_workitem_id 0
		.amdhsa_next_free_vgpr 12
		.amdhsa_next_free_sgpr 20
		.amdhsa_reserve_vcc 1
		.amdhsa_float_round_mode_32 0
		.amdhsa_float_round_mode_16_64 0
		.amdhsa_float_denorm_mode_32 3
		.amdhsa_float_denorm_mode_16_64 3
		.amdhsa_dx10_clamp 1
		.amdhsa_ieee_mode 1
		.amdhsa_fp16_overflow 0
		.amdhsa_workgroup_processor_mode 1
		.amdhsa_memory_ordered 1
		.amdhsa_forward_progress 0
		.amdhsa_shared_vgpr_count 0
		.amdhsa_exception_fp_ieee_invalid_op 0
		.amdhsa_exception_fp_denorm_src 0
		.amdhsa_exception_fp_ieee_div_zero 0
		.amdhsa_exception_fp_ieee_overflow 0
		.amdhsa_exception_fp_ieee_underflow 0
		.amdhsa_exception_fp_ieee_inexact 0
		.amdhsa_exception_int_div_zero 0
	.end_amdhsa_kernel
	.section	.text._ZN7rocprim17ROCPRIM_400000_NS6detail17trampoline_kernelINS0_14default_configENS1_22reduce_config_selectorIlEEZNS1_11reduce_implILb1ES3_PlS7_lN6hipcub16HIPCUB_304000_NS6detail34convert_binary_result_type_wrapperINS9_3SumENS9_22TransformInputIteratorIb7NonZeroIiEPilEElEEEE10hipError_tPvRmT1_T2_T3_mT4_P12ihipStream_tbEUlT_E0_NS1_11comp_targetILNS1_3genE9ELNS1_11target_archE1100ELNS1_3gpuE3ELNS1_3repE0EEENS1_30default_config_static_selectorELNS0_4arch9wavefront6targetE0EEEvSM_,"axG",@progbits,_ZN7rocprim17ROCPRIM_400000_NS6detail17trampoline_kernelINS0_14default_configENS1_22reduce_config_selectorIlEEZNS1_11reduce_implILb1ES3_PlS7_lN6hipcub16HIPCUB_304000_NS6detail34convert_binary_result_type_wrapperINS9_3SumENS9_22TransformInputIteratorIb7NonZeroIiEPilEElEEEE10hipError_tPvRmT1_T2_T3_mT4_P12ihipStream_tbEUlT_E0_NS1_11comp_targetILNS1_3genE9ELNS1_11target_archE1100ELNS1_3gpuE3ELNS1_3repE0EEENS1_30default_config_static_selectorELNS0_4arch9wavefront6targetE0EEEvSM_,comdat
.Lfunc_end156:
	.size	_ZN7rocprim17ROCPRIM_400000_NS6detail17trampoline_kernelINS0_14default_configENS1_22reduce_config_selectorIlEEZNS1_11reduce_implILb1ES3_PlS7_lN6hipcub16HIPCUB_304000_NS6detail34convert_binary_result_type_wrapperINS9_3SumENS9_22TransformInputIteratorIb7NonZeroIiEPilEElEEEE10hipError_tPvRmT1_T2_T3_mT4_P12ihipStream_tbEUlT_E0_NS1_11comp_targetILNS1_3genE9ELNS1_11target_archE1100ELNS1_3gpuE3ELNS1_3repE0EEENS1_30default_config_static_selectorELNS0_4arch9wavefront6targetE0EEEvSM_, .Lfunc_end156-_ZN7rocprim17ROCPRIM_400000_NS6detail17trampoline_kernelINS0_14default_configENS1_22reduce_config_selectorIlEEZNS1_11reduce_implILb1ES3_PlS7_lN6hipcub16HIPCUB_304000_NS6detail34convert_binary_result_type_wrapperINS9_3SumENS9_22TransformInputIteratorIb7NonZeroIiEPilEElEEEE10hipError_tPvRmT1_T2_T3_mT4_P12ihipStream_tbEUlT_E0_NS1_11comp_targetILNS1_3genE9ELNS1_11target_archE1100ELNS1_3gpuE3ELNS1_3repE0EEENS1_30default_config_static_selectorELNS0_4arch9wavefront6targetE0EEEvSM_
                                        ; -- End function
	.section	.AMDGPU.csdata,"",@progbits
; Kernel info:
; codeLenInByte = 2140
; NumSgprs: 22
; NumVgprs: 12
; ScratchSize: 0
; MemoryBound: 0
; FloatMode: 240
; IeeeMode: 1
; LDSByteSize: 128 bytes/workgroup (compile time only)
; SGPRBlocks: 2
; VGPRBlocks: 1
; NumSGPRsForWavesPerEU: 22
; NumVGPRsForWavesPerEU: 12
; Occupancy: 16
; WaveLimiterHint : 1
; COMPUTE_PGM_RSRC2:SCRATCH_EN: 0
; COMPUTE_PGM_RSRC2:USER_SGPR: 15
; COMPUTE_PGM_RSRC2:TRAP_HANDLER: 0
; COMPUTE_PGM_RSRC2:TGID_X_EN: 1
; COMPUTE_PGM_RSRC2:TGID_Y_EN: 0
; COMPUTE_PGM_RSRC2:TGID_Z_EN: 0
; COMPUTE_PGM_RSRC2:TIDIG_COMP_CNT: 0
	.section	.text._ZN7rocprim17ROCPRIM_400000_NS6detail17trampoline_kernelINS0_14default_configENS1_22reduce_config_selectorIlEEZNS1_11reduce_implILb1ES3_PlS7_lN6hipcub16HIPCUB_304000_NS6detail34convert_binary_result_type_wrapperINS9_3SumENS9_22TransformInputIteratorIb7NonZeroIiEPilEElEEEE10hipError_tPvRmT1_T2_T3_mT4_P12ihipStream_tbEUlT_E0_NS1_11comp_targetILNS1_3genE8ELNS1_11target_archE1030ELNS1_3gpuE2ELNS1_3repE0EEENS1_30default_config_static_selectorELNS0_4arch9wavefront6targetE0EEEvSM_,"axG",@progbits,_ZN7rocprim17ROCPRIM_400000_NS6detail17trampoline_kernelINS0_14default_configENS1_22reduce_config_selectorIlEEZNS1_11reduce_implILb1ES3_PlS7_lN6hipcub16HIPCUB_304000_NS6detail34convert_binary_result_type_wrapperINS9_3SumENS9_22TransformInputIteratorIb7NonZeroIiEPilEElEEEE10hipError_tPvRmT1_T2_T3_mT4_P12ihipStream_tbEUlT_E0_NS1_11comp_targetILNS1_3genE8ELNS1_11target_archE1030ELNS1_3gpuE2ELNS1_3repE0EEENS1_30default_config_static_selectorELNS0_4arch9wavefront6targetE0EEEvSM_,comdat
	.protected	_ZN7rocprim17ROCPRIM_400000_NS6detail17trampoline_kernelINS0_14default_configENS1_22reduce_config_selectorIlEEZNS1_11reduce_implILb1ES3_PlS7_lN6hipcub16HIPCUB_304000_NS6detail34convert_binary_result_type_wrapperINS9_3SumENS9_22TransformInputIteratorIb7NonZeroIiEPilEElEEEE10hipError_tPvRmT1_T2_T3_mT4_P12ihipStream_tbEUlT_E0_NS1_11comp_targetILNS1_3genE8ELNS1_11target_archE1030ELNS1_3gpuE2ELNS1_3repE0EEENS1_30default_config_static_selectorELNS0_4arch9wavefront6targetE0EEEvSM_ ; -- Begin function _ZN7rocprim17ROCPRIM_400000_NS6detail17trampoline_kernelINS0_14default_configENS1_22reduce_config_selectorIlEEZNS1_11reduce_implILb1ES3_PlS7_lN6hipcub16HIPCUB_304000_NS6detail34convert_binary_result_type_wrapperINS9_3SumENS9_22TransformInputIteratorIb7NonZeroIiEPilEElEEEE10hipError_tPvRmT1_T2_T3_mT4_P12ihipStream_tbEUlT_E0_NS1_11comp_targetILNS1_3genE8ELNS1_11target_archE1030ELNS1_3gpuE2ELNS1_3repE0EEENS1_30default_config_static_selectorELNS0_4arch9wavefront6targetE0EEEvSM_
	.globl	_ZN7rocprim17ROCPRIM_400000_NS6detail17trampoline_kernelINS0_14default_configENS1_22reduce_config_selectorIlEEZNS1_11reduce_implILb1ES3_PlS7_lN6hipcub16HIPCUB_304000_NS6detail34convert_binary_result_type_wrapperINS9_3SumENS9_22TransformInputIteratorIb7NonZeroIiEPilEElEEEE10hipError_tPvRmT1_T2_T3_mT4_P12ihipStream_tbEUlT_E0_NS1_11comp_targetILNS1_3genE8ELNS1_11target_archE1030ELNS1_3gpuE2ELNS1_3repE0EEENS1_30default_config_static_selectorELNS0_4arch9wavefront6targetE0EEEvSM_
	.p2align	8
	.type	_ZN7rocprim17ROCPRIM_400000_NS6detail17trampoline_kernelINS0_14default_configENS1_22reduce_config_selectorIlEEZNS1_11reduce_implILb1ES3_PlS7_lN6hipcub16HIPCUB_304000_NS6detail34convert_binary_result_type_wrapperINS9_3SumENS9_22TransformInputIteratorIb7NonZeroIiEPilEElEEEE10hipError_tPvRmT1_T2_T3_mT4_P12ihipStream_tbEUlT_E0_NS1_11comp_targetILNS1_3genE8ELNS1_11target_archE1030ELNS1_3gpuE2ELNS1_3repE0EEENS1_30default_config_static_selectorELNS0_4arch9wavefront6targetE0EEEvSM_,@function
_ZN7rocprim17ROCPRIM_400000_NS6detail17trampoline_kernelINS0_14default_configENS1_22reduce_config_selectorIlEEZNS1_11reduce_implILb1ES3_PlS7_lN6hipcub16HIPCUB_304000_NS6detail34convert_binary_result_type_wrapperINS9_3SumENS9_22TransformInputIteratorIb7NonZeroIiEPilEElEEEE10hipError_tPvRmT1_T2_T3_mT4_P12ihipStream_tbEUlT_E0_NS1_11comp_targetILNS1_3genE8ELNS1_11target_archE1030ELNS1_3gpuE2ELNS1_3repE0EEENS1_30default_config_static_selectorELNS0_4arch9wavefront6targetE0EEEvSM_: ; @_ZN7rocprim17ROCPRIM_400000_NS6detail17trampoline_kernelINS0_14default_configENS1_22reduce_config_selectorIlEEZNS1_11reduce_implILb1ES3_PlS7_lN6hipcub16HIPCUB_304000_NS6detail34convert_binary_result_type_wrapperINS9_3SumENS9_22TransformInputIteratorIb7NonZeroIiEPilEElEEEE10hipError_tPvRmT1_T2_T3_mT4_P12ihipStream_tbEUlT_E0_NS1_11comp_targetILNS1_3genE8ELNS1_11target_archE1030ELNS1_3gpuE2ELNS1_3repE0EEENS1_30default_config_static_selectorELNS0_4arch9wavefront6targetE0EEEvSM_
; %bb.0:
	.section	.rodata,"a",@progbits
	.p2align	6, 0x0
	.amdhsa_kernel _ZN7rocprim17ROCPRIM_400000_NS6detail17trampoline_kernelINS0_14default_configENS1_22reduce_config_selectorIlEEZNS1_11reduce_implILb1ES3_PlS7_lN6hipcub16HIPCUB_304000_NS6detail34convert_binary_result_type_wrapperINS9_3SumENS9_22TransformInputIteratorIb7NonZeroIiEPilEElEEEE10hipError_tPvRmT1_T2_T3_mT4_P12ihipStream_tbEUlT_E0_NS1_11comp_targetILNS1_3genE8ELNS1_11target_archE1030ELNS1_3gpuE2ELNS1_3repE0EEENS1_30default_config_static_selectorELNS0_4arch9wavefront6targetE0EEEvSM_
		.amdhsa_group_segment_fixed_size 0
		.amdhsa_private_segment_fixed_size 0
		.amdhsa_kernarg_size 64
		.amdhsa_user_sgpr_count 15
		.amdhsa_user_sgpr_dispatch_ptr 0
		.amdhsa_user_sgpr_queue_ptr 0
		.amdhsa_user_sgpr_kernarg_segment_ptr 1
		.amdhsa_user_sgpr_dispatch_id 0
		.amdhsa_user_sgpr_private_segment_size 0
		.amdhsa_wavefront_size32 1
		.amdhsa_uses_dynamic_stack 0
		.amdhsa_enable_private_segment 0
		.amdhsa_system_sgpr_workgroup_id_x 1
		.amdhsa_system_sgpr_workgroup_id_y 0
		.amdhsa_system_sgpr_workgroup_id_z 0
		.amdhsa_system_sgpr_workgroup_info 0
		.amdhsa_system_vgpr_workitem_id 0
		.amdhsa_next_free_vgpr 1
		.amdhsa_next_free_sgpr 1
		.amdhsa_reserve_vcc 0
		.amdhsa_float_round_mode_32 0
		.amdhsa_float_round_mode_16_64 0
		.amdhsa_float_denorm_mode_32 3
		.amdhsa_float_denorm_mode_16_64 3
		.amdhsa_dx10_clamp 1
		.amdhsa_ieee_mode 1
		.amdhsa_fp16_overflow 0
		.amdhsa_workgroup_processor_mode 1
		.amdhsa_memory_ordered 1
		.amdhsa_forward_progress 0
		.amdhsa_shared_vgpr_count 0
		.amdhsa_exception_fp_ieee_invalid_op 0
		.amdhsa_exception_fp_denorm_src 0
		.amdhsa_exception_fp_ieee_div_zero 0
		.amdhsa_exception_fp_ieee_overflow 0
		.amdhsa_exception_fp_ieee_underflow 0
		.amdhsa_exception_fp_ieee_inexact 0
		.amdhsa_exception_int_div_zero 0
	.end_amdhsa_kernel
	.section	.text._ZN7rocprim17ROCPRIM_400000_NS6detail17trampoline_kernelINS0_14default_configENS1_22reduce_config_selectorIlEEZNS1_11reduce_implILb1ES3_PlS7_lN6hipcub16HIPCUB_304000_NS6detail34convert_binary_result_type_wrapperINS9_3SumENS9_22TransformInputIteratorIb7NonZeroIiEPilEElEEEE10hipError_tPvRmT1_T2_T3_mT4_P12ihipStream_tbEUlT_E0_NS1_11comp_targetILNS1_3genE8ELNS1_11target_archE1030ELNS1_3gpuE2ELNS1_3repE0EEENS1_30default_config_static_selectorELNS0_4arch9wavefront6targetE0EEEvSM_,"axG",@progbits,_ZN7rocprim17ROCPRIM_400000_NS6detail17trampoline_kernelINS0_14default_configENS1_22reduce_config_selectorIlEEZNS1_11reduce_implILb1ES3_PlS7_lN6hipcub16HIPCUB_304000_NS6detail34convert_binary_result_type_wrapperINS9_3SumENS9_22TransformInputIteratorIb7NonZeroIiEPilEElEEEE10hipError_tPvRmT1_T2_T3_mT4_P12ihipStream_tbEUlT_E0_NS1_11comp_targetILNS1_3genE8ELNS1_11target_archE1030ELNS1_3gpuE2ELNS1_3repE0EEENS1_30default_config_static_selectorELNS0_4arch9wavefront6targetE0EEEvSM_,comdat
.Lfunc_end157:
	.size	_ZN7rocprim17ROCPRIM_400000_NS6detail17trampoline_kernelINS0_14default_configENS1_22reduce_config_selectorIlEEZNS1_11reduce_implILb1ES3_PlS7_lN6hipcub16HIPCUB_304000_NS6detail34convert_binary_result_type_wrapperINS9_3SumENS9_22TransformInputIteratorIb7NonZeroIiEPilEElEEEE10hipError_tPvRmT1_T2_T3_mT4_P12ihipStream_tbEUlT_E0_NS1_11comp_targetILNS1_3genE8ELNS1_11target_archE1030ELNS1_3gpuE2ELNS1_3repE0EEENS1_30default_config_static_selectorELNS0_4arch9wavefront6targetE0EEEvSM_, .Lfunc_end157-_ZN7rocprim17ROCPRIM_400000_NS6detail17trampoline_kernelINS0_14default_configENS1_22reduce_config_selectorIlEEZNS1_11reduce_implILb1ES3_PlS7_lN6hipcub16HIPCUB_304000_NS6detail34convert_binary_result_type_wrapperINS9_3SumENS9_22TransformInputIteratorIb7NonZeroIiEPilEElEEEE10hipError_tPvRmT1_T2_T3_mT4_P12ihipStream_tbEUlT_E0_NS1_11comp_targetILNS1_3genE8ELNS1_11target_archE1030ELNS1_3gpuE2ELNS1_3repE0EEENS1_30default_config_static_selectorELNS0_4arch9wavefront6targetE0EEEvSM_
                                        ; -- End function
	.section	.AMDGPU.csdata,"",@progbits
; Kernel info:
; codeLenInByte = 0
; NumSgprs: 0
; NumVgprs: 0
; ScratchSize: 0
; MemoryBound: 0
; FloatMode: 240
; IeeeMode: 1
; LDSByteSize: 0 bytes/workgroup (compile time only)
; SGPRBlocks: 0
; VGPRBlocks: 0
; NumSGPRsForWavesPerEU: 1
; NumVGPRsForWavesPerEU: 1
; Occupancy: 16
; WaveLimiterHint : 0
; COMPUTE_PGM_RSRC2:SCRATCH_EN: 0
; COMPUTE_PGM_RSRC2:USER_SGPR: 15
; COMPUTE_PGM_RSRC2:TRAP_HANDLER: 0
; COMPUTE_PGM_RSRC2:TGID_X_EN: 1
; COMPUTE_PGM_RSRC2:TGID_Y_EN: 0
; COMPUTE_PGM_RSRC2:TGID_Z_EN: 0
; COMPUTE_PGM_RSRC2:TIDIG_COMP_CNT: 0
	.section	.text._ZN7rocprim17ROCPRIM_400000_NS6detail17trampoline_kernelINS0_14default_configENS1_22reduce_config_selectorIlEEZNS1_11reduce_implILb1ES3_PlS7_lN6hipcub16HIPCUB_304000_NS6detail34convert_binary_result_type_wrapperINS9_3SumENS9_22TransformInputIteratorIb7NonZeroIiEPilEElEEEE10hipError_tPvRmT1_T2_T3_mT4_P12ihipStream_tbEUlT_E1_NS1_11comp_targetILNS1_3genE0ELNS1_11target_archE4294967295ELNS1_3gpuE0ELNS1_3repE0EEENS1_30default_config_static_selectorELNS0_4arch9wavefront6targetE0EEEvSM_,"axG",@progbits,_ZN7rocprim17ROCPRIM_400000_NS6detail17trampoline_kernelINS0_14default_configENS1_22reduce_config_selectorIlEEZNS1_11reduce_implILb1ES3_PlS7_lN6hipcub16HIPCUB_304000_NS6detail34convert_binary_result_type_wrapperINS9_3SumENS9_22TransformInputIteratorIb7NonZeroIiEPilEElEEEE10hipError_tPvRmT1_T2_T3_mT4_P12ihipStream_tbEUlT_E1_NS1_11comp_targetILNS1_3genE0ELNS1_11target_archE4294967295ELNS1_3gpuE0ELNS1_3repE0EEENS1_30default_config_static_selectorELNS0_4arch9wavefront6targetE0EEEvSM_,comdat
	.protected	_ZN7rocprim17ROCPRIM_400000_NS6detail17trampoline_kernelINS0_14default_configENS1_22reduce_config_selectorIlEEZNS1_11reduce_implILb1ES3_PlS7_lN6hipcub16HIPCUB_304000_NS6detail34convert_binary_result_type_wrapperINS9_3SumENS9_22TransformInputIteratorIb7NonZeroIiEPilEElEEEE10hipError_tPvRmT1_T2_T3_mT4_P12ihipStream_tbEUlT_E1_NS1_11comp_targetILNS1_3genE0ELNS1_11target_archE4294967295ELNS1_3gpuE0ELNS1_3repE0EEENS1_30default_config_static_selectorELNS0_4arch9wavefront6targetE0EEEvSM_ ; -- Begin function _ZN7rocprim17ROCPRIM_400000_NS6detail17trampoline_kernelINS0_14default_configENS1_22reduce_config_selectorIlEEZNS1_11reduce_implILb1ES3_PlS7_lN6hipcub16HIPCUB_304000_NS6detail34convert_binary_result_type_wrapperINS9_3SumENS9_22TransformInputIteratorIb7NonZeroIiEPilEElEEEE10hipError_tPvRmT1_T2_T3_mT4_P12ihipStream_tbEUlT_E1_NS1_11comp_targetILNS1_3genE0ELNS1_11target_archE4294967295ELNS1_3gpuE0ELNS1_3repE0EEENS1_30default_config_static_selectorELNS0_4arch9wavefront6targetE0EEEvSM_
	.globl	_ZN7rocprim17ROCPRIM_400000_NS6detail17trampoline_kernelINS0_14default_configENS1_22reduce_config_selectorIlEEZNS1_11reduce_implILb1ES3_PlS7_lN6hipcub16HIPCUB_304000_NS6detail34convert_binary_result_type_wrapperINS9_3SumENS9_22TransformInputIteratorIb7NonZeroIiEPilEElEEEE10hipError_tPvRmT1_T2_T3_mT4_P12ihipStream_tbEUlT_E1_NS1_11comp_targetILNS1_3genE0ELNS1_11target_archE4294967295ELNS1_3gpuE0ELNS1_3repE0EEENS1_30default_config_static_selectorELNS0_4arch9wavefront6targetE0EEEvSM_
	.p2align	8
	.type	_ZN7rocprim17ROCPRIM_400000_NS6detail17trampoline_kernelINS0_14default_configENS1_22reduce_config_selectorIlEEZNS1_11reduce_implILb1ES3_PlS7_lN6hipcub16HIPCUB_304000_NS6detail34convert_binary_result_type_wrapperINS9_3SumENS9_22TransformInputIteratorIb7NonZeroIiEPilEElEEEE10hipError_tPvRmT1_T2_T3_mT4_P12ihipStream_tbEUlT_E1_NS1_11comp_targetILNS1_3genE0ELNS1_11target_archE4294967295ELNS1_3gpuE0ELNS1_3repE0EEENS1_30default_config_static_selectorELNS0_4arch9wavefront6targetE0EEEvSM_,@function
_ZN7rocprim17ROCPRIM_400000_NS6detail17trampoline_kernelINS0_14default_configENS1_22reduce_config_selectorIlEEZNS1_11reduce_implILb1ES3_PlS7_lN6hipcub16HIPCUB_304000_NS6detail34convert_binary_result_type_wrapperINS9_3SumENS9_22TransformInputIteratorIb7NonZeroIiEPilEElEEEE10hipError_tPvRmT1_T2_T3_mT4_P12ihipStream_tbEUlT_E1_NS1_11comp_targetILNS1_3genE0ELNS1_11target_archE4294967295ELNS1_3gpuE0ELNS1_3repE0EEENS1_30default_config_static_selectorELNS0_4arch9wavefront6targetE0EEEvSM_: ; @_ZN7rocprim17ROCPRIM_400000_NS6detail17trampoline_kernelINS0_14default_configENS1_22reduce_config_selectorIlEEZNS1_11reduce_implILb1ES3_PlS7_lN6hipcub16HIPCUB_304000_NS6detail34convert_binary_result_type_wrapperINS9_3SumENS9_22TransformInputIteratorIb7NonZeroIiEPilEElEEEE10hipError_tPvRmT1_T2_T3_mT4_P12ihipStream_tbEUlT_E1_NS1_11comp_targetILNS1_3genE0ELNS1_11target_archE4294967295ELNS1_3gpuE0ELNS1_3repE0EEENS1_30default_config_static_selectorELNS0_4arch9wavefront6targetE0EEEvSM_
; %bb.0:
	.section	.rodata,"a",@progbits
	.p2align	6, 0x0
	.amdhsa_kernel _ZN7rocprim17ROCPRIM_400000_NS6detail17trampoline_kernelINS0_14default_configENS1_22reduce_config_selectorIlEEZNS1_11reduce_implILb1ES3_PlS7_lN6hipcub16HIPCUB_304000_NS6detail34convert_binary_result_type_wrapperINS9_3SumENS9_22TransformInputIteratorIb7NonZeroIiEPilEElEEEE10hipError_tPvRmT1_T2_T3_mT4_P12ihipStream_tbEUlT_E1_NS1_11comp_targetILNS1_3genE0ELNS1_11target_archE4294967295ELNS1_3gpuE0ELNS1_3repE0EEENS1_30default_config_static_selectorELNS0_4arch9wavefront6targetE0EEEvSM_
		.amdhsa_group_segment_fixed_size 0
		.amdhsa_private_segment_fixed_size 0
		.amdhsa_kernarg_size 48
		.amdhsa_user_sgpr_count 15
		.amdhsa_user_sgpr_dispatch_ptr 0
		.amdhsa_user_sgpr_queue_ptr 0
		.amdhsa_user_sgpr_kernarg_segment_ptr 1
		.amdhsa_user_sgpr_dispatch_id 0
		.amdhsa_user_sgpr_private_segment_size 0
		.amdhsa_wavefront_size32 1
		.amdhsa_uses_dynamic_stack 0
		.amdhsa_enable_private_segment 0
		.amdhsa_system_sgpr_workgroup_id_x 1
		.amdhsa_system_sgpr_workgroup_id_y 0
		.amdhsa_system_sgpr_workgroup_id_z 0
		.amdhsa_system_sgpr_workgroup_info 0
		.amdhsa_system_vgpr_workitem_id 0
		.amdhsa_next_free_vgpr 1
		.amdhsa_next_free_sgpr 1
		.amdhsa_reserve_vcc 0
		.amdhsa_float_round_mode_32 0
		.amdhsa_float_round_mode_16_64 0
		.amdhsa_float_denorm_mode_32 3
		.amdhsa_float_denorm_mode_16_64 3
		.amdhsa_dx10_clamp 1
		.amdhsa_ieee_mode 1
		.amdhsa_fp16_overflow 0
		.amdhsa_workgroup_processor_mode 1
		.amdhsa_memory_ordered 1
		.amdhsa_forward_progress 0
		.amdhsa_shared_vgpr_count 0
		.amdhsa_exception_fp_ieee_invalid_op 0
		.amdhsa_exception_fp_denorm_src 0
		.amdhsa_exception_fp_ieee_div_zero 0
		.amdhsa_exception_fp_ieee_overflow 0
		.amdhsa_exception_fp_ieee_underflow 0
		.amdhsa_exception_fp_ieee_inexact 0
		.amdhsa_exception_int_div_zero 0
	.end_amdhsa_kernel
	.section	.text._ZN7rocprim17ROCPRIM_400000_NS6detail17trampoline_kernelINS0_14default_configENS1_22reduce_config_selectorIlEEZNS1_11reduce_implILb1ES3_PlS7_lN6hipcub16HIPCUB_304000_NS6detail34convert_binary_result_type_wrapperINS9_3SumENS9_22TransformInputIteratorIb7NonZeroIiEPilEElEEEE10hipError_tPvRmT1_T2_T3_mT4_P12ihipStream_tbEUlT_E1_NS1_11comp_targetILNS1_3genE0ELNS1_11target_archE4294967295ELNS1_3gpuE0ELNS1_3repE0EEENS1_30default_config_static_selectorELNS0_4arch9wavefront6targetE0EEEvSM_,"axG",@progbits,_ZN7rocprim17ROCPRIM_400000_NS6detail17trampoline_kernelINS0_14default_configENS1_22reduce_config_selectorIlEEZNS1_11reduce_implILb1ES3_PlS7_lN6hipcub16HIPCUB_304000_NS6detail34convert_binary_result_type_wrapperINS9_3SumENS9_22TransformInputIteratorIb7NonZeroIiEPilEElEEEE10hipError_tPvRmT1_T2_T3_mT4_P12ihipStream_tbEUlT_E1_NS1_11comp_targetILNS1_3genE0ELNS1_11target_archE4294967295ELNS1_3gpuE0ELNS1_3repE0EEENS1_30default_config_static_selectorELNS0_4arch9wavefront6targetE0EEEvSM_,comdat
.Lfunc_end158:
	.size	_ZN7rocprim17ROCPRIM_400000_NS6detail17trampoline_kernelINS0_14default_configENS1_22reduce_config_selectorIlEEZNS1_11reduce_implILb1ES3_PlS7_lN6hipcub16HIPCUB_304000_NS6detail34convert_binary_result_type_wrapperINS9_3SumENS9_22TransformInputIteratorIb7NonZeroIiEPilEElEEEE10hipError_tPvRmT1_T2_T3_mT4_P12ihipStream_tbEUlT_E1_NS1_11comp_targetILNS1_3genE0ELNS1_11target_archE4294967295ELNS1_3gpuE0ELNS1_3repE0EEENS1_30default_config_static_selectorELNS0_4arch9wavefront6targetE0EEEvSM_, .Lfunc_end158-_ZN7rocprim17ROCPRIM_400000_NS6detail17trampoline_kernelINS0_14default_configENS1_22reduce_config_selectorIlEEZNS1_11reduce_implILb1ES3_PlS7_lN6hipcub16HIPCUB_304000_NS6detail34convert_binary_result_type_wrapperINS9_3SumENS9_22TransformInputIteratorIb7NonZeroIiEPilEElEEEE10hipError_tPvRmT1_T2_T3_mT4_P12ihipStream_tbEUlT_E1_NS1_11comp_targetILNS1_3genE0ELNS1_11target_archE4294967295ELNS1_3gpuE0ELNS1_3repE0EEENS1_30default_config_static_selectorELNS0_4arch9wavefront6targetE0EEEvSM_
                                        ; -- End function
	.section	.AMDGPU.csdata,"",@progbits
; Kernel info:
; codeLenInByte = 0
; NumSgprs: 0
; NumVgprs: 0
; ScratchSize: 0
; MemoryBound: 0
; FloatMode: 240
; IeeeMode: 1
; LDSByteSize: 0 bytes/workgroup (compile time only)
; SGPRBlocks: 0
; VGPRBlocks: 0
; NumSGPRsForWavesPerEU: 1
; NumVGPRsForWavesPerEU: 1
; Occupancy: 16
; WaveLimiterHint : 0
; COMPUTE_PGM_RSRC2:SCRATCH_EN: 0
; COMPUTE_PGM_RSRC2:USER_SGPR: 15
; COMPUTE_PGM_RSRC2:TRAP_HANDLER: 0
; COMPUTE_PGM_RSRC2:TGID_X_EN: 1
; COMPUTE_PGM_RSRC2:TGID_Y_EN: 0
; COMPUTE_PGM_RSRC2:TGID_Z_EN: 0
; COMPUTE_PGM_RSRC2:TIDIG_COMP_CNT: 0
	.section	.text._ZN7rocprim17ROCPRIM_400000_NS6detail17trampoline_kernelINS0_14default_configENS1_22reduce_config_selectorIlEEZNS1_11reduce_implILb1ES3_PlS7_lN6hipcub16HIPCUB_304000_NS6detail34convert_binary_result_type_wrapperINS9_3SumENS9_22TransformInputIteratorIb7NonZeroIiEPilEElEEEE10hipError_tPvRmT1_T2_T3_mT4_P12ihipStream_tbEUlT_E1_NS1_11comp_targetILNS1_3genE5ELNS1_11target_archE942ELNS1_3gpuE9ELNS1_3repE0EEENS1_30default_config_static_selectorELNS0_4arch9wavefront6targetE0EEEvSM_,"axG",@progbits,_ZN7rocprim17ROCPRIM_400000_NS6detail17trampoline_kernelINS0_14default_configENS1_22reduce_config_selectorIlEEZNS1_11reduce_implILb1ES3_PlS7_lN6hipcub16HIPCUB_304000_NS6detail34convert_binary_result_type_wrapperINS9_3SumENS9_22TransformInputIteratorIb7NonZeroIiEPilEElEEEE10hipError_tPvRmT1_T2_T3_mT4_P12ihipStream_tbEUlT_E1_NS1_11comp_targetILNS1_3genE5ELNS1_11target_archE942ELNS1_3gpuE9ELNS1_3repE0EEENS1_30default_config_static_selectorELNS0_4arch9wavefront6targetE0EEEvSM_,comdat
	.protected	_ZN7rocprim17ROCPRIM_400000_NS6detail17trampoline_kernelINS0_14default_configENS1_22reduce_config_selectorIlEEZNS1_11reduce_implILb1ES3_PlS7_lN6hipcub16HIPCUB_304000_NS6detail34convert_binary_result_type_wrapperINS9_3SumENS9_22TransformInputIteratorIb7NonZeroIiEPilEElEEEE10hipError_tPvRmT1_T2_T3_mT4_P12ihipStream_tbEUlT_E1_NS1_11comp_targetILNS1_3genE5ELNS1_11target_archE942ELNS1_3gpuE9ELNS1_3repE0EEENS1_30default_config_static_selectorELNS0_4arch9wavefront6targetE0EEEvSM_ ; -- Begin function _ZN7rocprim17ROCPRIM_400000_NS6detail17trampoline_kernelINS0_14default_configENS1_22reduce_config_selectorIlEEZNS1_11reduce_implILb1ES3_PlS7_lN6hipcub16HIPCUB_304000_NS6detail34convert_binary_result_type_wrapperINS9_3SumENS9_22TransformInputIteratorIb7NonZeroIiEPilEElEEEE10hipError_tPvRmT1_T2_T3_mT4_P12ihipStream_tbEUlT_E1_NS1_11comp_targetILNS1_3genE5ELNS1_11target_archE942ELNS1_3gpuE9ELNS1_3repE0EEENS1_30default_config_static_selectorELNS0_4arch9wavefront6targetE0EEEvSM_
	.globl	_ZN7rocprim17ROCPRIM_400000_NS6detail17trampoline_kernelINS0_14default_configENS1_22reduce_config_selectorIlEEZNS1_11reduce_implILb1ES3_PlS7_lN6hipcub16HIPCUB_304000_NS6detail34convert_binary_result_type_wrapperINS9_3SumENS9_22TransformInputIteratorIb7NonZeroIiEPilEElEEEE10hipError_tPvRmT1_T2_T3_mT4_P12ihipStream_tbEUlT_E1_NS1_11comp_targetILNS1_3genE5ELNS1_11target_archE942ELNS1_3gpuE9ELNS1_3repE0EEENS1_30default_config_static_selectorELNS0_4arch9wavefront6targetE0EEEvSM_
	.p2align	8
	.type	_ZN7rocprim17ROCPRIM_400000_NS6detail17trampoline_kernelINS0_14default_configENS1_22reduce_config_selectorIlEEZNS1_11reduce_implILb1ES3_PlS7_lN6hipcub16HIPCUB_304000_NS6detail34convert_binary_result_type_wrapperINS9_3SumENS9_22TransformInputIteratorIb7NonZeroIiEPilEElEEEE10hipError_tPvRmT1_T2_T3_mT4_P12ihipStream_tbEUlT_E1_NS1_11comp_targetILNS1_3genE5ELNS1_11target_archE942ELNS1_3gpuE9ELNS1_3repE0EEENS1_30default_config_static_selectorELNS0_4arch9wavefront6targetE0EEEvSM_,@function
_ZN7rocprim17ROCPRIM_400000_NS6detail17trampoline_kernelINS0_14default_configENS1_22reduce_config_selectorIlEEZNS1_11reduce_implILb1ES3_PlS7_lN6hipcub16HIPCUB_304000_NS6detail34convert_binary_result_type_wrapperINS9_3SumENS9_22TransformInputIteratorIb7NonZeroIiEPilEElEEEE10hipError_tPvRmT1_T2_T3_mT4_P12ihipStream_tbEUlT_E1_NS1_11comp_targetILNS1_3genE5ELNS1_11target_archE942ELNS1_3gpuE9ELNS1_3repE0EEENS1_30default_config_static_selectorELNS0_4arch9wavefront6targetE0EEEvSM_: ; @_ZN7rocprim17ROCPRIM_400000_NS6detail17trampoline_kernelINS0_14default_configENS1_22reduce_config_selectorIlEEZNS1_11reduce_implILb1ES3_PlS7_lN6hipcub16HIPCUB_304000_NS6detail34convert_binary_result_type_wrapperINS9_3SumENS9_22TransformInputIteratorIb7NonZeroIiEPilEElEEEE10hipError_tPvRmT1_T2_T3_mT4_P12ihipStream_tbEUlT_E1_NS1_11comp_targetILNS1_3genE5ELNS1_11target_archE942ELNS1_3gpuE9ELNS1_3repE0EEENS1_30default_config_static_selectorELNS0_4arch9wavefront6targetE0EEEvSM_
; %bb.0:
	.section	.rodata,"a",@progbits
	.p2align	6, 0x0
	.amdhsa_kernel _ZN7rocprim17ROCPRIM_400000_NS6detail17trampoline_kernelINS0_14default_configENS1_22reduce_config_selectorIlEEZNS1_11reduce_implILb1ES3_PlS7_lN6hipcub16HIPCUB_304000_NS6detail34convert_binary_result_type_wrapperINS9_3SumENS9_22TransformInputIteratorIb7NonZeroIiEPilEElEEEE10hipError_tPvRmT1_T2_T3_mT4_P12ihipStream_tbEUlT_E1_NS1_11comp_targetILNS1_3genE5ELNS1_11target_archE942ELNS1_3gpuE9ELNS1_3repE0EEENS1_30default_config_static_selectorELNS0_4arch9wavefront6targetE0EEEvSM_
		.amdhsa_group_segment_fixed_size 0
		.amdhsa_private_segment_fixed_size 0
		.amdhsa_kernarg_size 48
		.amdhsa_user_sgpr_count 15
		.amdhsa_user_sgpr_dispatch_ptr 0
		.amdhsa_user_sgpr_queue_ptr 0
		.amdhsa_user_sgpr_kernarg_segment_ptr 1
		.amdhsa_user_sgpr_dispatch_id 0
		.amdhsa_user_sgpr_private_segment_size 0
		.amdhsa_wavefront_size32 1
		.amdhsa_uses_dynamic_stack 0
		.amdhsa_enable_private_segment 0
		.amdhsa_system_sgpr_workgroup_id_x 1
		.amdhsa_system_sgpr_workgroup_id_y 0
		.amdhsa_system_sgpr_workgroup_id_z 0
		.amdhsa_system_sgpr_workgroup_info 0
		.amdhsa_system_vgpr_workitem_id 0
		.amdhsa_next_free_vgpr 1
		.amdhsa_next_free_sgpr 1
		.amdhsa_reserve_vcc 0
		.amdhsa_float_round_mode_32 0
		.amdhsa_float_round_mode_16_64 0
		.amdhsa_float_denorm_mode_32 3
		.amdhsa_float_denorm_mode_16_64 3
		.amdhsa_dx10_clamp 1
		.amdhsa_ieee_mode 1
		.amdhsa_fp16_overflow 0
		.amdhsa_workgroup_processor_mode 1
		.amdhsa_memory_ordered 1
		.amdhsa_forward_progress 0
		.amdhsa_shared_vgpr_count 0
		.amdhsa_exception_fp_ieee_invalid_op 0
		.amdhsa_exception_fp_denorm_src 0
		.amdhsa_exception_fp_ieee_div_zero 0
		.amdhsa_exception_fp_ieee_overflow 0
		.amdhsa_exception_fp_ieee_underflow 0
		.amdhsa_exception_fp_ieee_inexact 0
		.amdhsa_exception_int_div_zero 0
	.end_amdhsa_kernel
	.section	.text._ZN7rocprim17ROCPRIM_400000_NS6detail17trampoline_kernelINS0_14default_configENS1_22reduce_config_selectorIlEEZNS1_11reduce_implILb1ES3_PlS7_lN6hipcub16HIPCUB_304000_NS6detail34convert_binary_result_type_wrapperINS9_3SumENS9_22TransformInputIteratorIb7NonZeroIiEPilEElEEEE10hipError_tPvRmT1_T2_T3_mT4_P12ihipStream_tbEUlT_E1_NS1_11comp_targetILNS1_3genE5ELNS1_11target_archE942ELNS1_3gpuE9ELNS1_3repE0EEENS1_30default_config_static_selectorELNS0_4arch9wavefront6targetE0EEEvSM_,"axG",@progbits,_ZN7rocprim17ROCPRIM_400000_NS6detail17trampoline_kernelINS0_14default_configENS1_22reduce_config_selectorIlEEZNS1_11reduce_implILb1ES3_PlS7_lN6hipcub16HIPCUB_304000_NS6detail34convert_binary_result_type_wrapperINS9_3SumENS9_22TransformInputIteratorIb7NonZeroIiEPilEElEEEE10hipError_tPvRmT1_T2_T3_mT4_P12ihipStream_tbEUlT_E1_NS1_11comp_targetILNS1_3genE5ELNS1_11target_archE942ELNS1_3gpuE9ELNS1_3repE0EEENS1_30default_config_static_selectorELNS0_4arch9wavefront6targetE0EEEvSM_,comdat
.Lfunc_end159:
	.size	_ZN7rocprim17ROCPRIM_400000_NS6detail17trampoline_kernelINS0_14default_configENS1_22reduce_config_selectorIlEEZNS1_11reduce_implILb1ES3_PlS7_lN6hipcub16HIPCUB_304000_NS6detail34convert_binary_result_type_wrapperINS9_3SumENS9_22TransformInputIteratorIb7NonZeroIiEPilEElEEEE10hipError_tPvRmT1_T2_T3_mT4_P12ihipStream_tbEUlT_E1_NS1_11comp_targetILNS1_3genE5ELNS1_11target_archE942ELNS1_3gpuE9ELNS1_3repE0EEENS1_30default_config_static_selectorELNS0_4arch9wavefront6targetE0EEEvSM_, .Lfunc_end159-_ZN7rocprim17ROCPRIM_400000_NS6detail17trampoline_kernelINS0_14default_configENS1_22reduce_config_selectorIlEEZNS1_11reduce_implILb1ES3_PlS7_lN6hipcub16HIPCUB_304000_NS6detail34convert_binary_result_type_wrapperINS9_3SumENS9_22TransformInputIteratorIb7NonZeroIiEPilEElEEEE10hipError_tPvRmT1_T2_T3_mT4_P12ihipStream_tbEUlT_E1_NS1_11comp_targetILNS1_3genE5ELNS1_11target_archE942ELNS1_3gpuE9ELNS1_3repE0EEENS1_30default_config_static_selectorELNS0_4arch9wavefront6targetE0EEEvSM_
                                        ; -- End function
	.section	.AMDGPU.csdata,"",@progbits
; Kernel info:
; codeLenInByte = 0
; NumSgprs: 0
; NumVgprs: 0
; ScratchSize: 0
; MemoryBound: 0
; FloatMode: 240
; IeeeMode: 1
; LDSByteSize: 0 bytes/workgroup (compile time only)
; SGPRBlocks: 0
; VGPRBlocks: 0
; NumSGPRsForWavesPerEU: 1
; NumVGPRsForWavesPerEU: 1
; Occupancy: 16
; WaveLimiterHint : 0
; COMPUTE_PGM_RSRC2:SCRATCH_EN: 0
; COMPUTE_PGM_RSRC2:USER_SGPR: 15
; COMPUTE_PGM_RSRC2:TRAP_HANDLER: 0
; COMPUTE_PGM_RSRC2:TGID_X_EN: 1
; COMPUTE_PGM_RSRC2:TGID_Y_EN: 0
; COMPUTE_PGM_RSRC2:TGID_Z_EN: 0
; COMPUTE_PGM_RSRC2:TIDIG_COMP_CNT: 0
	.section	.text._ZN7rocprim17ROCPRIM_400000_NS6detail17trampoline_kernelINS0_14default_configENS1_22reduce_config_selectorIlEEZNS1_11reduce_implILb1ES3_PlS7_lN6hipcub16HIPCUB_304000_NS6detail34convert_binary_result_type_wrapperINS9_3SumENS9_22TransformInputIteratorIb7NonZeroIiEPilEElEEEE10hipError_tPvRmT1_T2_T3_mT4_P12ihipStream_tbEUlT_E1_NS1_11comp_targetILNS1_3genE4ELNS1_11target_archE910ELNS1_3gpuE8ELNS1_3repE0EEENS1_30default_config_static_selectorELNS0_4arch9wavefront6targetE0EEEvSM_,"axG",@progbits,_ZN7rocprim17ROCPRIM_400000_NS6detail17trampoline_kernelINS0_14default_configENS1_22reduce_config_selectorIlEEZNS1_11reduce_implILb1ES3_PlS7_lN6hipcub16HIPCUB_304000_NS6detail34convert_binary_result_type_wrapperINS9_3SumENS9_22TransformInputIteratorIb7NonZeroIiEPilEElEEEE10hipError_tPvRmT1_T2_T3_mT4_P12ihipStream_tbEUlT_E1_NS1_11comp_targetILNS1_3genE4ELNS1_11target_archE910ELNS1_3gpuE8ELNS1_3repE0EEENS1_30default_config_static_selectorELNS0_4arch9wavefront6targetE0EEEvSM_,comdat
	.protected	_ZN7rocprim17ROCPRIM_400000_NS6detail17trampoline_kernelINS0_14default_configENS1_22reduce_config_selectorIlEEZNS1_11reduce_implILb1ES3_PlS7_lN6hipcub16HIPCUB_304000_NS6detail34convert_binary_result_type_wrapperINS9_3SumENS9_22TransformInputIteratorIb7NonZeroIiEPilEElEEEE10hipError_tPvRmT1_T2_T3_mT4_P12ihipStream_tbEUlT_E1_NS1_11comp_targetILNS1_3genE4ELNS1_11target_archE910ELNS1_3gpuE8ELNS1_3repE0EEENS1_30default_config_static_selectorELNS0_4arch9wavefront6targetE0EEEvSM_ ; -- Begin function _ZN7rocprim17ROCPRIM_400000_NS6detail17trampoline_kernelINS0_14default_configENS1_22reduce_config_selectorIlEEZNS1_11reduce_implILb1ES3_PlS7_lN6hipcub16HIPCUB_304000_NS6detail34convert_binary_result_type_wrapperINS9_3SumENS9_22TransformInputIteratorIb7NonZeroIiEPilEElEEEE10hipError_tPvRmT1_T2_T3_mT4_P12ihipStream_tbEUlT_E1_NS1_11comp_targetILNS1_3genE4ELNS1_11target_archE910ELNS1_3gpuE8ELNS1_3repE0EEENS1_30default_config_static_selectorELNS0_4arch9wavefront6targetE0EEEvSM_
	.globl	_ZN7rocprim17ROCPRIM_400000_NS6detail17trampoline_kernelINS0_14default_configENS1_22reduce_config_selectorIlEEZNS1_11reduce_implILb1ES3_PlS7_lN6hipcub16HIPCUB_304000_NS6detail34convert_binary_result_type_wrapperINS9_3SumENS9_22TransformInputIteratorIb7NonZeroIiEPilEElEEEE10hipError_tPvRmT1_T2_T3_mT4_P12ihipStream_tbEUlT_E1_NS1_11comp_targetILNS1_3genE4ELNS1_11target_archE910ELNS1_3gpuE8ELNS1_3repE0EEENS1_30default_config_static_selectorELNS0_4arch9wavefront6targetE0EEEvSM_
	.p2align	8
	.type	_ZN7rocprim17ROCPRIM_400000_NS6detail17trampoline_kernelINS0_14default_configENS1_22reduce_config_selectorIlEEZNS1_11reduce_implILb1ES3_PlS7_lN6hipcub16HIPCUB_304000_NS6detail34convert_binary_result_type_wrapperINS9_3SumENS9_22TransformInputIteratorIb7NonZeroIiEPilEElEEEE10hipError_tPvRmT1_T2_T3_mT4_P12ihipStream_tbEUlT_E1_NS1_11comp_targetILNS1_3genE4ELNS1_11target_archE910ELNS1_3gpuE8ELNS1_3repE0EEENS1_30default_config_static_selectorELNS0_4arch9wavefront6targetE0EEEvSM_,@function
_ZN7rocprim17ROCPRIM_400000_NS6detail17trampoline_kernelINS0_14default_configENS1_22reduce_config_selectorIlEEZNS1_11reduce_implILb1ES3_PlS7_lN6hipcub16HIPCUB_304000_NS6detail34convert_binary_result_type_wrapperINS9_3SumENS9_22TransformInputIteratorIb7NonZeroIiEPilEElEEEE10hipError_tPvRmT1_T2_T3_mT4_P12ihipStream_tbEUlT_E1_NS1_11comp_targetILNS1_3genE4ELNS1_11target_archE910ELNS1_3gpuE8ELNS1_3repE0EEENS1_30default_config_static_selectorELNS0_4arch9wavefront6targetE0EEEvSM_: ; @_ZN7rocprim17ROCPRIM_400000_NS6detail17trampoline_kernelINS0_14default_configENS1_22reduce_config_selectorIlEEZNS1_11reduce_implILb1ES3_PlS7_lN6hipcub16HIPCUB_304000_NS6detail34convert_binary_result_type_wrapperINS9_3SumENS9_22TransformInputIteratorIb7NonZeroIiEPilEElEEEE10hipError_tPvRmT1_T2_T3_mT4_P12ihipStream_tbEUlT_E1_NS1_11comp_targetILNS1_3genE4ELNS1_11target_archE910ELNS1_3gpuE8ELNS1_3repE0EEENS1_30default_config_static_selectorELNS0_4arch9wavefront6targetE0EEEvSM_
; %bb.0:
	.section	.rodata,"a",@progbits
	.p2align	6, 0x0
	.amdhsa_kernel _ZN7rocprim17ROCPRIM_400000_NS6detail17trampoline_kernelINS0_14default_configENS1_22reduce_config_selectorIlEEZNS1_11reduce_implILb1ES3_PlS7_lN6hipcub16HIPCUB_304000_NS6detail34convert_binary_result_type_wrapperINS9_3SumENS9_22TransformInputIteratorIb7NonZeroIiEPilEElEEEE10hipError_tPvRmT1_T2_T3_mT4_P12ihipStream_tbEUlT_E1_NS1_11comp_targetILNS1_3genE4ELNS1_11target_archE910ELNS1_3gpuE8ELNS1_3repE0EEENS1_30default_config_static_selectorELNS0_4arch9wavefront6targetE0EEEvSM_
		.amdhsa_group_segment_fixed_size 0
		.amdhsa_private_segment_fixed_size 0
		.amdhsa_kernarg_size 48
		.amdhsa_user_sgpr_count 15
		.amdhsa_user_sgpr_dispatch_ptr 0
		.amdhsa_user_sgpr_queue_ptr 0
		.amdhsa_user_sgpr_kernarg_segment_ptr 1
		.amdhsa_user_sgpr_dispatch_id 0
		.amdhsa_user_sgpr_private_segment_size 0
		.amdhsa_wavefront_size32 1
		.amdhsa_uses_dynamic_stack 0
		.amdhsa_enable_private_segment 0
		.amdhsa_system_sgpr_workgroup_id_x 1
		.amdhsa_system_sgpr_workgroup_id_y 0
		.amdhsa_system_sgpr_workgroup_id_z 0
		.amdhsa_system_sgpr_workgroup_info 0
		.amdhsa_system_vgpr_workitem_id 0
		.amdhsa_next_free_vgpr 1
		.amdhsa_next_free_sgpr 1
		.amdhsa_reserve_vcc 0
		.amdhsa_float_round_mode_32 0
		.amdhsa_float_round_mode_16_64 0
		.amdhsa_float_denorm_mode_32 3
		.amdhsa_float_denorm_mode_16_64 3
		.amdhsa_dx10_clamp 1
		.amdhsa_ieee_mode 1
		.amdhsa_fp16_overflow 0
		.amdhsa_workgroup_processor_mode 1
		.amdhsa_memory_ordered 1
		.amdhsa_forward_progress 0
		.amdhsa_shared_vgpr_count 0
		.amdhsa_exception_fp_ieee_invalid_op 0
		.amdhsa_exception_fp_denorm_src 0
		.amdhsa_exception_fp_ieee_div_zero 0
		.amdhsa_exception_fp_ieee_overflow 0
		.amdhsa_exception_fp_ieee_underflow 0
		.amdhsa_exception_fp_ieee_inexact 0
		.amdhsa_exception_int_div_zero 0
	.end_amdhsa_kernel
	.section	.text._ZN7rocprim17ROCPRIM_400000_NS6detail17trampoline_kernelINS0_14default_configENS1_22reduce_config_selectorIlEEZNS1_11reduce_implILb1ES3_PlS7_lN6hipcub16HIPCUB_304000_NS6detail34convert_binary_result_type_wrapperINS9_3SumENS9_22TransformInputIteratorIb7NonZeroIiEPilEElEEEE10hipError_tPvRmT1_T2_T3_mT4_P12ihipStream_tbEUlT_E1_NS1_11comp_targetILNS1_3genE4ELNS1_11target_archE910ELNS1_3gpuE8ELNS1_3repE0EEENS1_30default_config_static_selectorELNS0_4arch9wavefront6targetE0EEEvSM_,"axG",@progbits,_ZN7rocprim17ROCPRIM_400000_NS6detail17trampoline_kernelINS0_14default_configENS1_22reduce_config_selectorIlEEZNS1_11reduce_implILb1ES3_PlS7_lN6hipcub16HIPCUB_304000_NS6detail34convert_binary_result_type_wrapperINS9_3SumENS9_22TransformInputIteratorIb7NonZeroIiEPilEElEEEE10hipError_tPvRmT1_T2_T3_mT4_P12ihipStream_tbEUlT_E1_NS1_11comp_targetILNS1_3genE4ELNS1_11target_archE910ELNS1_3gpuE8ELNS1_3repE0EEENS1_30default_config_static_selectorELNS0_4arch9wavefront6targetE0EEEvSM_,comdat
.Lfunc_end160:
	.size	_ZN7rocprim17ROCPRIM_400000_NS6detail17trampoline_kernelINS0_14default_configENS1_22reduce_config_selectorIlEEZNS1_11reduce_implILb1ES3_PlS7_lN6hipcub16HIPCUB_304000_NS6detail34convert_binary_result_type_wrapperINS9_3SumENS9_22TransformInputIteratorIb7NonZeroIiEPilEElEEEE10hipError_tPvRmT1_T2_T3_mT4_P12ihipStream_tbEUlT_E1_NS1_11comp_targetILNS1_3genE4ELNS1_11target_archE910ELNS1_3gpuE8ELNS1_3repE0EEENS1_30default_config_static_selectorELNS0_4arch9wavefront6targetE0EEEvSM_, .Lfunc_end160-_ZN7rocprim17ROCPRIM_400000_NS6detail17trampoline_kernelINS0_14default_configENS1_22reduce_config_selectorIlEEZNS1_11reduce_implILb1ES3_PlS7_lN6hipcub16HIPCUB_304000_NS6detail34convert_binary_result_type_wrapperINS9_3SumENS9_22TransformInputIteratorIb7NonZeroIiEPilEElEEEE10hipError_tPvRmT1_T2_T3_mT4_P12ihipStream_tbEUlT_E1_NS1_11comp_targetILNS1_3genE4ELNS1_11target_archE910ELNS1_3gpuE8ELNS1_3repE0EEENS1_30default_config_static_selectorELNS0_4arch9wavefront6targetE0EEEvSM_
                                        ; -- End function
	.section	.AMDGPU.csdata,"",@progbits
; Kernel info:
; codeLenInByte = 0
; NumSgprs: 0
; NumVgprs: 0
; ScratchSize: 0
; MemoryBound: 0
; FloatMode: 240
; IeeeMode: 1
; LDSByteSize: 0 bytes/workgroup (compile time only)
; SGPRBlocks: 0
; VGPRBlocks: 0
; NumSGPRsForWavesPerEU: 1
; NumVGPRsForWavesPerEU: 1
; Occupancy: 16
; WaveLimiterHint : 0
; COMPUTE_PGM_RSRC2:SCRATCH_EN: 0
; COMPUTE_PGM_RSRC2:USER_SGPR: 15
; COMPUTE_PGM_RSRC2:TRAP_HANDLER: 0
; COMPUTE_PGM_RSRC2:TGID_X_EN: 1
; COMPUTE_PGM_RSRC2:TGID_Y_EN: 0
; COMPUTE_PGM_RSRC2:TGID_Z_EN: 0
; COMPUTE_PGM_RSRC2:TIDIG_COMP_CNT: 0
	.section	.text._ZN7rocprim17ROCPRIM_400000_NS6detail17trampoline_kernelINS0_14default_configENS1_22reduce_config_selectorIlEEZNS1_11reduce_implILb1ES3_PlS7_lN6hipcub16HIPCUB_304000_NS6detail34convert_binary_result_type_wrapperINS9_3SumENS9_22TransformInputIteratorIb7NonZeroIiEPilEElEEEE10hipError_tPvRmT1_T2_T3_mT4_P12ihipStream_tbEUlT_E1_NS1_11comp_targetILNS1_3genE3ELNS1_11target_archE908ELNS1_3gpuE7ELNS1_3repE0EEENS1_30default_config_static_selectorELNS0_4arch9wavefront6targetE0EEEvSM_,"axG",@progbits,_ZN7rocprim17ROCPRIM_400000_NS6detail17trampoline_kernelINS0_14default_configENS1_22reduce_config_selectorIlEEZNS1_11reduce_implILb1ES3_PlS7_lN6hipcub16HIPCUB_304000_NS6detail34convert_binary_result_type_wrapperINS9_3SumENS9_22TransformInputIteratorIb7NonZeroIiEPilEElEEEE10hipError_tPvRmT1_T2_T3_mT4_P12ihipStream_tbEUlT_E1_NS1_11comp_targetILNS1_3genE3ELNS1_11target_archE908ELNS1_3gpuE7ELNS1_3repE0EEENS1_30default_config_static_selectorELNS0_4arch9wavefront6targetE0EEEvSM_,comdat
	.protected	_ZN7rocprim17ROCPRIM_400000_NS6detail17trampoline_kernelINS0_14default_configENS1_22reduce_config_selectorIlEEZNS1_11reduce_implILb1ES3_PlS7_lN6hipcub16HIPCUB_304000_NS6detail34convert_binary_result_type_wrapperINS9_3SumENS9_22TransformInputIteratorIb7NonZeroIiEPilEElEEEE10hipError_tPvRmT1_T2_T3_mT4_P12ihipStream_tbEUlT_E1_NS1_11comp_targetILNS1_3genE3ELNS1_11target_archE908ELNS1_3gpuE7ELNS1_3repE0EEENS1_30default_config_static_selectorELNS0_4arch9wavefront6targetE0EEEvSM_ ; -- Begin function _ZN7rocprim17ROCPRIM_400000_NS6detail17trampoline_kernelINS0_14default_configENS1_22reduce_config_selectorIlEEZNS1_11reduce_implILb1ES3_PlS7_lN6hipcub16HIPCUB_304000_NS6detail34convert_binary_result_type_wrapperINS9_3SumENS9_22TransformInputIteratorIb7NonZeroIiEPilEElEEEE10hipError_tPvRmT1_T2_T3_mT4_P12ihipStream_tbEUlT_E1_NS1_11comp_targetILNS1_3genE3ELNS1_11target_archE908ELNS1_3gpuE7ELNS1_3repE0EEENS1_30default_config_static_selectorELNS0_4arch9wavefront6targetE0EEEvSM_
	.globl	_ZN7rocprim17ROCPRIM_400000_NS6detail17trampoline_kernelINS0_14default_configENS1_22reduce_config_selectorIlEEZNS1_11reduce_implILb1ES3_PlS7_lN6hipcub16HIPCUB_304000_NS6detail34convert_binary_result_type_wrapperINS9_3SumENS9_22TransformInputIteratorIb7NonZeroIiEPilEElEEEE10hipError_tPvRmT1_T2_T3_mT4_P12ihipStream_tbEUlT_E1_NS1_11comp_targetILNS1_3genE3ELNS1_11target_archE908ELNS1_3gpuE7ELNS1_3repE0EEENS1_30default_config_static_selectorELNS0_4arch9wavefront6targetE0EEEvSM_
	.p2align	8
	.type	_ZN7rocprim17ROCPRIM_400000_NS6detail17trampoline_kernelINS0_14default_configENS1_22reduce_config_selectorIlEEZNS1_11reduce_implILb1ES3_PlS7_lN6hipcub16HIPCUB_304000_NS6detail34convert_binary_result_type_wrapperINS9_3SumENS9_22TransformInputIteratorIb7NonZeroIiEPilEElEEEE10hipError_tPvRmT1_T2_T3_mT4_P12ihipStream_tbEUlT_E1_NS1_11comp_targetILNS1_3genE3ELNS1_11target_archE908ELNS1_3gpuE7ELNS1_3repE0EEENS1_30default_config_static_selectorELNS0_4arch9wavefront6targetE0EEEvSM_,@function
_ZN7rocprim17ROCPRIM_400000_NS6detail17trampoline_kernelINS0_14default_configENS1_22reduce_config_selectorIlEEZNS1_11reduce_implILb1ES3_PlS7_lN6hipcub16HIPCUB_304000_NS6detail34convert_binary_result_type_wrapperINS9_3SumENS9_22TransformInputIteratorIb7NonZeroIiEPilEElEEEE10hipError_tPvRmT1_T2_T3_mT4_P12ihipStream_tbEUlT_E1_NS1_11comp_targetILNS1_3genE3ELNS1_11target_archE908ELNS1_3gpuE7ELNS1_3repE0EEENS1_30default_config_static_selectorELNS0_4arch9wavefront6targetE0EEEvSM_: ; @_ZN7rocprim17ROCPRIM_400000_NS6detail17trampoline_kernelINS0_14default_configENS1_22reduce_config_selectorIlEEZNS1_11reduce_implILb1ES3_PlS7_lN6hipcub16HIPCUB_304000_NS6detail34convert_binary_result_type_wrapperINS9_3SumENS9_22TransformInputIteratorIb7NonZeroIiEPilEElEEEE10hipError_tPvRmT1_T2_T3_mT4_P12ihipStream_tbEUlT_E1_NS1_11comp_targetILNS1_3genE3ELNS1_11target_archE908ELNS1_3gpuE7ELNS1_3repE0EEENS1_30default_config_static_selectorELNS0_4arch9wavefront6targetE0EEEvSM_
; %bb.0:
	.section	.rodata,"a",@progbits
	.p2align	6, 0x0
	.amdhsa_kernel _ZN7rocprim17ROCPRIM_400000_NS6detail17trampoline_kernelINS0_14default_configENS1_22reduce_config_selectorIlEEZNS1_11reduce_implILb1ES3_PlS7_lN6hipcub16HIPCUB_304000_NS6detail34convert_binary_result_type_wrapperINS9_3SumENS9_22TransformInputIteratorIb7NonZeroIiEPilEElEEEE10hipError_tPvRmT1_T2_T3_mT4_P12ihipStream_tbEUlT_E1_NS1_11comp_targetILNS1_3genE3ELNS1_11target_archE908ELNS1_3gpuE7ELNS1_3repE0EEENS1_30default_config_static_selectorELNS0_4arch9wavefront6targetE0EEEvSM_
		.amdhsa_group_segment_fixed_size 0
		.amdhsa_private_segment_fixed_size 0
		.amdhsa_kernarg_size 48
		.amdhsa_user_sgpr_count 15
		.amdhsa_user_sgpr_dispatch_ptr 0
		.amdhsa_user_sgpr_queue_ptr 0
		.amdhsa_user_sgpr_kernarg_segment_ptr 1
		.amdhsa_user_sgpr_dispatch_id 0
		.amdhsa_user_sgpr_private_segment_size 0
		.amdhsa_wavefront_size32 1
		.amdhsa_uses_dynamic_stack 0
		.amdhsa_enable_private_segment 0
		.amdhsa_system_sgpr_workgroup_id_x 1
		.amdhsa_system_sgpr_workgroup_id_y 0
		.amdhsa_system_sgpr_workgroup_id_z 0
		.amdhsa_system_sgpr_workgroup_info 0
		.amdhsa_system_vgpr_workitem_id 0
		.amdhsa_next_free_vgpr 1
		.amdhsa_next_free_sgpr 1
		.amdhsa_reserve_vcc 0
		.amdhsa_float_round_mode_32 0
		.amdhsa_float_round_mode_16_64 0
		.amdhsa_float_denorm_mode_32 3
		.amdhsa_float_denorm_mode_16_64 3
		.amdhsa_dx10_clamp 1
		.amdhsa_ieee_mode 1
		.amdhsa_fp16_overflow 0
		.amdhsa_workgroup_processor_mode 1
		.amdhsa_memory_ordered 1
		.amdhsa_forward_progress 0
		.amdhsa_shared_vgpr_count 0
		.amdhsa_exception_fp_ieee_invalid_op 0
		.amdhsa_exception_fp_denorm_src 0
		.amdhsa_exception_fp_ieee_div_zero 0
		.amdhsa_exception_fp_ieee_overflow 0
		.amdhsa_exception_fp_ieee_underflow 0
		.amdhsa_exception_fp_ieee_inexact 0
		.amdhsa_exception_int_div_zero 0
	.end_amdhsa_kernel
	.section	.text._ZN7rocprim17ROCPRIM_400000_NS6detail17trampoline_kernelINS0_14default_configENS1_22reduce_config_selectorIlEEZNS1_11reduce_implILb1ES3_PlS7_lN6hipcub16HIPCUB_304000_NS6detail34convert_binary_result_type_wrapperINS9_3SumENS9_22TransformInputIteratorIb7NonZeroIiEPilEElEEEE10hipError_tPvRmT1_T2_T3_mT4_P12ihipStream_tbEUlT_E1_NS1_11comp_targetILNS1_3genE3ELNS1_11target_archE908ELNS1_3gpuE7ELNS1_3repE0EEENS1_30default_config_static_selectorELNS0_4arch9wavefront6targetE0EEEvSM_,"axG",@progbits,_ZN7rocprim17ROCPRIM_400000_NS6detail17trampoline_kernelINS0_14default_configENS1_22reduce_config_selectorIlEEZNS1_11reduce_implILb1ES3_PlS7_lN6hipcub16HIPCUB_304000_NS6detail34convert_binary_result_type_wrapperINS9_3SumENS9_22TransformInputIteratorIb7NonZeroIiEPilEElEEEE10hipError_tPvRmT1_T2_T3_mT4_P12ihipStream_tbEUlT_E1_NS1_11comp_targetILNS1_3genE3ELNS1_11target_archE908ELNS1_3gpuE7ELNS1_3repE0EEENS1_30default_config_static_selectorELNS0_4arch9wavefront6targetE0EEEvSM_,comdat
.Lfunc_end161:
	.size	_ZN7rocprim17ROCPRIM_400000_NS6detail17trampoline_kernelINS0_14default_configENS1_22reduce_config_selectorIlEEZNS1_11reduce_implILb1ES3_PlS7_lN6hipcub16HIPCUB_304000_NS6detail34convert_binary_result_type_wrapperINS9_3SumENS9_22TransformInputIteratorIb7NonZeroIiEPilEElEEEE10hipError_tPvRmT1_T2_T3_mT4_P12ihipStream_tbEUlT_E1_NS1_11comp_targetILNS1_3genE3ELNS1_11target_archE908ELNS1_3gpuE7ELNS1_3repE0EEENS1_30default_config_static_selectorELNS0_4arch9wavefront6targetE0EEEvSM_, .Lfunc_end161-_ZN7rocprim17ROCPRIM_400000_NS6detail17trampoline_kernelINS0_14default_configENS1_22reduce_config_selectorIlEEZNS1_11reduce_implILb1ES3_PlS7_lN6hipcub16HIPCUB_304000_NS6detail34convert_binary_result_type_wrapperINS9_3SumENS9_22TransformInputIteratorIb7NonZeroIiEPilEElEEEE10hipError_tPvRmT1_T2_T3_mT4_P12ihipStream_tbEUlT_E1_NS1_11comp_targetILNS1_3genE3ELNS1_11target_archE908ELNS1_3gpuE7ELNS1_3repE0EEENS1_30default_config_static_selectorELNS0_4arch9wavefront6targetE0EEEvSM_
                                        ; -- End function
	.section	.AMDGPU.csdata,"",@progbits
; Kernel info:
; codeLenInByte = 0
; NumSgprs: 0
; NumVgprs: 0
; ScratchSize: 0
; MemoryBound: 0
; FloatMode: 240
; IeeeMode: 1
; LDSByteSize: 0 bytes/workgroup (compile time only)
; SGPRBlocks: 0
; VGPRBlocks: 0
; NumSGPRsForWavesPerEU: 1
; NumVGPRsForWavesPerEU: 1
; Occupancy: 16
; WaveLimiterHint : 0
; COMPUTE_PGM_RSRC2:SCRATCH_EN: 0
; COMPUTE_PGM_RSRC2:USER_SGPR: 15
; COMPUTE_PGM_RSRC2:TRAP_HANDLER: 0
; COMPUTE_PGM_RSRC2:TGID_X_EN: 1
; COMPUTE_PGM_RSRC2:TGID_Y_EN: 0
; COMPUTE_PGM_RSRC2:TGID_Z_EN: 0
; COMPUTE_PGM_RSRC2:TIDIG_COMP_CNT: 0
	.section	.text._ZN7rocprim17ROCPRIM_400000_NS6detail17trampoline_kernelINS0_14default_configENS1_22reduce_config_selectorIlEEZNS1_11reduce_implILb1ES3_PlS7_lN6hipcub16HIPCUB_304000_NS6detail34convert_binary_result_type_wrapperINS9_3SumENS9_22TransformInputIteratorIb7NonZeroIiEPilEElEEEE10hipError_tPvRmT1_T2_T3_mT4_P12ihipStream_tbEUlT_E1_NS1_11comp_targetILNS1_3genE2ELNS1_11target_archE906ELNS1_3gpuE6ELNS1_3repE0EEENS1_30default_config_static_selectorELNS0_4arch9wavefront6targetE0EEEvSM_,"axG",@progbits,_ZN7rocprim17ROCPRIM_400000_NS6detail17trampoline_kernelINS0_14default_configENS1_22reduce_config_selectorIlEEZNS1_11reduce_implILb1ES3_PlS7_lN6hipcub16HIPCUB_304000_NS6detail34convert_binary_result_type_wrapperINS9_3SumENS9_22TransformInputIteratorIb7NonZeroIiEPilEElEEEE10hipError_tPvRmT1_T2_T3_mT4_P12ihipStream_tbEUlT_E1_NS1_11comp_targetILNS1_3genE2ELNS1_11target_archE906ELNS1_3gpuE6ELNS1_3repE0EEENS1_30default_config_static_selectorELNS0_4arch9wavefront6targetE0EEEvSM_,comdat
	.protected	_ZN7rocprim17ROCPRIM_400000_NS6detail17trampoline_kernelINS0_14default_configENS1_22reduce_config_selectorIlEEZNS1_11reduce_implILb1ES3_PlS7_lN6hipcub16HIPCUB_304000_NS6detail34convert_binary_result_type_wrapperINS9_3SumENS9_22TransformInputIteratorIb7NonZeroIiEPilEElEEEE10hipError_tPvRmT1_T2_T3_mT4_P12ihipStream_tbEUlT_E1_NS1_11comp_targetILNS1_3genE2ELNS1_11target_archE906ELNS1_3gpuE6ELNS1_3repE0EEENS1_30default_config_static_selectorELNS0_4arch9wavefront6targetE0EEEvSM_ ; -- Begin function _ZN7rocprim17ROCPRIM_400000_NS6detail17trampoline_kernelINS0_14default_configENS1_22reduce_config_selectorIlEEZNS1_11reduce_implILb1ES3_PlS7_lN6hipcub16HIPCUB_304000_NS6detail34convert_binary_result_type_wrapperINS9_3SumENS9_22TransformInputIteratorIb7NonZeroIiEPilEElEEEE10hipError_tPvRmT1_T2_T3_mT4_P12ihipStream_tbEUlT_E1_NS1_11comp_targetILNS1_3genE2ELNS1_11target_archE906ELNS1_3gpuE6ELNS1_3repE0EEENS1_30default_config_static_selectorELNS0_4arch9wavefront6targetE0EEEvSM_
	.globl	_ZN7rocprim17ROCPRIM_400000_NS6detail17trampoline_kernelINS0_14default_configENS1_22reduce_config_selectorIlEEZNS1_11reduce_implILb1ES3_PlS7_lN6hipcub16HIPCUB_304000_NS6detail34convert_binary_result_type_wrapperINS9_3SumENS9_22TransformInputIteratorIb7NonZeroIiEPilEElEEEE10hipError_tPvRmT1_T2_T3_mT4_P12ihipStream_tbEUlT_E1_NS1_11comp_targetILNS1_3genE2ELNS1_11target_archE906ELNS1_3gpuE6ELNS1_3repE0EEENS1_30default_config_static_selectorELNS0_4arch9wavefront6targetE0EEEvSM_
	.p2align	8
	.type	_ZN7rocprim17ROCPRIM_400000_NS6detail17trampoline_kernelINS0_14default_configENS1_22reduce_config_selectorIlEEZNS1_11reduce_implILb1ES3_PlS7_lN6hipcub16HIPCUB_304000_NS6detail34convert_binary_result_type_wrapperINS9_3SumENS9_22TransformInputIteratorIb7NonZeroIiEPilEElEEEE10hipError_tPvRmT1_T2_T3_mT4_P12ihipStream_tbEUlT_E1_NS1_11comp_targetILNS1_3genE2ELNS1_11target_archE906ELNS1_3gpuE6ELNS1_3repE0EEENS1_30default_config_static_selectorELNS0_4arch9wavefront6targetE0EEEvSM_,@function
_ZN7rocprim17ROCPRIM_400000_NS6detail17trampoline_kernelINS0_14default_configENS1_22reduce_config_selectorIlEEZNS1_11reduce_implILb1ES3_PlS7_lN6hipcub16HIPCUB_304000_NS6detail34convert_binary_result_type_wrapperINS9_3SumENS9_22TransformInputIteratorIb7NonZeroIiEPilEElEEEE10hipError_tPvRmT1_T2_T3_mT4_P12ihipStream_tbEUlT_E1_NS1_11comp_targetILNS1_3genE2ELNS1_11target_archE906ELNS1_3gpuE6ELNS1_3repE0EEENS1_30default_config_static_selectorELNS0_4arch9wavefront6targetE0EEEvSM_: ; @_ZN7rocprim17ROCPRIM_400000_NS6detail17trampoline_kernelINS0_14default_configENS1_22reduce_config_selectorIlEEZNS1_11reduce_implILb1ES3_PlS7_lN6hipcub16HIPCUB_304000_NS6detail34convert_binary_result_type_wrapperINS9_3SumENS9_22TransformInputIteratorIb7NonZeroIiEPilEElEEEE10hipError_tPvRmT1_T2_T3_mT4_P12ihipStream_tbEUlT_E1_NS1_11comp_targetILNS1_3genE2ELNS1_11target_archE906ELNS1_3gpuE6ELNS1_3repE0EEENS1_30default_config_static_selectorELNS0_4arch9wavefront6targetE0EEEvSM_
; %bb.0:
	.section	.rodata,"a",@progbits
	.p2align	6, 0x0
	.amdhsa_kernel _ZN7rocprim17ROCPRIM_400000_NS6detail17trampoline_kernelINS0_14default_configENS1_22reduce_config_selectorIlEEZNS1_11reduce_implILb1ES3_PlS7_lN6hipcub16HIPCUB_304000_NS6detail34convert_binary_result_type_wrapperINS9_3SumENS9_22TransformInputIteratorIb7NonZeroIiEPilEElEEEE10hipError_tPvRmT1_T2_T3_mT4_P12ihipStream_tbEUlT_E1_NS1_11comp_targetILNS1_3genE2ELNS1_11target_archE906ELNS1_3gpuE6ELNS1_3repE0EEENS1_30default_config_static_selectorELNS0_4arch9wavefront6targetE0EEEvSM_
		.amdhsa_group_segment_fixed_size 0
		.amdhsa_private_segment_fixed_size 0
		.amdhsa_kernarg_size 48
		.amdhsa_user_sgpr_count 15
		.amdhsa_user_sgpr_dispatch_ptr 0
		.amdhsa_user_sgpr_queue_ptr 0
		.amdhsa_user_sgpr_kernarg_segment_ptr 1
		.amdhsa_user_sgpr_dispatch_id 0
		.amdhsa_user_sgpr_private_segment_size 0
		.amdhsa_wavefront_size32 1
		.amdhsa_uses_dynamic_stack 0
		.amdhsa_enable_private_segment 0
		.amdhsa_system_sgpr_workgroup_id_x 1
		.amdhsa_system_sgpr_workgroup_id_y 0
		.amdhsa_system_sgpr_workgroup_id_z 0
		.amdhsa_system_sgpr_workgroup_info 0
		.amdhsa_system_vgpr_workitem_id 0
		.amdhsa_next_free_vgpr 1
		.amdhsa_next_free_sgpr 1
		.amdhsa_reserve_vcc 0
		.amdhsa_float_round_mode_32 0
		.amdhsa_float_round_mode_16_64 0
		.amdhsa_float_denorm_mode_32 3
		.amdhsa_float_denorm_mode_16_64 3
		.amdhsa_dx10_clamp 1
		.amdhsa_ieee_mode 1
		.amdhsa_fp16_overflow 0
		.amdhsa_workgroup_processor_mode 1
		.amdhsa_memory_ordered 1
		.amdhsa_forward_progress 0
		.amdhsa_shared_vgpr_count 0
		.amdhsa_exception_fp_ieee_invalid_op 0
		.amdhsa_exception_fp_denorm_src 0
		.amdhsa_exception_fp_ieee_div_zero 0
		.amdhsa_exception_fp_ieee_overflow 0
		.amdhsa_exception_fp_ieee_underflow 0
		.amdhsa_exception_fp_ieee_inexact 0
		.amdhsa_exception_int_div_zero 0
	.end_amdhsa_kernel
	.section	.text._ZN7rocprim17ROCPRIM_400000_NS6detail17trampoline_kernelINS0_14default_configENS1_22reduce_config_selectorIlEEZNS1_11reduce_implILb1ES3_PlS7_lN6hipcub16HIPCUB_304000_NS6detail34convert_binary_result_type_wrapperINS9_3SumENS9_22TransformInputIteratorIb7NonZeroIiEPilEElEEEE10hipError_tPvRmT1_T2_T3_mT4_P12ihipStream_tbEUlT_E1_NS1_11comp_targetILNS1_3genE2ELNS1_11target_archE906ELNS1_3gpuE6ELNS1_3repE0EEENS1_30default_config_static_selectorELNS0_4arch9wavefront6targetE0EEEvSM_,"axG",@progbits,_ZN7rocprim17ROCPRIM_400000_NS6detail17trampoline_kernelINS0_14default_configENS1_22reduce_config_selectorIlEEZNS1_11reduce_implILb1ES3_PlS7_lN6hipcub16HIPCUB_304000_NS6detail34convert_binary_result_type_wrapperINS9_3SumENS9_22TransformInputIteratorIb7NonZeroIiEPilEElEEEE10hipError_tPvRmT1_T2_T3_mT4_P12ihipStream_tbEUlT_E1_NS1_11comp_targetILNS1_3genE2ELNS1_11target_archE906ELNS1_3gpuE6ELNS1_3repE0EEENS1_30default_config_static_selectorELNS0_4arch9wavefront6targetE0EEEvSM_,comdat
.Lfunc_end162:
	.size	_ZN7rocprim17ROCPRIM_400000_NS6detail17trampoline_kernelINS0_14default_configENS1_22reduce_config_selectorIlEEZNS1_11reduce_implILb1ES3_PlS7_lN6hipcub16HIPCUB_304000_NS6detail34convert_binary_result_type_wrapperINS9_3SumENS9_22TransformInputIteratorIb7NonZeroIiEPilEElEEEE10hipError_tPvRmT1_T2_T3_mT4_P12ihipStream_tbEUlT_E1_NS1_11comp_targetILNS1_3genE2ELNS1_11target_archE906ELNS1_3gpuE6ELNS1_3repE0EEENS1_30default_config_static_selectorELNS0_4arch9wavefront6targetE0EEEvSM_, .Lfunc_end162-_ZN7rocprim17ROCPRIM_400000_NS6detail17trampoline_kernelINS0_14default_configENS1_22reduce_config_selectorIlEEZNS1_11reduce_implILb1ES3_PlS7_lN6hipcub16HIPCUB_304000_NS6detail34convert_binary_result_type_wrapperINS9_3SumENS9_22TransformInputIteratorIb7NonZeroIiEPilEElEEEE10hipError_tPvRmT1_T2_T3_mT4_P12ihipStream_tbEUlT_E1_NS1_11comp_targetILNS1_3genE2ELNS1_11target_archE906ELNS1_3gpuE6ELNS1_3repE0EEENS1_30default_config_static_selectorELNS0_4arch9wavefront6targetE0EEEvSM_
                                        ; -- End function
	.section	.AMDGPU.csdata,"",@progbits
; Kernel info:
; codeLenInByte = 0
; NumSgprs: 0
; NumVgprs: 0
; ScratchSize: 0
; MemoryBound: 0
; FloatMode: 240
; IeeeMode: 1
; LDSByteSize: 0 bytes/workgroup (compile time only)
; SGPRBlocks: 0
; VGPRBlocks: 0
; NumSGPRsForWavesPerEU: 1
; NumVGPRsForWavesPerEU: 1
; Occupancy: 16
; WaveLimiterHint : 0
; COMPUTE_PGM_RSRC2:SCRATCH_EN: 0
; COMPUTE_PGM_RSRC2:USER_SGPR: 15
; COMPUTE_PGM_RSRC2:TRAP_HANDLER: 0
; COMPUTE_PGM_RSRC2:TGID_X_EN: 1
; COMPUTE_PGM_RSRC2:TGID_Y_EN: 0
; COMPUTE_PGM_RSRC2:TGID_Z_EN: 0
; COMPUTE_PGM_RSRC2:TIDIG_COMP_CNT: 0
	.section	.text._ZN7rocprim17ROCPRIM_400000_NS6detail17trampoline_kernelINS0_14default_configENS1_22reduce_config_selectorIlEEZNS1_11reduce_implILb1ES3_PlS7_lN6hipcub16HIPCUB_304000_NS6detail34convert_binary_result_type_wrapperINS9_3SumENS9_22TransformInputIteratorIb7NonZeroIiEPilEElEEEE10hipError_tPvRmT1_T2_T3_mT4_P12ihipStream_tbEUlT_E1_NS1_11comp_targetILNS1_3genE10ELNS1_11target_archE1201ELNS1_3gpuE5ELNS1_3repE0EEENS1_30default_config_static_selectorELNS0_4arch9wavefront6targetE0EEEvSM_,"axG",@progbits,_ZN7rocprim17ROCPRIM_400000_NS6detail17trampoline_kernelINS0_14default_configENS1_22reduce_config_selectorIlEEZNS1_11reduce_implILb1ES3_PlS7_lN6hipcub16HIPCUB_304000_NS6detail34convert_binary_result_type_wrapperINS9_3SumENS9_22TransformInputIteratorIb7NonZeroIiEPilEElEEEE10hipError_tPvRmT1_T2_T3_mT4_P12ihipStream_tbEUlT_E1_NS1_11comp_targetILNS1_3genE10ELNS1_11target_archE1201ELNS1_3gpuE5ELNS1_3repE0EEENS1_30default_config_static_selectorELNS0_4arch9wavefront6targetE0EEEvSM_,comdat
	.protected	_ZN7rocprim17ROCPRIM_400000_NS6detail17trampoline_kernelINS0_14default_configENS1_22reduce_config_selectorIlEEZNS1_11reduce_implILb1ES3_PlS7_lN6hipcub16HIPCUB_304000_NS6detail34convert_binary_result_type_wrapperINS9_3SumENS9_22TransformInputIteratorIb7NonZeroIiEPilEElEEEE10hipError_tPvRmT1_T2_T3_mT4_P12ihipStream_tbEUlT_E1_NS1_11comp_targetILNS1_3genE10ELNS1_11target_archE1201ELNS1_3gpuE5ELNS1_3repE0EEENS1_30default_config_static_selectorELNS0_4arch9wavefront6targetE0EEEvSM_ ; -- Begin function _ZN7rocprim17ROCPRIM_400000_NS6detail17trampoline_kernelINS0_14default_configENS1_22reduce_config_selectorIlEEZNS1_11reduce_implILb1ES3_PlS7_lN6hipcub16HIPCUB_304000_NS6detail34convert_binary_result_type_wrapperINS9_3SumENS9_22TransformInputIteratorIb7NonZeroIiEPilEElEEEE10hipError_tPvRmT1_T2_T3_mT4_P12ihipStream_tbEUlT_E1_NS1_11comp_targetILNS1_3genE10ELNS1_11target_archE1201ELNS1_3gpuE5ELNS1_3repE0EEENS1_30default_config_static_selectorELNS0_4arch9wavefront6targetE0EEEvSM_
	.globl	_ZN7rocprim17ROCPRIM_400000_NS6detail17trampoline_kernelINS0_14default_configENS1_22reduce_config_selectorIlEEZNS1_11reduce_implILb1ES3_PlS7_lN6hipcub16HIPCUB_304000_NS6detail34convert_binary_result_type_wrapperINS9_3SumENS9_22TransformInputIteratorIb7NonZeroIiEPilEElEEEE10hipError_tPvRmT1_T2_T3_mT4_P12ihipStream_tbEUlT_E1_NS1_11comp_targetILNS1_3genE10ELNS1_11target_archE1201ELNS1_3gpuE5ELNS1_3repE0EEENS1_30default_config_static_selectorELNS0_4arch9wavefront6targetE0EEEvSM_
	.p2align	8
	.type	_ZN7rocprim17ROCPRIM_400000_NS6detail17trampoline_kernelINS0_14default_configENS1_22reduce_config_selectorIlEEZNS1_11reduce_implILb1ES3_PlS7_lN6hipcub16HIPCUB_304000_NS6detail34convert_binary_result_type_wrapperINS9_3SumENS9_22TransformInputIteratorIb7NonZeroIiEPilEElEEEE10hipError_tPvRmT1_T2_T3_mT4_P12ihipStream_tbEUlT_E1_NS1_11comp_targetILNS1_3genE10ELNS1_11target_archE1201ELNS1_3gpuE5ELNS1_3repE0EEENS1_30default_config_static_selectorELNS0_4arch9wavefront6targetE0EEEvSM_,@function
_ZN7rocprim17ROCPRIM_400000_NS6detail17trampoline_kernelINS0_14default_configENS1_22reduce_config_selectorIlEEZNS1_11reduce_implILb1ES3_PlS7_lN6hipcub16HIPCUB_304000_NS6detail34convert_binary_result_type_wrapperINS9_3SumENS9_22TransformInputIteratorIb7NonZeroIiEPilEElEEEE10hipError_tPvRmT1_T2_T3_mT4_P12ihipStream_tbEUlT_E1_NS1_11comp_targetILNS1_3genE10ELNS1_11target_archE1201ELNS1_3gpuE5ELNS1_3repE0EEENS1_30default_config_static_selectorELNS0_4arch9wavefront6targetE0EEEvSM_: ; @_ZN7rocprim17ROCPRIM_400000_NS6detail17trampoline_kernelINS0_14default_configENS1_22reduce_config_selectorIlEEZNS1_11reduce_implILb1ES3_PlS7_lN6hipcub16HIPCUB_304000_NS6detail34convert_binary_result_type_wrapperINS9_3SumENS9_22TransformInputIteratorIb7NonZeroIiEPilEElEEEE10hipError_tPvRmT1_T2_T3_mT4_P12ihipStream_tbEUlT_E1_NS1_11comp_targetILNS1_3genE10ELNS1_11target_archE1201ELNS1_3gpuE5ELNS1_3repE0EEENS1_30default_config_static_selectorELNS0_4arch9wavefront6targetE0EEEvSM_
; %bb.0:
	.section	.rodata,"a",@progbits
	.p2align	6, 0x0
	.amdhsa_kernel _ZN7rocprim17ROCPRIM_400000_NS6detail17trampoline_kernelINS0_14default_configENS1_22reduce_config_selectorIlEEZNS1_11reduce_implILb1ES3_PlS7_lN6hipcub16HIPCUB_304000_NS6detail34convert_binary_result_type_wrapperINS9_3SumENS9_22TransformInputIteratorIb7NonZeroIiEPilEElEEEE10hipError_tPvRmT1_T2_T3_mT4_P12ihipStream_tbEUlT_E1_NS1_11comp_targetILNS1_3genE10ELNS1_11target_archE1201ELNS1_3gpuE5ELNS1_3repE0EEENS1_30default_config_static_selectorELNS0_4arch9wavefront6targetE0EEEvSM_
		.amdhsa_group_segment_fixed_size 0
		.amdhsa_private_segment_fixed_size 0
		.amdhsa_kernarg_size 48
		.amdhsa_user_sgpr_count 15
		.amdhsa_user_sgpr_dispatch_ptr 0
		.amdhsa_user_sgpr_queue_ptr 0
		.amdhsa_user_sgpr_kernarg_segment_ptr 1
		.amdhsa_user_sgpr_dispatch_id 0
		.amdhsa_user_sgpr_private_segment_size 0
		.amdhsa_wavefront_size32 1
		.amdhsa_uses_dynamic_stack 0
		.amdhsa_enable_private_segment 0
		.amdhsa_system_sgpr_workgroup_id_x 1
		.amdhsa_system_sgpr_workgroup_id_y 0
		.amdhsa_system_sgpr_workgroup_id_z 0
		.amdhsa_system_sgpr_workgroup_info 0
		.amdhsa_system_vgpr_workitem_id 0
		.amdhsa_next_free_vgpr 1
		.amdhsa_next_free_sgpr 1
		.amdhsa_reserve_vcc 0
		.amdhsa_float_round_mode_32 0
		.amdhsa_float_round_mode_16_64 0
		.amdhsa_float_denorm_mode_32 3
		.amdhsa_float_denorm_mode_16_64 3
		.amdhsa_dx10_clamp 1
		.amdhsa_ieee_mode 1
		.amdhsa_fp16_overflow 0
		.amdhsa_workgroup_processor_mode 1
		.amdhsa_memory_ordered 1
		.amdhsa_forward_progress 0
		.amdhsa_shared_vgpr_count 0
		.amdhsa_exception_fp_ieee_invalid_op 0
		.amdhsa_exception_fp_denorm_src 0
		.amdhsa_exception_fp_ieee_div_zero 0
		.amdhsa_exception_fp_ieee_overflow 0
		.amdhsa_exception_fp_ieee_underflow 0
		.amdhsa_exception_fp_ieee_inexact 0
		.amdhsa_exception_int_div_zero 0
	.end_amdhsa_kernel
	.section	.text._ZN7rocprim17ROCPRIM_400000_NS6detail17trampoline_kernelINS0_14default_configENS1_22reduce_config_selectorIlEEZNS1_11reduce_implILb1ES3_PlS7_lN6hipcub16HIPCUB_304000_NS6detail34convert_binary_result_type_wrapperINS9_3SumENS9_22TransformInputIteratorIb7NonZeroIiEPilEElEEEE10hipError_tPvRmT1_T2_T3_mT4_P12ihipStream_tbEUlT_E1_NS1_11comp_targetILNS1_3genE10ELNS1_11target_archE1201ELNS1_3gpuE5ELNS1_3repE0EEENS1_30default_config_static_selectorELNS0_4arch9wavefront6targetE0EEEvSM_,"axG",@progbits,_ZN7rocprim17ROCPRIM_400000_NS6detail17trampoline_kernelINS0_14default_configENS1_22reduce_config_selectorIlEEZNS1_11reduce_implILb1ES3_PlS7_lN6hipcub16HIPCUB_304000_NS6detail34convert_binary_result_type_wrapperINS9_3SumENS9_22TransformInputIteratorIb7NonZeroIiEPilEElEEEE10hipError_tPvRmT1_T2_T3_mT4_P12ihipStream_tbEUlT_E1_NS1_11comp_targetILNS1_3genE10ELNS1_11target_archE1201ELNS1_3gpuE5ELNS1_3repE0EEENS1_30default_config_static_selectorELNS0_4arch9wavefront6targetE0EEEvSM_,comdat
.Lfunc_end163:
	.size	_ZN7rocprim17ROCPRIM_400000_NS6detail17trampoline_kernelINS0_14default_configENS1_22reduce_config_selectorIlEEZNS1_11reduce_implILb1ES3_PlS7_lN6hipcub16HIPCUB_304000_NS6detail34convert_binary_result_type_wrapperINS9_3SumENS9_22TransformInputIteratorIb7NonZeroIiEPilEElEEEE10hipError_tPvRmT1_T2_T3_mT4_P12ihipStream_tbEUlT_E1_NS1_11comp_targetILNS1_3genE10ELNS1_11target_archE1201ELNS1_3gpuE5ELNS1_3repE0EEENS1_30default_config_static_selectorELNS0_4arch9wavefront6targetE0EEEvSM_, .Lfunc_end163-_ZN7rocprim17ROCPRIM_400000_NS6detail17trampoline_kernelINS0_14default_configENS1_22reduce_config_selectorIlEEZNS1_11reduce_implILb1ES3_PlS7_lN6hipcub16HIPCUB_304000_NS6detail34convert_binary_result_type_wrapperINS9_3SumENS9_22TransformInputIteratorIb7NonZeroIiEPilEElEEEE10hipError_tPvRmT1_T2_T3_mT4_P12ihipStream_tbEUlT_E1_NS1_11comp_targetILNS1_3genE10ELNS1_11target_archE1201ELNS1_3gpuE5ELNS1_3repE0EEENS1_30default_config_static_selectorELNS0_4arch9wavefront6targetE0EEEvSM_
                                        ; -- End function
	.section	.AMDGPU.csdata,"",@progbits
; Kernel info:
; codeLenInByte = 0
; NumSgprs: 0
; NumVgprs: 0
; ScratchSize: 0
; MemoryBound: 0
; FloatMode: 240
; IeeeMode: 1
; LDSByteSize: 0 bytes/workgroup (compile time only)
; SGPRBlocks: 0
; VGPRBlocks: 0
; NumSGPRsForWavesPerEU: 1
; NumVGPRsForWavesPerEU: 1
; Occupancy: 16
; WaveLimiterHint : 0
; COMPUTE_PGM_RSRC2:SCRATCH_EN: 0
; COMPUTE_PGM_RSRC2:USER_SGPR: 15
; COMPUTE_PGM_RSRC2:TRAP_HANDLER: 0
; COMPUTE_PGM_RSRC2:TGID_X_EN: 1
; COMPUTE_PGM_RSRC2:TGID_Y_EN: 0
; COMPUTE_PGM_RSRC2:TGID_Z_EN: 0
; COMPUTE_PGM_RSRC2:TIDIG_COMP_CNT: 0
	.section	.text._ZN7rocprim17ROCPRIM_400000_NS6detail17trampoline_kernelINS0_14default_configENS1_22reduce_config_selectorIlEEZNS1_11reduce_implILb1ES3_PlS7_lN6hipcub16HIPCUB_304000_NS6detail34convert_binary_result_type_wrapperINS9_3SumENS9_22TransformInputIteratorIb7NonZeroIiEPilEElEEEE10hipError_tPvRmT1_T2_T3_mT4_P12ihipStream_tbEUlT_E1_NS1_11comp_targetILNS1_3genE10ELNS1_11target_archE1200ELNS1_3gpuE4ELNS1_3repE0EEENS1_30default_config_static_selectorELNS0_4arch9wavefront6targetE0EEEvSM_,"axG",@progbits,_ZN7rocprim17ROCPRIM_400000_NS6detail17trampoline_kernelINS0_14default_configENS1_22reduce_config_selectorIlEEZNS1_11reduce_implILb1ES3_PlS7_lN6hipcub16HIPCUB_304000_NS6detail34convert_binary_result_type_wrapperINS9_3SumENS9_22TransformInputIteratorIb7NonZeroIiEPilEElEEEE10hipError_tPvRmT1_T2_T3_mT4_P12ihipStream_tbEUlT_E1_NS1_11comp_targetILNS1_3genE10ELNS1_11target_archE1200ELNS1_3gpuE4ELNS1_3repE0EEENS1_30default_config_static_selectorELNS0_4arch9wavefront6targetE0EEEvSM_,comdat
	.protected	_ZN7rocprim17ROCPRIM_400000_NS6detail17trampoline_kernelINS0_14default_configENS1_22reduce_config_selectorIlEEZNS1_11reduce_implILb1ES3_PlS7_lN6hipcub16HIPCUB_304000_NS6detail34convert_binary_result_type_wrapperINS9_3SumENS9_22TransformInputIteratorIb7NonZeroIiEPilEElEEEE10hipError_tPvRmT1_T2_T3_mT4_P12ihipStream_tbEUlT_E1_NS1_11comp_targetILNS1_3genE10ELNS1_11target_archE1200ELNS1_3gpuE4ELNS1_3repE0EEENS1_30default_config_static_selectorELNS0_4arch9wavefront6targetE0EEEvSM_ ; -- Begin function _ZN7rocprim17ROCPRIM_400000_NS6detail17trampoline_kernelINS0_14default_configENS1_22reduce_config_selectorIlEEZNS1_11reduce_implILb1ES3_PlS7_lN6hipcub16HIPCUB_304000_NS6detail34convert_binary_result_type_wrapperINS9_3SumENS9_22TransformInputIteratorIb7NonZeroIiEPilEElEEEE10hipError_tPvRmT1_T2_T3_mT4_P12ihipStream_tbEUlT_E1_NS1_11comp_targetILNS1_3genE10ELNS1_11target_archE1200ELNS1_3gpuE4ELNS1_3repE0EEENS1_30default_config_static_selectorELNS0_4arch9wavefront6targetE0EEEvSM_
	.globl	_ZN7rocprim17ROCPRIM_400000_NS6detail17trampoline_kernelINS0_14default_configENS1_22reduce_config_selectorIlEEZNS1_11reduce_implILb1ES3_PlS7_lN6hipcub16HIPCUB_304000_NS6detail34convert_binary_result_type_wrapperINS9_3SumENS9_22TransformInputIteratorIb7NonZeroIiEPilEElEEEE10hipError_tPvRmT1_T2_T3_mT4_P12ihipStream_tbEUlT_E1_NS1_11comp_targetILNS1_3genE10ELNS1_11target_archE1200ELNS1_3gpuE4ELNS1_3repE0EEENS1_30default_config_static_selectorELNS0_4arch9wavefront6targetE0EEEvSM_
	.p2align	8
	.type	_ZN7rocprim17ROCPRIM_400000_NS6detail17trampoline_kernelINS0_14default_configENS1_22reduce_config_selectorIlEEZNS1_11reduce_implILb1ES3_PlS7_lN6hipcub16HIPCUB_304000_NS6detail34convert_binary_result_type_wrapperINS9_3SumENS9_22TransformInputIteratorIb7NonZeroIiEPilEElEEEE10hipError_tPvRmT1_T2_T3_mT4_P12ihipStream_tbEUlT_E1_NS1_11comp_targetILNS1_3genE10ELNS1_11target_archE1200ELNS1_3gpuE4ELNS1_3repE0EEENS1_30default_config_static_selectorELNS0_4arch9wavefront6targetE0EEEvSM_,@function
_ZN7rocprim17ROCPRIM_400000_NS6detail17trampoline_kernelINS0_14default_configENS1_22reduce_config_selectorIlEEZNS1_11reduce_implILb1ES3_PlS7_lN6hipcub16HIPCUB_304000_NS6detail34convert_binary_result_type_wrapperINS9_3SumENS9_22TransformInputIteratorIb7NonZeroIiEPilEElEEEE10hipError_tPvRmT1_T2_T3_mT4_P12ihipStream_tbEUlT_E1_NS1_11comp_targetILNS1_3genE10ELNS1_11target_archE1200ELNS1_3gpuE4ELNS1_3repE0EEENS1_30default_config_static_selectorELNS0_4arch9wavefront6targetE0EEEvSM_: ; @_ZN7rocprim17ROCPRIM_400000_NS6detail17trampoline_kernelINS0_14default_configENS1_22reduce_config_selectorIlEEZNS1_11reduce_implILb1ES3_PlS7_lN6hipcub16HIPCUB_304000_NS6detail34convert_binary_result_type_wrapperINS9_3SumENS9_22TransformInputIteratorIb7NonZeroIiEPilEElEEEE10hipError_tPvRmT1_T2_T3_mT4_P12ihipStream_tbEUlT_E1_NS1_11comp_targetILNS1_3genE10ELNS1_11target_archE1200ELNS1_3gpuE4ELNS1_3repE0EEENS1_30default_config_static_selectorELNS0_4arch9wavefront6targetE0EEEvSM_
; %bb.0:
	.section	.rodata,"a",@progbits
	.p2align	6, 0x0
	.amdhsa_kernel _ZN7rocprim17ROCPRIM_400000_NS6detail17trampoline_kernelINS0_14default_configENS1_22reduce_config_selectorIlEEZNS1_11reduce_implILb1ES3_PlS7_lN6hipcub16HIPCUB_304000_NS6detail34convert_binary_result_type_wrapperINS9_3SumENS9_22TransformInputIteratorIb7NonZeroIiEPilEElEEEE10hipError_tPvRmT1_T2_T3_mT4_P12ihipStream_tbEUlT_E1_NS1_11comp_targetILNS1_3genE10ELNS1_11target_archE1200ELNS1_3gpuE4ELNS1_3repE0EEENS1_30default_config_static_selectorELNS0_4arch9wavefront6targetE0EEEvSM_
		.amdhsa_group_segment_fixed_size 0
		.amdhsa_private_segment_fixed_size 0
		.amdhsa_kernarg_size 48
		.amdhsa_user_sgpr_count 15
		.amdhsa_user_sgpr_dispatch_ptr 0
		.amdhsa_user_sgpr_queue_ptr 0
		.amdhsa_user_sgpr_kernarg_segment_ptr 1
		.amdhsa_user_sgpr_dispatch_id 0
		.amdhsa_user_sgpr_private_segment_size 0
		.amdhsa_wavefront_size32 1
		.amdhsa_uses_dynamic_stack 0
		.amdhsa_enable_private_segment 0
		.amdhsa_system_sgpr_workgroup_id_x 1
		.amdhsa_system_sgpr_workgroup_id_y 0
		.amdhsa_system_sgpr_workgroup_id_z 0
		.amdhsa_system_sgpr_workgroup_info 0
		.amdhsa_system_vgpr_workitem_id 0
		.amdhsa_next_free_vgpr 1
		.amdhsa_next_free_sgpr 1
		.amdhsa_reserve_vcc 0
		.amdhsa_float_round_mode_32 0
		.amdhsa_float_round_mode_16_64 0
		.amdhsa_float_denorm_mode_32 3
		.amdhsa_float_denorm_mode_16_64 3
		.amdhsa_dx10_clamp 1
		.amdhsa_ieee_mode 1
		.amdhsa_fp16_overflow 0
		.amdhsa_workgroup_processor_mode 1
		.amdhsa_memory_ordered 1
		.amdhsa_forward_progress 0
		.amdhsa_shared_vgpr_count 0
		.amdhsa_exception_fp_ieee_invalid_op 0
		.amdhsa_exception_fp_denorm_src 0
		.amdhsa_exception_fp_ieee_div_zero 0
		.amdhsa_exception_fp_ieee_overflow 0
		.amdhsa_exception_fp_ieee_underflow 0
		.amdhsa_exception_fp_ieee_inexact 0
		.amdhsa_exception_int_div_zero 0
	.end_amdhsa_kernel
	.section	.text._ZN7rocprim17ROCPRIM_400000_NS6detail17trampoline_kernelINS0_14default_configENS1_22reduce_config_selectorIlEEZNS1_11reduce_implILb1ES3_PlS7_lN6hipcub16HIPCUB_304000_NS6detail34convert_binary_result_type_wrapperINS9_3SumENS9_22TransformInputIteratorIb7NonZeroIiEPilEElEEEE10hipError_tPvRmT1_T2_T3_mT4_P12ihipStream_tbEUlT_E1_NS1_11comp_targetILNS1_3genE10ELNS1_11target_archE1200ELNS1_3gpuE4ELNS1_3repE0EEENS1_30default_config_static_selectorELNS0_4arch9wavefront6targetE0EEEvSM_,"axG",@progbits,_ZN7rocprim17ROCPRIM_400000_NS6detail17trampoline_kernelINS0_14default_configENS1_22reduce_config_selectorIlEEZNS1_11reduce_implILb1ES3_PlS7_lN6hipcub16HIPCUB_304000_NS6detail34convert_binary_result_type_wrapperINS9_3SumENS9_22TransformInputIteratorIb7NonZeroIiEPilEElEEEE10hipError_tPvRmT1_T2_T3_mT4_P12ihipStream_tbEUlT_E1_NS1_11comp_targetILNS1_3genE10ELNS1_11target_archE1200ELNS1_3gpuE4ELNS1_3repE0EEENS1_30default_config_static_selectorELNS0_4arch9wavefront6targetE0EEEvSM_,comdat
.Lfunc_end164:
	.size	_ZN7rocprim17ROCPRIM_400000_NS6detail17trampoline_kernelINS0_14default_configENS1_22reduce_config_selectorIlEEZNS1_11reduce_implILb1ES3_PlS7_lN6hipcub16HIPCUB_304000_NS6detail34convert_binary_result_type_wrapperINS9_3SumENS9_22TransformInputIteratorIb7NonZeroIiEPilEElEEEE10hipError_tPvRmT1_T2_T3_mT4_P12ihipStream_tbEUlT_E1_NS1_11comp_targetILNS1_3genE10ELNS1_11target_archE1200ELNS1_3gpuE4ELNS1_3repE0EEENS1_30default_config_static_selectorELNS0_4arch9wavefront6targetE0EEEvSM_, .Lfunc_end164-_ZN7rocprim17ROCPRIM_400000_NS6detail17trampoline_kernelINS0_14default_configENS1_22reduce_config_selectorIlEEZNS1_11reduce_implILb1ES3_PlS7_lN6hipcub16HIPCUB_304000_NS6detail34convert_binary_result_type_wrapperINS9_3SumENS9_22TransformInputIteratorIb7NonZeroIiEPilEElEEEE10hipError_tPvRmT1_T2_T3_mT4_P12ihipStream_tbEUlT_E1_NS1_11comp_targetILNS1_3genE10ELNS1_11target_archE1200ELNS1_3gpuE4ELNS1_3repE0EEENS1_30default_config_static_selectorELNS0_4arch9wavefront6targetE0EEEvSM_
                                        ; -- End function
	.section	.AMDGPU.csdata,"",@progbits
; Kernel info:
; codeLenInByte = 0
; NumSgprs: 0
; NumVgprs: 0
; ScratchSize: 0
; MemoryBound: 0
; FloatMode: 240
; IeeeMode: 1
; LDSByteSize: 0 bytes/workgroup (compile time only)
; SGPRBlocks: 0
; VGPRBlocks: 0
; NumSGPRsForWavesPerEU: 1
; NumVGPRsForWavesPerEU: 1
; Occupancy: 16
; WaveLimiterHint : 0
; COMPUTE_PGM_RSRC2:SCRATCH_EN: 0
; COMPUTE_PGM_RSRC2:USER_SGPR: 15
; COMPUTE_PGM_RSRC2:TRAP_HANDLER: 0
; COMPUTE_PGM_RSRC2:TGID_X_EN: 1
; COMPUTE_PGM_RSRC2:TGID_Y_EN: 0
; COMPUTE_PGM_RSRC2:TGID_Z_EN: 0
; COMPUTE_PGM_RSRC2:TIDIG_COMP_CNT: 0
	.section	.text._ZN7rocprim17ROCPRIM_400000_NS6detail17trampoline_kernelINS0_14default_configENS1_22reduce_config_selectorIlEEZNS1_11reduce_implILb1ES3_PlS7_lN6hipcub16HIPCUB_304000_NS6detail34convert_binary_result_type_wrapperINS9_3SumENS9_22TransformInputIteratorIb7NonZeroIiEPilEElEEEE10hipError_tPvRmT1_T2_T3_mT4_P12ihipStream_tbEUlT_E1_NS1_11comp_targetILNS1_3genE9ELNS1_11target_archE1100ELNS1_3gpuE3ELNS1_3repE0EEENS1_30default_config_static_selectorELNS0_4arch9wavefront6targetE0EEEvSM_,"axG",@progbits,_ZN7rocprim17ROCPRIM_400000_NS6detail17trampoline_kernelINS0_14default_configENS1_22reduce_config_selectorIlEEZNS1_11reduce_implILb1ES3_PlS7_lN6hipcub16HIPCUB_304000_NS6detail34convert_binary_result_type_wrapperINS9_3SumENS9_22TransformInputIteratorIb7NonZeroIiEPilEElEEEE10hipError_tPvRmT1_T2_T3_mT4_P12ihipStream_tbEUlT_E1_NS1_11comp_targetILNS1_3genE9ELNS1_11target_archE1100ELNS1_3gpuE3ELNS1_3repE0EEENS1_30default_config_static_selectorELNS0_4arch9wavefront6targetE0EEEvSM_,comdat
	.protected	_ZN7rocprim17ROCPRIM_400000_NS6detail17trampoline_kernelINS0_14default_configENS1_22reduce_config_selectorIlEEZNS1_11reduce_implILb1ES3_PlS7_lN6hipcub16HIPCUB_304000_NS6detail34convert_binary_result_type_wrapperINS9_3SumENS9_22TransformInputIteratorIb7NonZeroIiEPilEElEEEE10hipError_tPvRmT1_T2_T3_mT4_P12ihipStream_tbEUlT_E1_NS1_11comp_targetILNS1_3genE9ELNS1_11target_archE1100ELNS1_3gpuE3ELNS1_3repE0EEENS1_30default_config_static_selectorELNS0_4arch9wavefront6targetE0EEEvSM_ ; -- Begin function _ZN7rocprim17ROCPRIM_400000_NS6detail17trampoline_kernelINS0_14default_configENS1_22reduce_config_selectorIlEEZNS1_11reduce_implILb1ES3_PlS7_lN6hipcub16HIPCUB_304000_NS6detail34convert_binary_result_type_wrapperINS9_3SumENS9_22TransformInputIteratorIb7NonZeroIiEPilEElEEEE10hipError_tPvRmT1_T2_T3_mT4_P12ihipStream_tbEUlT_E1_NS1_11comp_targetILNS1_3genE9ELNS1_11target_archE1100ELNS1_3gpuE3ELNS1_3repE0EEENS1_30default_config_static_selectorELNS0_4arch9wavefront6targetE0EEEvSM_
	.globl	_ZN7rocprim17ROCPRIM_400000_NS6detail17trampoline_kernelINS0_14default_configENS1_22reduce_config_selectorIlEEZNS1_11reduce_implILb1ES3_PlS7_lN6hipcub16HIPCUB_304000_NS6detail34convert_binary_result_type_wrapperINS9_3SumENS9_22TransformInputIteratorIb7NonZeroIiEPilEElEEEE10hipError_tPvRmT1_T2_T3_mT4_P12ihipStream_tbEUlT_E1_NS1_11comp_targetILNS1_3genE9ELNS1_11target_archE1100ELNS1_3gpuE3ELNS1_3repE0EEENS1_30default_config_static_selectorELNS0_4arch9wavefront6targetE0EEEvSM_
	.p2align	8
	.type	_ZN7rocprim17ROCPRIM_400000_NS6detail17trampoline_kernelINS0_14default_configENS1_22reduce_config_selectorIlEEZNS1_11reduce_implILb1ES3_PlS7_lN6hipcub16HIPCUB_304000_NS6detail34convert_binary_result_type_wrapperINS9_3SumENS9_22TransformInputIteratorIb7NonZeroIiEPilEElEEEE10hipError_tPvRmT1_T2_T3_mT4_P12ihipStream_tbEUlT_E1_NS1_11comp_targetILNS1_3genE9ELNS1_11target_archE1100ELNS1_3gpuE3ELNS1_3repE0EEENS1_30default_config_static_selectorELNS0_4arch9wavefront6targetE0EEEvSM_,@function
_ZN7rocprim17ROCPRIM_400000_NS6detail17trampoline_kernelINS0_14default_configENS1_22reduce_config_selectorIlEEZNS1_11reduce_implILb1ES3_PlS7_lN6hipcub16HIPCUB_304000_NS6detail34convert_binary_result_type_wrapperINS9_3SumENS9_22TransformInputIteratorIb7NonZeroIiEPilEElEEEE10hipError_tPvRmT1_T2_T3_mT4_P12ihipStream_tbEUlT_E1_NS1_11comp_targetILNS1_3genE9ELNS1_11target_archE1100ELNS1_3gpuE3ELNS1_3repE0EEENS1_30default_config_static_selectorELNS0_4arch9wavefront6targetE0EEEvSM_: ; @_ZN7rocprim17ROCPRIM_400000_NS6detail17trampoline_kernelINS0_14default_configENS1_22reduce_config_selectorIlEEZNS1_11reduce_implILb1ES3_PlS7_lN6hipcub16HIPCUB_304000_NS6detail34convert_binary_result_type_wrapperINS9_3SumENS9_22TransformInputIteratorIb7NonZeroIiEPilEElEEEE10hipError_tPvRmT1_T2_T3_mT4_P12ihipStream_tbEUlT_E1_NS1_11comp_targetILNS1_3genE9ELNS1_11target_archE1100ELNS1_3gpuE3ELNS1_3repE0EEENS1_30default_config_static_selectorELNS0_4arch9wavefront6targetE0EEEvSM_
; %bb.0:
	s_clause 0x1
	s_load_b32 s26, s[0:1], 0x4
	s_load_b256 s[16:23], s[0:1], 0x8
	s_mov_b32 s14, s15
	s_waitcnt lgkmcnt(0)
	s_cmp_lt_i32 s26, 4
	s_cbranch_scc1 .LBB165_11
; %bb.1:
	s_cmp_gt_i32 s26, 7
	s_cbranch_scc0 .LBB165_12
; %bb.2:
	s_cmp_gt_i32 s26, 15
	s_cbranch_scc0 .LBB165_13
; %bb.3:
	s_mov_b32 s27, 0
	s_cmp_eq_u32 s26, 16
	s_mov_b32 s0, 0
                                        ; implicit-def: $vgpr1_vgpr2
	s_cbranch_scc0 .LBB165_14
; %bb.4:
	s_mov_b32 s15, 0
	s_lshl_b32 s0, s14, 12
	s_mov_b32 s1, s15
	s_lshr_b64 s[4:5], s[18:19], 12
	s_lshl_b64 s[2:3], s[0:1], 3
	s_delay_alu instid0(SALU_CYCLE_1)
	s_add_u32 s24, s16, s2
	s_addc_u32 s25, s17, s3
	s_cmp_lg_u64 s[4:5], s[14:15]
	s_cbranch_scc0 .LBB165_22
; %bb.5:
	v_lshlrev_b32_e32 v3, 3, v0
	s_delay_alu instid0(VALU_DEP_1) | instskip(NEXT) | instid1(VALU_DEP_1)
	v_add_co_u32 v29, s1, s24, v3
	v_add_co_ci_u32_e64 v30, null, s25, 0, s1
	s_clause 0x1
	global_load_b64 v[1:2], v3, s[24:25]
	global_load_b64 v[3:4], v3, s[24:25] offset:2048
	v_add_co_u32 v5, vcc_lo, v29, 0x2000
	v_add_co_ci_u32_e32 v6, vcc_lo, 0, v30, vcc_lo
	v_add_co_u32 v7, vcc_lo, 0x1000, v29
	v_add_co_ci_u32_e32 v8, vcc_lo, 0, v30, vcc_lo
	v_add_co_u32 v11, vcc_lo, 0x2000, v29
	s_clause 0x1
	global_load_b64 v[9:10], v[5:6], off offset:-4096
	global_load_b64 v[7:8], v[7:8], off offset:2048
	v_add_co_ci_u32_e32 v12, vcc_lo, 0, v30, vcc_lo
	global_load_b64 v[5:6], v[5:6], off
	v_add_co_u32 v13, vcc_lo, v29, 0x4000
	global_load_b64 v[11:12], v[11:12], off offset:2048
	v_add_co_ci_u32_e32 v14, vcc_lo, 0, v30, vcc_lo
	v_add_co_u32 v15, vcc_lo, 0x3000, v29
	v_add_co_ci_u32_e32 v16, vcc_lo, 0, v30, vcc_lo
	s_clause 0x1
	global_load_b64 v[17:18], v[13:14], off offset:-4096
	global_load_b64 v[15:16], v[15:16], off offset:2048
	v_add_co_u32 v19, vcc_lo, 0x4000, v29
	v_add_co_ci_u32_e32 v20, vcc_lo, 0, v30, vcc_lo
	global_load_b64 v[13:14], v[13:14], off
	v_add_co_u32 v21, vcc_lo, v29, 0x6000
	global_load_b64 v[19:20], v[19:20], off offset:2048
	v_add_co_ci_u32_e32 v22, vcc_lo, 0, v30, vcc_lo
	v_add_co_u32 v23, vcc_lo, 0x5000, v29
	v_add_co_ci_u32_e32 v24, vcc_lo, 0, v30, vcc_lo
	s_clause 0x1
	global_load_b64 v[25:26], v[21:22], off offset:-4096
	global_load_b64 v[23:24], v[23:24], off offset:2048
	v_add_co_u32 v27, vcc_lo, 0x6000, v29
	v_add_co_ci_u32_e32 v28, vcc_lo, 0, v30, vcc_lo
	global_load_b64 v[21:22], v[21:22], off
	v_add_co_u32 v29, vcc_lo, 0x7000, v29
	v_add_co_ci_u32_e32 v30, vcc_lo, 0, v30, vcc_lo
	s_clause 0x2
	global_load_b64 v[27:28], v[27:28], off offset:2048
	global_load_b64 v[31:32], v[29:30], off
	global_load_b64 v[29:30], v[29:30], off offset:2048
	s_mov_b32 s1, exec_lo
	s_waitcnt vmcnt(14)
	v_add_co_u32 v1, vcc_lo, v3, v1
	v_add_co_ci_u32_e32 v2, vcc_lo, v4, v2, vcc_lo
	s_waitcnt vmcnt(13)
	s_delay_alu instid0(VALU_DEP_2) | instskip(NEXT) | instid1(VALU_DEP_2)
	v_add_co_u32 v1, vcc_lo, v1, v9
	v_add_co_ci_u32_e32 v2, vcc_lo, v2, v10, vcc_lo
	s_waitcnt vmcnt(12)
	s_delay_alu instid0(VALU_DEP_2) | instskip(NEXT) | instid1(VALU_DEP_2)
	v_add_co_u32 v1, vcc_lo, v1, v7
	v_add_co_ci_u32_e32 v2, vcc_lo, v2, v8, vcc_lo
	s_waitcnt vmcnt(11)
	s_delay_alu instid0(VALU_DEP_2) | instskip(NEXT) | instid1(VALU_DEP_2)
	v_add_co_u32 v1, vcc_lo, v1, v5
	v_add_co_ci_u32_e32 v2, vcc_lo, v2, v6, vcc_lo
	s_waitcnt vmcnt(10)
	s_delay_alu instid0(VALU_DEP_2) | instskip(NEXT) | instid1(VALU_DEP_2)
	v_add_co_u32 v1, vcc_lo, v1, v11
	v_add_co_ci_u32_e32 v2, vcc_lo, v2, v12, vcc_lo
	s_waitcnt vmcnt(9)
	s_delay_alu instid0(VALU_DEP_2) | instskip(NEXT) | instid1(VALU_DEP_2)
	v_add_co_u32 v1, vcc_lo, v1, v17
	v_add_co_ci_u32_e32 v2, vcc_lo, v2, v18, vcc_lo
	s_waitcnt vmcnt(8)
	s_delay_alu instid0(VALU_DEP_2) | instskip(NEXT) | instid1(VALU_DEP_2)
	v_add_co_u32 v1, vcc_lo, v1, v15
	v_add_co_ci_u32_e32 v2, vcc_lo, v2, v16, vcc_lo
	s_waitcnt vmcnt(7)
	s_delay_alu instid0(VALU_DEP_2) | instskip(NEXT) | instid1(VALU_DEP_2)
	v_add_co_u32 v1, vcc_lo, v1, v13
	v_add_co_ci_u32_e32 v2, vcc_lo, v2, v14, vcc_lo
	s_waitcnt vmcnt(6)
	s_delay_alu instid0(VALU_DEP_2) | instskip(NEXT) | instid1(VALU_DEP_2)
	v_add_co_u32 v1, vcc_lo, v1, v19
	v_add_co_ci_u32_e32 v2, vcc_lo, v2, v20, vcc_lo
	s_waitcnt vmcnt(5)
	s_delay_alu instid0(VALU_DEP_2) | instskip(NEXT) | instid1(VALU_DEP_2)
	v_add_co_u32 v1, vcc_lo, v1, v25
	v_add_co_ci_u32_e32 v2, vcc_lo, v2, v26, vcc_lo
	s_waitcnt vmcnt(4)
	s_delay_alu instid0(VALU_DEP_2) | instskip(NEXT) | instid1(VALU_DEP_2)
	v_add_co_u32 v1, vcc_lo, v1, v23
	v_add_co_ci_u32_e32 v2, vcc_lo, v2, v24, vcc_lo
	s_waitcnt vmcnt(3)
	s_delay_alu instid0(VALU_DEP_2) | instskip(NEXT) | instid1(VALU_DEP_2)
	v_add_co_u32 v1, vcc_lo, v1, v21
	v_add_co_ci_u32_e32 v2, vcc_lo, v2, v22, vcc_lo
	s_waitcnt vmcnt(2)
	s_delay_alu instid0(VALU_DEP_2) | instskip(NEXT) | instid1(VALU_DEP_2)
	v_add_co_u32 v1, vcc_lo, v1, v27
	v_add_co_ci_u32_e32 v2, vcc_lo, v2, v28, vcc_lo
	s_waitcnt vmcnt(1)
	s_delay_alu instid0(VALU_DEP_2) | instskip(NEXT) | instid1(VALU_DEP_2)
	v_add_co_u32 v1, vcc_lo, v1, v31
	v_add_co_ci_u32_e32 v2, vcc_lo, v2, v32, vcc_lo
	s_waitcnt vmcnt(0)
	s_delay_alu instid0(VALU_DEP_2) | instskip(NEXT) | instid1(VALU_DEP_2)
	v_add_co_u32 v1, vcc_lo, v1, v29
	v_add_co_ci_u32_e32 v2, vcc_lo, v2, v30, vcc_lo
	s_delay_alu instid0(VALU_DEP_2) | instskip(NEXT) | instid1(VALU_DEP_1)
	v_mov_b32_dpp v3, v1 quad_perm:[1,0,3,2] row_mask:0xf bank_mask:0xf
	v_add_co_u32 v1, vcc_lo, v1, v3
	s_delay_alu instid0(VALU_DEP_3) | instskip(SKIP_1) | instid1(VALU_DEP_3)
	v_mov_b32_dpp v3, v2 quad_perm:[1,0,3,2] row_mask:0xf bank_mask:0xf
	v_add_co_ci_u32_e32 v2, vcc_lo, 0, v2, vcc_lo
	v_mov_b32_dpp v4, v1 quad_perm:[2,3,0,1] row_mask:0xf bank_mask:0xf
	v_add_co_u32 v1, vcc_lo, 0, v1
	s_delay_alu instid0(VALU_DEP_3) | instskip(NEXT) | instid1(VALU_DEP_2)
	v_add_co_ci_u32_e32 v2, vcc_lo, v3, v2, vcc_lo
	v_add_co_u32 v1, vcc_lo, v1, v4
	s_delay_alu instid0(VALU_DEP_2) | instskip(SKIP_1) | instid1(VALU_DEP_3)
	v_mov_b32_dpp v3, v2 quad_perm:[2,3,0,1] row_mask:0xf bank_mask:0xf
	v_add_co_ci_u32_e32 v2, vcc_lo, 0, v2, vcc_lo
	v_mov_b32_dpp v4, v1 row_ror:4 row_mask:0xf bank_mask:0xf
	v_add_co_u32 v1, vcc_lo, v1, 0
	s_delay_alu instid0(VALU_DEP_3) | instskip(NEXT) | instid1(VALU_DEP_2)
	v_add_co_ci_u32_e32 v2, vcc_lo, v2, v3, vcc_lo
	v_add_co_u32 v1, vcc_lo, v1, v4
	s_delay_alu instid0(VALU_DEP_2) | instskip(SKIP_1) | instid1(VALU_DEP_3)
	v_mov_b32_dpp v3, v2 row_ror:4 row_mask:0xf bank_mask:0xf
	v_add_co_ci_u32_e32 v2, vcc_lo, 0, v2, vcc_lo
	v_mov_b32_dpp v4, v1 row_ror:8 row_mask:0xf bank_mask:0xf
	v_add_co_u32 v1, vcc_lo, v1, 0
	s_delay_alu instid0(VALU_DEP_3) | instskip(NEXT) | instid1(VALU_DEP_2)
	v_add_co_ci_u32_e32 v2, vcc_lo, v2, v3, vcc_lo
	v_add_co_u32 v1, vcc_lo, v1, v4
	s_delay_alu instid0(VALU_DEP_2)
	v_mov_b32_dpp v3, v2 row_ror:8 row_mask:0xf bank_mask:0xf
	v_add_co_ci_u32_e32 v2, vcc_lo, 0, v2, vcc_lo
	ds_swizzle_b32 v4, v1 offset:swizzle(BROADCAST,32,15)
	v_add_co_u32 v1, vcc_lo, v1, 0
	v_add_co_ci_u32_e32 v2, vcc_lo, v2, v3, vcc_lo
	ds_swizzle_b32 v3, v2 offset:swizzle(BROADCAST,32,15)
	s_waitcnt lgkmcnt(1)
	v_add_co_u32 v1, vcc_lo, v1, v4
	v_add_co_ci_u32_e32 v2, vcc_lo, 0, v2, vcc_lo
	v_mov_b32_e32 v4, 0
	s_waitcnt lgkmcnt(0)
	s_delay_alu instid0(VALU_DEP_2)
	v_add_nc_u32_e32 v2, v3, v2
	ds_bpermute_b32 v1, v4, v1 offset:124
	v_mbcnt_lo_u32_b32 v3, -1, 0
	ds_bpermute_b32 v2, v4, v2 offset:124
	v_cmpx_eq_u32_e32 0, v3
	s_cbranch_execz .LBB165_7
; %bb.6:
	v_lshrrev_b32_e32 v4, 2, v0
	s_delay_alu instid0(VALU_DEP_1)
	v_and_b32_e32 v4, 56, v4
	s_waitcnt lgkmcnt(0)
	ds_store_b64 v4, v[1:2]
.LBB165_7:
	s_or_b32 exec_lo, exec_lo, s1
	s_delay_alu instid0(SALU_CYCLE_1)
	s_mov_b32 s1, exec_lo
	s_waitcnt lgkmcnt(0)
	s_barrier
	buffer_gl0_inv
	v_cmpx_gt_u32_e32 32, v0
	s_cbranch_execz .LBB165_9
; %bb.8:
	v_and_b32_e32 v4, 7, v3
	s_delay_alu instid0(VALU_DEP_1) | instskip(SKIP_4) | instid1(VALU_DEP_2)
	v_lshlrev_b32_e32 v1, 3, v4
	v_cmp_ne_u32_e32 vcc_lo, 7, v4
	ds_load_b64 v[1:2], v1
	v_add_co_ci_u32_e32 v5, vcc_lo, 0, v3, vcc_lo
	v_cmp_gt_u32_e32 vcc_lo, 6, v4
	v_lshlrev_b32_e32 v5, 2, v5
	v_cndmask_b32_e64 v7, 0, 1, vcc_lo
	s_delay_alu instid0(VALU_DEP_1) | instskip(NEXT) | instid1(VALU_DEP_1)
	v_lshlrev_b32_e32 v7, 1, v7
	v_add_lshl_u32 v7, v7, v3, 2
	s_waitcnt lgkmcnt(0)
	ds_bpermute_b32 v6, v5, v1
	ds_bpermute_b32 v5, v5, v2
	s_waitcnt lgkmcnt(1)
	v_add_co_u32 v1, vcc_lo, v1, v6
	v_add_co_ci_u32_e32 v2, vcc_lo, 0, v2, vcc_lo
	ds_bpermute_b32 v6, v7, v1
	v_add_co_u32 v1, vcc_lo, 0, v1
	s_waitcnt lgkmcnt(1)
	v_add_co_ci_u32_e32 v2, vcc_lo, v5, v2, vcc_lo
	v_cmp_gt_u32_e32 vcc_lo, 4, v4
	ds_bpermute_b32 v5, v7, v2
	v_cndmask_b32_e64 v4, 0, 1, vcc_lo
	s_delay_alu instid0(VALU_DEP_1) | instskip(NEXT) | instid1(VALU_DEP_1)
	v_lshlrev_b32_e32 v4, 2, v4
	v_add_lshl_u32 v3, v4, v3, 2
	s_waitcnt lgkmcnt(1)
	v_add_co_u32 v1, vcc_lo, v1, v6
	v_add_co_ci_u32_e32 v2, vcc_lo, 0, v2, vcc_lo
	ds_bpermute_b32 v4, v3, v1
	v_add_co_u32 v1, vcc_lo, v1, 0
	s_waitcnt lgkmcnt(1)
	v_add_co_ci_u32_e32 v2, vcc_lo, v2, v5, vcc_lo
	ds_bpermute_b32 v3, v3, v2
	s_waitcnt lgkmcnt(1)
	v_add_co_u32 v1, vcc_lo, v1, v4
	v_add_co_ci_u32_e32 v2, vcc_lo, 0, v2, vcc_lo
	s_delay_alu instid0(VALU_DEP_2) | instskip(SKIP_1) | instid1(VALU_DEP_2)
	v_add_co_u32 v1, vcc_lo, v1, 0
	s_waitcnt lgkmcnt(0)
	v_add_co_ci_u32_e32 v2, vcc_lo, v2, v3, vcc_lo
.LBB165_9:
	s_or_b32 exec_lo, exec_lo, s1
.LBB165_10:
	v_cmp_eq_u32_e64 s0, 0, v0
	s_and_b32 vcc_lo, exec_lo, s27
	s_cbranch_vccnz .LBB165_15
	s_branch .LBB165_116
.LBB165_11:
	s_mov_b32 s0, 0
                                        ; implicit-def: $vgpr1_vgpr2
	s_cbranch_execnz .LBB165_156
	s_branch .LBB165_201
.LBB165_12:
	s_mov_b32 s0, 0
                                        ; implicit-def: $vgpr1_vgpr2
	s_cbranch_execnz .LBB165_117
	s_branch .LBB165_155
.LBB165_13:
	s_mov_b32 s27, -1
	s_mov_b32 s0, 0
                                        ; implicit-def: $vgpr1_vgpr2
.LBB165_14:
	s_and_b32 vcc_lo, exec_lo, s27
	s_cbranch_vccz .LBB165_116
.LBB165_15:
	s_cmp_eq_u32 s26, 8
                                        ; implicit-def: $vgpr1_vgpr2
	s_cbranch_scc0 .LBB165_116
; %bb.16:
	s_mov_b32 s15, 0
	s_lshl_b32 s0, s14, 11
	s_mov_b32 s1, s15
	s_lshr_b64 s[4:5], s[18:19], 11
	s_lshl_b64 s[2:3], s[0:1], 3
	s_delay_alu instid0(SALU_CYCLE_1)
	s_add_u32 s6, s16, s2
	s_addc_u32 s7, s17, s3
	s_cmp_lg_u64 s[4:5], s[14:15]
	s_cbranch_scc0 .LBB165_76
; %bb.17:
	s_waitcnt lgkmcnt(0)
	v_lshlrev_b32_e32 v3, 3, v0
	s_delay_alu instid0(VALU_DEP_1) | instskip(NEXT) | instid1(VALU_DEP_1)
	v_add_co_u32 v13, s1, s6, v3
	v_add_co_ci_u32_e64 v14, null, s7, 0, s1
	s_clause 0x1
	global_load_b64 v[1:2], v3, s[6:7]
	global_load_b64 v[3:4], v3, s[6:7] offset:2048
	v_add_co_u32 v5, vcc_lo, v13, 0x2000
	v_add_co_ci_u32_e32 v6, vcc_lo, 0, v14, vcc_lo
	v_add_co_u32 v7, vcc_lo, 0x1000, v13
	v_add_co_ci_u32_e32 v8, vcc_lo, 0, v14, vcc_lo
	v_add_co_u32 v11, vcc_lo, 0x2000, v13
	s_clause 0x1
	global_load_b64 v[9:10], v[5:6], off offset:-4096
	global_load_b64 v[7:8], v[7:8], off offset:2048
	v_add_co_ci_u32_e32 v12, vcc_lo, 0, v14, vcc_lo
	global_load_b64 v[5:6], v[5:6], off
	v_add_co_u32 v13, vcc_lo, 0x3000, v13
	v_add_co_ci_u32_e32 v14, vcc_lo, 0, v14, vcc_lo
	s_clause 0x2
	global_load_b64 v[11:12], v[11:12], off offset:2048
	global_load_b64 v[15:16], v[13:14], off
	global_load_b64 v[13:14], v[13:14], off offset:2048
	s_mov_b32 s1, exec_lo
	s_waitcnt vmcnt(6)
	v_add_co_u32 v1, vcc_lo, v3, v1
	v_add_co_ci_u32_e32 v2, vcc_lo, v4, v2, vcc_lo
	s_waitcnt vmcnt(5)
	s_delay_alu instid0(VALU_DEP_2) | instskip(NEXT) | instid1(VALU_DEP_2)
	v_add_co_u32 v1, vcc_lo, v1, v9
	v_add_co_ci_u32_e32 v2, vcc_lo, v2, v10, vcc_lo
	s_waitcnt vmcnt(4)
	s_delay_alu instid0(VALU_DEP_2) | instskip(NEXT) | instid1(VALU_DEP_2)
	;; [unrolled: 4-line block ×6, first 2 shown]
	v_add_co_u32 v1, vcc_lo, v1, v13
	v_add_co_ci_u32_e32 v2, vcc_lo, v2, v14, vcc_lo
	s_delay_alu instid0(VALU_DEP_2) | instskip(NEXT) | instid1(VALU_DEP_1)
	v_mov_b32_dpp v3, v1 quad_perm:[1,0,3,2] row_mask:0xf bank_mask:0xf
	v_add_co_u32 v1, vcc_lo, v1, v3
	s_delay_alu instid0(VALU_DEP_3) | instskip(SKIP_1) | instid1(VALU_DEP_3)
	v_mov_b32_dpp v3, v2 quad_perm:[1,0,3,2] row_mask:0xf bank_mask:0xf
	v_add_co_ci_u32_e32 v2, vcc_lo, 0, v2, vcc_lo
	v_mov_b32_dpp v4, v1 quad_perm:[2,3,0,1] row_mask:0xf bank_mask:0xf
	v_add_co_u32 v1, vcc_lo, 0, v1
	s_delay_alu instid0(VALU_DEP_3) | instskip(NEXT) | instid1(VALU_DEP_2)
	v_add_co_ci_u32_e32 v2, vcc_lo, v3, v2, vcc_lo
	v_add_co_u32 v1, vcc_lo, v1, v4
	s_delay_alu instid0(VALU_DEP_2) | instskip(SKIP_1) | instid1(VALU_DEP_3)
	v_mov_b32_dpp v3, v2 quad_perm:[2,3,0,1] row_mask:0xf bank_mask:0xf
	v_add_co_ci_u32_e32 v2, vcc_lo, 0, v2, vcc_lo
	v_mov_b32_dpp v4, v1 row_ror:4 row_mask:0xf bank_mask:0xf
	v_add_co_u32 v1, vcc_lo, v1, 0
	s_delay_alu instid0(VALU_DEP_3) | instskip(NEXT) | instid1(VALU_DEP_2)
	v_add_co_ci_u32_e32 v2, vcc_lo, v2, v3, vcc_lo
	v_add_co_u32 v1, vcc_lo, v1, v4
	s_delay_alu instid0(VALU_DEP_2) | instskip(SKIP_1) | instid1(VALU_DEP_3)
	v_mov_b32_dpp v3, v2 row_ror:4 row_mask:0xf bank_mask:0xf
	v_add_co_ci_u32_e32 v2, vcc_lo, 0, v2, vcc_lo
	v_mov_b32_dpp v4, v1 row_ror:8 row_mask:0xf bank_mask:0xf
	v_add_co_u32 v1, vcc_lo, v1, 0
	s_delay_alu instid0(VALU_DEP_3) | instskip(NEXT) | instid1(VALU_DEP_2)
	v_add_co_ci_u32_e32 v2, vcc_lo, v2, v3, vcc_lo
	v_add_co_u32 v1, vcc_lo, v1, v4
	s_delay_alu instid0(VALU_DEP_2)
	v_mov_b32_dpp v3, v2 row_ror:8 row_mask:0xf bank_mask:0xf
	v_add_co_ci_u32_e32 v2, vcc_lo, 0, v2, vcc_lo
	ds_swizzle_b32 v4, v1 offset:swizzle(BROADCAST,32,15)
	v_add_co_u32 v1, vcc_lo, v1, 0
	v_add_co_ci_u32_e32 v2, vcc_lo, v2, v3, vcc_lo
	ds_swizzle_b32 v3, v2 offset:swizzle(BROADCAST,32,15)
	s_waitcnt lgkmcnt(1)
	v_add_co_u32 v1, vcc_lo, v1, v4
	v_mov_b32_e32 v4, 0
	v_add_co_ci_u32_e32 v2, vcc_lo, 0, v2, vcc_lo
	ds_bpermute_b32 v1, v4, v1 offset:124
	s_waitcnt lgkmcnt(1)
	v_add_nc_u32_e32 v2, v3, v2
	v_mbcnt_lo_u32_b32 v3, -1, 0
	ds_bpermute_b32 v2, v4, v2 offset:124
	v_cmpx_eq_u32_e32 0, v3
	s_cbranch_execz .LBB165_19
; %bb.18:
	v_lshrrev_b32_e32 v4, 2, v0
	s_delay_alu instid0(VALU_DEP_1)
	v_and_b32_e32 v4, 56, v4
	s_waitcnt lgkmcnt(0)
	ds_store_b64 v4, v[1:2] offset:256
.LBB165_19:
	s_or_b32 exec_lo, exec_lo, s1
	s_delay_alu instid0(SALU_CYCLE_1)
	s_mov_b32 s1, exec_lo
	s_waitcnt lgkmcnt(0)
	s_barrier
	buffer_gl0_inv
	v_cmpx_gt_u32_e32 32, v0
	s_cbranch_execz .LBB165_21
; %bb.20:
	v_and_b32_e32 v4, 7, v3
	s_delay_alu instid0(VALU_DEP_1) | instskip(SKIP_4) | instid1(VALU_DEP_2)
	v_lshlrev_b32_e32 v1, 3, v4
	v_cmp_ne_u32_e32 vcc_lo, 7, v4
	ds_load_b64 v[1:2], v1 offset:256
	v_add_co_ci_u32_e32 v5, vcc_lo, 0, v3, vcc_lo
	v_cmp_gt_u32_e32 vcc_lo, 6, v4
	v_lshlrev_b32_e32 v5, 2, v5
	v_cndmask_b32_e64 v7, 0, 1, vcc_lo
	s_delay_alu instid0(VALU_DEP_1) | instskip(NEXT) | instid1(VALU_DEP_1)
	v_lshlrev_b32_e32 v7, 1, v7
	v_add_lshl_u32 v7, v7, v3, 2
	s_waitcnt lgkmcnt(0)
	ds_bpermute_b32 v6, v5, v1
	ds_bpermute_b32 v5, v5, v2
	s_waitcnt lgkmcnt(1)
	v_add_co_u32 v1, vcc_lo, v1, v6
	v_add_co_ci_u32_e32 v2, vcc_lo, 0, v2, vcc_lo
	ds_bpermute_b32 v6, v7, v1
	v_add_co_u32 v1, vcc_lo, 0, v1
	s_waitcnt lgkmcnt(1)
	v_add_co_ci_u32_e32 v2, vcc_lo, v5, v2, vcc_lo
	v_cmp_gt_u32_e32 vcc_lo, 4, v4
	ds_bpermute_b32 v5, v7, v2
	v_cndmask_b32_e64 v4, 0, 1, vcc_lo
	s_delay_alu instid0(VALU_DEP_1) | instskip(NEXT) | instid1(VALU_DEP_1)
	v_lshlrev_b32_e32 v4, 2, v4
	v_add_lshl_u32 v3, v4, v3, 2
	s_waitcnt lgkmcnt(1)
	v_add_co_u32 v1, vcc_lo, v1, v6
	v_add_co_ci_u32_e32 v2, vcc_lo, 0, v2, vcc_lo
	ds_bpermute_b32 v4, v3, v1
	v_add_co_u32 v1, vcc_lo, v1, 0
	s_waitcnt lgkmcnt(1)
	v_add_co_ci_u32_e32 v2, vcc_lo, v2, v5, vcc_lo
	ds_bpermute_b32 v3, v3, v2
	s_waitcnt lgkmcnt(1)
	v_add_co_u32 v1, vcc_lo, v1, v4
	v_add_co_ci_u32_e32 v2, vcc_lo, 0, v2, vcc_lo
	s_delay_alu instid0(VALU_DEP_2) | instskip(SKIP_1) | instid1(VALU_DEP_2)
	v_add_co_u32 v1, vcc_lo, v1, 0
	s_waitcnt lgkmcnt(0)
	v_add_co_ci_u32_e32 v2, vcc_lo, v2, v3, vcc_lo
.LBB165_21:
	s_or_b32 exec_lo, exec_lo, s1
	s_mov_b32 s1, 0
	s_branch .LBB165_77
.LBB165_22:
                                        ; implicit-def: $vgpr1_vgpr2
	s_cbranch_execz .LBB165_10
; %bb.23:
	s_sub_i32 s28, s18, s0
	s_mov_b32 s0, exec_lo
                                        ; implicit-def: $vgpr1_vgpr2_vgpr3_vgpr4_vgpr5_vgpr6_vgpr7_vgpr8_vgpr9_vgpr10_vgpr11_vgpr12_vgpr13_vgpr14_vgpr15_vgpr16_vgpr17_vgpr18_vgpr19_vgpr20_vgpr21_vgpr22_vgpr23_vgpr24_vgpr25_vgpr26_vgpr27_vgpr28_vgpr29_vgpr30_vgpr31_vgpr32
	v_cmpx_gt_u32_e64 s28, v0
	s_cbranch_execz .LBB165_25
; %bb.24:
	v_lshlrev_b32_e32 v1, 3, v0
	global_load_b64 v[1:2], v1, s[24:25]
.LBB165_25:
	s_or_b32 exec_lo, exec_lo, s0
	v_or_b32_e32 v33, 0x100, v0
	s_delay_alu instid0(VALU_DEP_1)
	v_cmp_gt_u32_e32 vcc_lo, s28, v33
	s_and_saveexec_b32 s0, vcc_lo
	s_cbranch_execz .LBB165_27
; %bb.26:
	v_lshlrev_b32_e32 v3, 3, v0
	global_load_b64 v[3:4], v3, s[24:25] offset:2048
.LBB165_27:
	s_or_b32 exec_lo, exec_lo, s0
	v_or_b32_e32 v33, 0x200, v0
	s_delay_alu instid0(VALU_DEP_1) | instskip(NEXT) | instid1(VALU_DEP_1)
	v_cmp_gt_u32_e64 s0, s28, v33
	s_and_saveexec_b32 s1, s0
	s_cbranch_execz .LBB165_29
; %bb.28:
	v_lshlrev_b32_e32 v5, 3, v33
	global_load_b64 v[5:6], v5, s[24:25]
.LBB165_29:
	s_or_b32 exec_lo, exec_lo, s1
	v_or_b32_e32 v33, 0x300, v0
	s_delay_alu instid0(VALU_DEP_1) | instskip(NEXT) | instid1(VALU_DEP_1)
	v_cmp_gt_u32_e64 s1, s28, v33
	s_and_saveexec_b32 s2, s1
	s_cbranch_execz .LBB165_31
; %bb.30:
	v_lshlrev_b32_e32 v7, 3, v33
	global_load_b64 v[7:8], v7, s[24:25]
.LBB165_31:
	;; [unrolled: 10-line block ×14, first 2 shown]
	s_or_b32 exec_lo, exec_lo, s29
	s_waitcnt vmcnt(0)
	v_dual_cndmask_b32 v3, 0, v3 :: v_dual_cndmask_b32 v4, 0, v4
	v_cndmask_b32_e64 v5, 0, v5, s0
	v_cndmask_b32_e64 v6, 0, v6, s0
	s_min_u32 s0, s28, 0x100
	s_delay_alu instid0(VALU_DEP_3) | instskip(SKIP_2) | instid1(VALU_DEP_3)
	v_add_co_u32 v1, vcc_lo, v3, v1
	v_add_co_ci_u32_e32 v2, vcc_lo, v4, v2, vcc_lo
	v_cndmask_b32_e64 v3, 0, v7, s1
	v_add_co_u32 v1, vcc_lo, v1, v5
	s_delay_alu instid0(VALU_DEP_3) | instskip(SKIP_2) | instid1(VALU_DEP_4)
	v_add_co_ci_u32_e32 v2, vcc_lo, v2, v6, vcc_lo
	v_cndmask_b32_e64 v4, 0, v8, s1
	v_cndmask_b32_e64 v5, 0, v9, s2
	v_add_co_u32 v1, vcc_lo, v1, v3
	v_cndmask_b32_e64 v3, 0, v10, s2
	s_delay_alu instid0(VALU_DEP_4) | instskip(SKIP_1) | instid1(VALU_DEP_4)
	v_add_co_ci_u32_e32 v2, vcc_lo, v2, v4, vcc_lo
	v_cndmask_b32_e64 v4, 0, v11, s3
	v_add_co_u32 v1, vcc_lo, v1, v5
	s_delay_alu instid0(VALU_DEP_3) | instskip(SKIP_2) | instid1(VALU_DEP_4)
	v_add_co_ci_u32_e32 v2, vcc_lo, v2, v3, vcc_lo
	v_cndmask_b32_e64 v3, 0, v12, s3
	v_cndmask_b32_e64 v5, 0, v13, s4
	v_add_co_u32 v1, vcc_lo, v1, v4
	v_cndmask_b32_e64 v4, 0, v15, s5
	s_delay_alu instid0(VALU_DEP_4) | instskip(SKIP_1) | instid1(VALU_DEP_4)
	v_add_co_ci_u32_e32 v2, vcc_lo, v2, v3, vcc_lo
	v_cndmask_b32_e64 v3, 0, v14, s4
	v_add_co_u32 v1, vcc_lo, v1, v5
	v_cndmask_b32_e64 v5, 0, v17, s6
	v_cndmask_b32_e64 v6, 0, v31, s13
	s_delay_alu instid0(VALU_DEP_4) | instskip(SKIP_3) | instid1(VALU_DEP_3)
	v_add_co_ci_u32_e32 v2, vcc_lo, v2, v3, vcc_lo
	v_cndmask_b32_e64 v3, 0, v16, s5
	v_add_co_u32 v1, vcc_lo, v1, v4
	v_cndmask_b32_e64 v4, 0, v19, s7
	v_add_co_ci_u32_e32 v2, vcc_lo, v2, v3, vcc_lo
	v_cndmask_b32_e64 v3, 0, v18, s6
	s_delay_alu instid0(VALU_DEP_4) | instskip(SKIP_1) | instid1(VALU_DEP_3)
	v_add_co_u32 v1, vcc_lo, v1, v5
	v_cndmask_b32_e64 v5, 0, v21, s8
	v_add_co_ci_u32_e32 v2, vcc_lo, v2, v3, vcc_lo
	v_cndmask_b32_e64 v3, 0, v20, s7
	s_delay_alu instid0(VALU_DEP_4) | instskip(SKIP_1) | instid1(VALU_DEP_3)
	;; [unrolled: 5-line block ×5, first 2 shown]
	v_add_co_u32 v1, vcc_lo, v1, v5
	v_cndmask_b32_e64 v5, 0, v28, s11
	v_add_co_ci_u32_e32 v2, vcc_lo, v2, v3, vcc_lo
	v_mbcnt_lo_u32_b32 v3, -1, 0
	s_delay_alu instid0(VALU_DEP_4) | instskip(NEXT) | instid1(VALU_DEP_3)
	v_add_co_u32 v1, vcc_lo, v1, v4
	v_add_co_ci_u32_e32 v2, vcc_lo, v2, v5, vcc_lo
	s_delay_alu instid0(VALU_DEP_3) | instskip(SKIP_3) | instid1(VALU_DEP_3)
	v_cmp_ne_u32_e32 vcc_lo, 31, v3
	v_cndmask_b32_e64 v5, 0, v29, s12
	v_cndmask_b32_e64 v4, 0, v30, s12
	v_add_co_ci_u32_e32 v7, vcc_lo, 0, v3, vcc_lo
	v_add_co_u32 v1, vcc_lo, v1, v5
	s_delay_alu instid0(VALU_DEP_3) | instskip(SKIP_1) | instid1(VALU_DEP_3)
	v_add_co_ci_u32_e32 v2, vcc_lo, v2, v4, vcc_lo
	v_cndmask_b32_e64 v4, 0, v32, s13
	v_add_co_u32 v1, vcc_lo, v1, v6
	v_lshlrev_b32_e32 v5, 2, v7
	s_delay_alu instid0(VALU_DEP_3)
	v_add_co_ci_u32_e32 v2, vcc_lo, v2, v4, vcc_lo
	v_and_b32_e32 v4, 0xe0, v0
	ds_bpermute_b32 v7, v5, v1
	ds_bpermute_b32 v6, v5, v2
	v_add_nc_u32_e32 v5, 1, v3
	v_sub_nc_u32_e64 v4, s0, v4 clamp
	s_delay_alu instid0(VALU_DEP_1)
	v_cmp_lt_u32_e32 vcc_lo, v5, v4
	v_mov_b32_e32 v5, v1
	s_and_saveexec_b32 s1, vcc_lo
	s_cbranch_execz .LBB165_57
; %bb.56:
	s_waitcnt lgkmcnt(1)
	v_add_co_u32 v5, vcc_lo, v1, v7
	v_add_co_ci_u32_e32 v2, vcc_lo, 0, v2, vcc_lo
	s_delay_alu instid0(VALU_DEP_2) | instskip(SKIP_1) | instid1(VALU_DEP_2)
	v_add_co_u32 v1, vcc_lo, v5, 0
	s_waitcnt lgkmcnt(0)
	v_add_co_ci_u32_e32 v2, vcc_lo, v2, v6, vcc_lo
.LBB165_57:
	s_or_b32 exec_lo, exec_lo, s1
	v_cmp_gt_u32_e32 vcc_lo, 30, v3
	v_add_nc_u32_e32 v8, 2, v3
	s_mov_b32 s1, exec_lo
	s_waitcnt lgkmcnt(0)
	v_cndmask_b32_e64 v6, 0, 1, vcc_lo
	s_delay_alu instid0(VALU_DEP_1) | instskip(NEXT) | instid1(VALU_DEP_1)
	v_lshlrev_b32_e32 v6, 1, v6
	v_add_lshl_u32 v6, v6, v3, 2
	ds_bpermute_b32 v7, v6, v5
	ds_bpermute_b32 v6, v6, v2
	v_cmpx_lt_u32_e64 v8, v4
	s_cbranch_execz .LBB165_59
; %bb.58:
	s_waitcnt lgkmcnt(1)
	v_add_co_u32 v5, vcc_lo, v1, v7
	v_add_co_ci_u32_e32 v2, vcc_lo, 0, v2, vcc_lo
	s_delay_alu instid0(VALU_DEP_2) | instskip(SKIP_1) | instid1(VALU_DEP_2)
	v_add_co_u32 v1, vcc_lo, 0, v5
	s_waitcnt lgkmcnt(0)
	v_add_co_ci_u32_e32 v2, vcc_lo, v6, v2, vcc_lo
.LBB165_59:
	s_or_b32 exec_lo, exec_lo, s1
	v_cmp_gt_u32_e32 vcc_lo, 28, v3
	v_add_nc_u32_e32 v8, 4, v3
	s_mov_b32 s1, exec_lo
	s_waitcnt lgkmcnt(0)
	v_cndmask_b32_e64 v6, 0, 1, vcc_lo
	s_delay_alu instid0(VALU_DEP_1) | instskip(NEXT) | instid1(VALU_DEP_1)
	v_lshlrev_b32_e32 v6, 2, v6
	v_add_lshl_u32 v6, v6, v3, 2
	ds_bpermute_b32 v7, v6, v5
	ds_bpermute_b32 v6, v6, v2
	v_cmpx_lt_u32_e64 v8, v4
	;; [unrolled: 22-line block ×3, first 2 shown]
	s_cbranch_execz .LBB165_63
; %bb.62:
	s_waitcnt lgkmcnt(1)
	v_add_co_u32 v5, vcc_lo, v1, v7
	v_add_co_ci_u32_e32 v2, vcc_lo, 0, v2, vcc_lo
	s_delay_alu instid0(VALU_DEP_2) | instskip(SKIP_1) | instid1(VALU_DEP_2)
	v_add_co_u32 v1, vcc_lo, 0, v5
	s_waitcnt lgkmcnt(0)
	v_add_co_ci_u32_e32 v2, vcc_lo, v6, v2, vcc_lo
.LBB165_63:
	s_or_b32 exec_lo, exec_lo, s1
	v_cmp_gt_u32_e32 vcc_lo, 16, v3
	s_mov_b32 s1, exec_lo
	s_waitcnt lgkmcnt(0)
	v_cndmask_b32_e64 v6, 0, 1, vcc_lo
	s_delay_alu instid0(VALU_DEP_1) | instskip(NEXT) | instid1(VALU_DEP_1)
	v_lshlrev_b32_e32 v6, 4, v6
	v_add_lshl_u32 v7, v6, v3, 2
	ds_bpermute_b32 v6, v7, v5
	ds_bpermute_b32 v5, v7, v2
	v_add_nc_u32_e32 v7, 16, v3
	s_delay_alu instid0(VALU_DEP_1)
	v_cmpx_lt_u32_e64 v7, v4
	s_cbranch_execz .LBB165_65
; %bb.64:
	s_waitcnt lgkmcnt(1)
	v_add_co_u32 v1, vcc_lo, v1, v6
	v_add_co_ci_u32_e32 v2, vcc_lo, 0, v2, vcc_lo
	s_delay_alu instid0(VALU_DEP_2) | instskip(SKIP_1) | instid1(VALU_DEP_2)
	v_add_co_u32 v1, vcc_lo, v1, 0
	s_waitcnt lgkmcnt(0)
	v_add_co_ci_u32_e32 v2, vcc_lo, v2, v5, vcc_lo
.LBB165_65:
	s_or_b32 exec_lo, exec_lo, s1
	s_delay_alu instid0(SALU_CYCLE_1)
	s_mov_b32 s1, exec_lo
	v_cmpx_eq_u32_e32 0, v3
	s_cbranch_execz .LBB165_67
; %bb.66:
	v_lshrrev_b32_e32 v4, 2, v0
	s_delay_alu instid0(VALU_DEP_1)
	v_and_b32_e32 v4, 56, v4
	ds_store_b64 v4, v[1:2] offset:320
.LBB165_67:
	s_or_b32 exec_lo, exec_lo, s1
	s_delay_alu instid0(SALU_CYCLE_1)
	s_mov_b32 s1, exec_lo
	s_waitcnt lgkmcnt(0)
	s_barrier
	buffer_gl0_inv
	v_cmpx_gt_u32_e32 8, v0
	s_cbranch_execz .LBB165_75
; %bb.68:
	v_lshlrev_b32_e32 v1, 3, v3
	s_add_i32 s0, s0, 31
	s_delay_alu instid0(SALU_CYCLE_1) | instskip(SKIP_2) | instid1(VALU_DEP_1)
	s_lshr_b32 s0, s0, 5
	ds_load_b64 v[1:2], v1 offset:320
	v_and_b32_e32 v4, 7, v3
	v_cmp_ne_u32_e32 vcc_lo, 7, v4
	v_add_co_ci_u32_e32 v5, vcc_lo, 0, v3, vcc_lo
	s_delay_alu instid0(VALU_DEP_1) | instskip(SKIP_4) | instid1(VALU_DEP_1)
	v_lshlrev_b32_e32 v5, 2, v5
	s_waitcnt lgkmcnt(0)
	ds_bpermute_b32 v7, v5, v1
	ds_bpermute_b32 v6, v5, v2
	v_add_nc_u32_e32 v5, 1, v4
	v_cmp_gt_u32_e32 vcc_lo, s0, v5
	v_mov_b32_e32 v5, v1
	s_and_saveexec_b32 s2, vcc_lo
	s_cbranch_execz .LBB165_70
; %bb.69:
	s_waitcnt lgkmcnt(1)
	v_add_co_u32 v5, vcc_lo, v1, v7
	v_add_co_ci_u32_e32 v2, vcc_lo, 0, v2, vcc_lo
	s_delay_alu instid0(VALU_DEP_2) | instskip(SKIP_1) | instid1(VALU_DEP_2)
	v_add_co_u32 v1, vcc_lo, 0, v5
	s_waitcnt lgkmcnt(0)
	v_add_co_ci_u32_e32 v2, vcc_lo, v6, v2, vcc_lo
.LBB165_70:
	s_or_b32 exec_lo, exec_lo, s2
	v_cmp_gt_u32_e32 vcc_lo, 6, v4
	v_add_nc_u32_e32 v8, 2, v4
	s_mov_b32 s2, exec_lo
	s_waitcnt lgkmcnt(0)
	v_cndmask_b32_e64 v6, 0, 1, vcc_lo
	s_delay_alu instid0(VALU_DEP_1) | instskip(NEXT) | instid1(VALU_DEP_1)
	v_lshlrev_b32_e32 v6, 1, v6
	v_add_lshl_u32 v6, v6, v3, 2
	ds_bpermute_b32 v7, v6, v5
	ds_bpermute_b32 v6, v6, v2
	v_cmpx_gt_u32_e64 s0, v8
	s_cbranch_execz .LBB165_72
; %bb.71:
	s_waitcnt lgkmcnt(1)
	v_add_co_u32 v5, vcc_lo, v1, v7
	v_add_co_ci_u32_e32 v2, vcc_lo, 0, v2, vcc_lo
	s_delay_alu instid0(VALU_DEP_2) | instskip(SKIP_1) | instid1(VALU_DEP_2)
	v_add_co_u32 v1, vcc_lo, 0, v5
	s_waitcnt lgkmcnt(0)
	v_add_co_ci_u32_e32 v2, vcc_lo, v6, v2, vcc_lo
.LBB165_72:
	s_or_b32 exec_lo, exec_lo, s2
	v_cmp_gt_u32_e32 vcc_lo, 4, v4
	v_add_nc_u32_e32 v4, 4, v4
	s_waitcnt lgkmcnt(0)
	v_cndmask_b32_e64 v6, 0, 1, vcc_lo
	s_delay_alu instid0(VALU_DEP_2) | instskip(NEXT) | instid1(VALU_DEP_2)
	v_cmp_gt_u32_e32 vcc_lo, s0, v4
	v_lshlrev_b32_e32 v6, 2, v6
	s_delay_alu instid0(VALU_DEP_1)
	v_add_lshl_u32 v3, v6, v3, 2
	ds_bpermute_b32 v5, v3, v5
	ds_bpermute_b32 v3, v3, v2
	s_and_saveexec_b32 s0, vcc_lo
	s_cbranch_execz .LBB165_74
; %bb.73:
	s_waitcnt lgkmcnt(1)
	v_add_co_u32 v1, vcc_lo, v1, v5
	v_add_co_ci_u32_e32 v2, vcc_lo, 0, v2, vcc_lo
	s_delay_alu instid0(VALU_DEP_2) | instskip(SKIP_1) | instid1(VALU_DEP_2)
	v_add_co_u32 v1, vcc_lo, v1, 0
	s_waitcnt lgkmcnt(0)
	v_add_co_ci_u32_e32 v2, vcc_lo, v2, v3, vcc_lo
.LBB165_74:
	s_or_b32 exec_lo, exec_lo, s0
.LBB165_75:
	s_delay_alu instid0(SALU_CYCLE_1)
	s_or_b32 exec_lo, exec_lo, s1
	v_cmp_eq_u32_e64 s0, 0, v0
	s_and_b32 vcc_lo, exec_lo, s27
	s_cbranch_vccnz .LBB165_15
	s_branch .LBB165_116
.LBB165_76:
	s_mov_b32 s1, -1
                                        ; implicit-def: $vgpr1_vgpr2
.LBB165_77:
	s_delay_alu instid0(SALU_CYCLE_1)
	s_and_b32 vcc_lo, exec_lo, s1
	s_cbranch_vccz .LBB165_115
; %bb.78:
	s_sub_i32 s8, s18, s0
	s_mov_b32 s0, exec_lo
                                        ; implicit-def: $vgpr1_vgpr2_vgpr3_vgpr4_vgpr5_vgpr6_vgpr7_vgpr8_vgpr9_vgpr10_vgpr11_vgpr12_vgpr13_vgpr14_vgpr15_vgpr16
	v_cmpx_gt_u32_e64 s8, v0
	s_cbranch_execz .LBB165_80
; %bb.79:
	v_lshlrev_b32_e32 v1, 3, v0
	global_load_b64 v[1:2], v1, s[6:7]
.LBB165_80:
	s_or_b32 exec_lo, exec_lo, s0
	v_or_b32_e32 v17, 0x100, v0
	s_delay_alu instid0(VALU_DEP_1)
	v_cmp_gt_u32_e32 vcc_lo, s8, v17
	s_and_saveexec_b32 s0, vcc_lo
	s_cbranch_execz .LBB165_82
; %bb.81:
	s_waitcnt lgkmcnt(0)
	v_lshlrev_b32_e32 v3, 3, v0
	global_load_b64 v[3:4], v3, s[6:7] offset:2048
.LBB165_82:
	s_or_b32 exec_lo, exec_lo, s0
	v_or_b32_e32 v17, 0x200, v0
	s_delay_alu instid0(VALU_DEP_1) | instskip(NEXT) | instid1(VALU_DEP_1)
	v_cmp_gt_u32_e64 s0, s8, v17
	s_and_saveexec_b32 s1, s0
	s_cbranch_execz .LBB165_84
; %bb.83:
	s_waitcnt lgkmcnt(1)
	v_lshlrev_b32_e32 v5, 3, v17
	global_load_b64 v[5:6], v5, s[6:7]
.LBB165_84:
	s_or_b32 exec_lo, exec_lo, s1
	v_or_b32_e32 v17, 0x300, v0
	s_delay_alu instid0(VALU_DEP_1) | instskip(NEXT) | instid1(VALU_DEP_1)
	v_cmp_gt_u32_e64 s1, s8, v17
	s_and_saveexec_b32 s2, s1
	s_cbranch_execz .LBB165_86
; %bb.85:
	v_lshlrev_b32_e32 v7, 3, v17
	global_load_b64 v[7:8], v7, s[6:7]
.LBB165_86:
	s_or_b32 exec_lo, exec_lo, s2
	v_or_b32_e32 v17, 0x400, v0
	s_delay_alu instid0(VALU_DEP_1) | instskip(NEXT) | instid1(VALU_DEP_1)
	v_cmp_gt_u32_e64 s2, s8, v17
	s_and_saveexec_b32 s3, s2
	s_cbranch_execz .LBB165_88
; %bb.87:
	v_lshlrev_b32_e32 v9, 3, v17
	global_load_b64 v[9:10], v9, s[6:7]
.LBB165_88:
	;; [unrolled: 10-line block ×5, first 2 shown]
	s_or_b32 exec_lo, exec_lo, s9
	s_waitcnt vmcnt(0) lgkmcnt(0)
	v_dual_cndmask_b32 v3, 0, v3 :: v_dual_cndmask_b32 v4, 0, v4
	v_cndmask_b32_e64 v5, 0, v5, s0
	v_cndmask_b32_e64 v6, 0, v6, s0
	s_min_u32 s0, s8, 0x100
	s_delay_alu instid0(VALU_DEP_3) | instskip(SKIP_2) | instid1(VALU_DEP_3)
	v_add_co_u32 v1, vcc_lo, v3, v1
	v_add_co_ci_u32_e32 v2, vcc_lo, v4, v2, vcc_lo
	v_cndmask_b32_e64 v3, 0, v7, s1
	v_add_co_u32 v1, vcc_lo, v1, v5
	s_delay_alu instid0(VALU_DEP_3) | instskip(SKIP_2) | instid1(VALU_DEP_4)
	v_add_co_ci_u32_e32 v2, vcc_lo, v2, v6, vcc_lo
	v_cndmask_b32_e64 v4, 0, v8, s1
	v_cndmask_b32_e64 v5, 0, v9, s2
	v_add_co_u32 v1, vcc_lo, v1, v3
	v_cndmask_b32_e64 v3, 0, v10, s2
	s_delay_alu instid0(VALU_DEP_4) | instskip(SKIP_1) | instid1(VALU_DEP_4)
	v_add_co_ci_u32_e32 v2, vcc_lo, v2, v4, vcc_lo
	v_cndmask_b32_e64 v4, 0, v11, s3
	v_add_co_u32 v1, vcc_lo, v1, v5
	s_delay_alu instid0(VALU_DEP_3) | instskip(SKIP_2) | instid1(VALU_DEP_4)
	v_add_co_ci_u32_e32 v2, vcc_lo, v2, v3, vcc_lo
	v_cndmask_b32_e64 v5, 0, v12, s3
	v_mbcnt_lo_u32_b32 v3, -1, 0
	v_add_co_u32 v1, vcc_lo, v1, v4
	v_cndmask_b32_e64 v4, 0, v14, s4
	s_delay_alu instid0(VALU_DEP_4) | instskip(NEXT) | instid1(VALU_DEP_4)
	v_add_co_ci_u32_e32 v2, vcc_lo, v2, v5, vcc_lo
	v_cmp_ne_u32_e32 vcc_lo, 31, v3
	v_cndmask_b32_e64 v5, 0, v13, s4
	v_cndmask_b32_e64 v6, 0, v15, s5
	v_add_co_ci_u32_e32 v7, vcc_lo, 0, v3, vcc_lo
	s_delay_alu instid0(VALU_DEP_3) | instskip(SKIP_2) | instid1(VALU_DEP_3)
	v_add_co_u32 v1, vcc_lo, v1, v5
	v_add_co_ci_u32_e32 v2, vcc_lo, v2, v4, vcc_lo
	v_cndmask_b32_e64 v4, 0, v16, s5
	v_add_co_u32 v1, vcc_lo, v1, v6
	v_lshlrev_b32_e32 v5, 2, v7
	s_delay_alu instid0(VALU_DEP_3)
	v_add_co_ci_u32_e32 v2, vcc_lo, v2, v4, vcc_lo
	v_and_b32_e32 v4, 0xe0, v0
	ds_bpermute_b32 v7, v5, v1
	ds_bpermute_b32 v6, v5, v2
	v_add_nc_u32_e32 v5, 1, v3
	v_sub_nc_u32_e64 v4, s0, v4 clamp
	s_delay_alu instid0(VALU_DEP_1)
	v_cmp_lt_u32_e32 vcc_lo, v5, v4
	v_mov_b32_e32 v5, v1
	s_and_saveexec_b32 s1, vcc_lo
	s_cbranch_execz .LBB165_96
; %bb.95:
	s_waitcnt lgkmcnt(1)
	v_add_co_u32 v5, vcc_lo, v1, v7
	v_add_co_ci_u32_e32 v2, vcc_lo, 0, v2, vcc_lo
	s_delay_alu instid0(VALU_DEP_2) | instskip(SKIP_1) | instid1(VALU_DEP_2)
	v_add_co_u32 v1, vcc_lo, v5, 0
	s_waitcnt lgkmcnt(0)
	v_add_co_ci_u32_e32 v2, vcc_lo, v2, v6, vcc_lo
.LBB165_96:
	s_or_b32 exec_lo, exec_lo, s1
	v_cmp_gt_u32_e32 vcc_lo, 30, v3
	v_add_nc_u32_e32 v8, 2, v3
	s_mov_b32 s1, exec_lo
	s_waitcnt lgkmcnt(0)
	v_cndmask_b32_e64 v6, 0, 1, vcc_lo
	s_delay_alu instid0(VALU_DEP_1) | instskip(NEXT) | instid1(VALU_DEP_1)
	v_lshlrev_b32_e32 v6, 1, v6
	v_add_lshl_u32 v6, v6, v3, 2
	ds_bpermute_b32 v7, v6, v5
	ds_bpermute_b32 v6, v6, v2
	v_cmpx_lt_u32_e64 v8, v4
	s_cbranch_execz .LBB165_98
; %bb.97:
	s_waitcnt lgkmcnt(1)
	v_add_co_u32 v5, vcc_lo, v1, v7
	v_add_co_ci_u32_e32 v2, vcc_lo, 0, v2, vcc_lo
	s_delay_alu instid0(VALU_DEP_2) | instskip(SKIP_1) | instid1(VALU_DEP_2)
	v_add_co_u32 v1, vcc_lo, 0, v5
	s_waitcnt lgkmcnt(0)
	v_add_co_ci_u32_e32 v2, vcc_lo, v6, v2, vcc_lo
.LBB165_98:
	s_or_b32 exec_lo, exec_lo, s1
	v_cmp_gt_u32_e32 vcc_lo, 28, v3
	v_add_nc_u32_e32 v8, 4, v3
	s_mov_b32 s1, exec_lo
	s_waitcnt lgkmcnt(0)
	v_cndmask_b32_e64 v6, 0, 1, vcc_lo
	s_delay_alu instid0(VALU_DEP_1) | instskip(NEXT) | instid1(VALU_DEP_1)
	v_lshlrev_b32_e32 v6, 2, v6
	v_add_lshl_u32 v6, v6, v3, 2
	ds_bpermute_b32 v7, v6, v5
	ds_bpermute_b32 v6, v6, v2
	v_cmpx_lt_u32_e64 v8, v4
	s_cbranch_execz .LBB165_100
; %bb.99:
	s_waitcnt lgkmcnt(1)
	v_add_co_u32 v5, vcc_lo, v1, v7
	v_add_co_ci_u32_e32 v2, vcc_lo, 0, v2, vcc_lo
	s_delay_alu instid0(VALU_DEP_2) | instskip(SKIP_1) | instid1(VALU_DEP_2)
	v_add_co_u32 v1, vcc_lo, 0, v5
	s_waitcnt lgkmcnt(0)
	v_add_co_ci_u32_e32 v2, vcc_lo, v6, v2, vcc_lo
.LBB165_100:
	s_or_b32 exec_lo, exec_lo, s1
	v_cmp_gt_u32_e32 vcc_lo, 24, v3
	v_add_nc_u32_e32 v8, 8, v3
	s_mov_b32 s1, exec_lo
	s_waitcnt lgkmcnt(0)
	v_cndmask_b32_e64 v6, 0, 1, vcc_lo
	s_delay_alu instid0(VALU_DEP_1) | instskip(NEXT) | instid1(VALU_DEP_1)
	v_lshlrev_b32_e32 v6, 3, v6
	v_add_lshl_u32 v6, v6, v3, 2
	ds_bpermute_b32 v7, v6, v5
	ds_bpermute_b32 v6, v6, v2
	v_cmpx_lt_u32_e64 v8, v4
	s_cbranch_execz .LBB165_102
; %bb.101:
	s_waitcnt lgkmcnt(1)
	v_add_co_u32 v5, vcc_lo, v1, v7
	v_add_co_ci_u32_e32 v2, vcc_lo, 0, v2, vcc_lo
	s_delay_alu instid0(VALU_DEP_2) | instskip(SKIP_1) | instid1(VALU_DEP_2)
	v_add_co_u32 v1, vcc_lo, 0, v5
	s_waitcnt lgkmcnt(0)
	v_add_co_ci_u32_e32 v2, vcc_lo, v6, v2, vcc_lo
.LBB165_102:
	s_or_b32 exec_lo, exec_lo, s1
	v_cmp_gt_u32_e32 vcc_lo, 16, v3
	s_mov_b32 s1, exec_lo
	s_waitcnt lgkmcnt(0)
	v_cndmask_b32_e64 v6, 0, 1, vcc_lo
	s_delay_alu instid0(VALU_DEP_1) | instskip(NEXT) | instid1(VALU_DEP_1)
	v_lshlrev_b32_e32 v6, 4, v6
	v_add_lshl_u32 v7, v6, v3, 2
	ds_bpermute_b32 v6, v7, v5
	ds_bpermute_b32 v5, v7, v2
	v_add_nc_u32_e32 v7, 16, v3
	s_delay_alu instid0(VALU_DEP_1)
	v_cmpx_lt_u32_e64 v7, v4
	s_cbranch_execz .LBB165_104
; %bb.103:
	s_waitcnt lgkmcnt(1)
	v_add_co_u32 v1, vcc_lo, v1, v6
	v_add_co_ci_u32_e32 v2, vcc_lo, 0, v2, vcc_lo
	s_delay_alu instid0(VALU_DEP_2) | instskip(SKIP_1) | instid1(VALU_DEP_2)
	v_add_co_u32 v1, vcc_lo, v1, 0
	s_waitcnt lgkmcnt(0)
	v_add_co_ci_u32_e32 v2, vcc_lo, v2, v5, vcc_lo
.LBB165_104:
	s_or_b32 exec_lo, exec_lo, s1
	s_delay_alu instid0(SALU_CYCLE_1)
	s_mov_b32 s1, exec_lo
	v_cmpx_eq_u32_e32 0, v3
	s_cbranch_execz .LBB165_106
; %bb.105:
	v_lshrrev_b32_e32 v4, 2, v0
	s_delay_alu instid0(VALU_DEP_1)
	v_and_b32_e32 v4, 56, v4
	ds_store_b64 v4, v[1:2] offset:320
.LBB165_106:
	s_or_b32 exec_lo, exec_lo, s1
	s_delay_alu instid0(SALU_CYCLE_1)
	s_mov_b32 s1, exec_lo
	s_waitcnt lgkmcnt(0)
	s_barrier
	buffer_gl0_inv
	v_cmpx_gt_u32_e32 8, v0
	s_cbranch_execz .LBB165_114
; %bb.107:
	v_lshlrev_b32_e32 v1, 3, v3
	s_add_i32 s0, s0, 31
	s_delay_alu instid0(SALU_CYCLE_1) | instskip(SKIP_2) | instid1(VALU_DEP_1)
	s_lshr_b32 s0, s0, 5
	ds_load_b64 v[1:2], v1 offset:320
	v_and_b32_e32 v4, 7, v3
	v_cmp_ne_u32_e32 vcc_lo, 7, v4
	v_add_co_ci_u32_e32 v5, vcc_lo, 0, v3, vcc_lo
	s_delay_alu instid0(VALU_DEP_1) | instskip(SKIP_4) | instid1(VALU_DEP_1)
	v_lshlrev_b32_e32 v5, 2, v5
	s_waitcnt lgkmcnt(0)
	ds_bpermute_b32 v7, v5, v1
	ds_bpermute_b32 v6, v5, v2
	v_add_nc_u32_e32 v5, 1, v4
	v_cmp_gt_u32_e32 vcc_lo, s0, v5
	v_mov_b32_e32 v5, v1
	s_and_saveexec_b32 s2, vcc_lo
	s_cbranch_execz .LBB165_109
; %bb.108:
	s_waitcnt lgkmcnt(1)
	v_add_co_u32 v5, vcc_lo, v1, v7
	v_add_co_ci_u32_e32 v2, vcc_lo, 0, v2, vcc_lo
	s_delay_alu instid0(VALU_DEP_2) | instskip(SKIP_1) | instid1(VALU_DEP_2)
	v_add_co_u32 v1, vcc_lo, 0, v5
	s_waitcnt lgkmcnt(0)
	v_add_co_ci_u32_e32 v2, vcc_lo, v6, v2, vcc_lo
.LBB165_109:
	s_or_b32 exec_lo, exec_lo, s2
	v_cmp_gt_u32_e32 vcc_lo, 6, v4
	v_add_nc_u32_e32 v8, 2, v4
	s_mov_b32 s2, exec_lo
	s_waitcnt lgkmcnt(0)
	v_cndmask_b32_e64 v6, 0, 1, vcc_lo
	s_delay_alu instid0(VALU_DEP_1) | instskip(NEXT) | instid1(VALU_DEP_1)
	v_lshlrev_b32_e32 v6, 1, v6
	v_add_lshl_u32 v6, v6, v3, 2
	ds_bpermute_b32 v7, v6, v5
	ds_bpermute_b32 v6, v6, v2
	v_cmpx_gt_u32_e64 s0, v8
	s_cbranch_execz .LBB165_111
; %bb.110:
	s_waitcnt lgkmcnt(1)
	v_add_co_u32 v5, vcc_lo, v1, v7
	v_add_co_ci_u32_e32 v2, vcc_lo, 0, v2, vcc_lo
	s_delay_alu instid0(VALU_DEP_2) | instskip(SKIP_1) | instid1(VALU_DEP_2)
	v_add_co_u32 v1, vcc_lo, 0, v5
	s_waitcnt lgkmcnt(0)
	v_add_co_ci_u32_e32 v2, vcc_lo, v6, v2, vcc_lo
.LBB165_111:
	s_or_b32 exec_lo, exec_lo, s2
	v_cmp_gt_u32_e32 vcc_lo, 4, v4
	v_add_nc_u32_e32 v4, 4, v4
	s_waitcnt lgkmcnt(0)
	v_cndmask_b32_e64 v6, 0, 1, vcc_lo
	s_delay_alu instid0(VALU_DEP_2) | instskip(NEXT) | instid1(VALU_DEP_2)
	v_cmp_gt_u32_e32 vcc_lo, s0, v4
	v_lshlrev_b32_e32 v6, 2, v6
	s_delay_alu instid0(VALU_DEP_1)
	v_add_lshl_u32 v3, v6, v3, 2
	ds_bpermute_b32 v5, v3, v5
	ds_bpermute_b32 v3, v3, v2
	s_and_saveexec_b32 s0, vcc_lo
	s_cbranch_execz .LBB165_113
; %bb.112:
	s_waitcnt lgkmcnt(1)
	v_add_co_u32 v1, vcc_lo, v1, v5
	v_add_co_ci_u32_e32 v2, vcc_lo, 0, v2, vcc_lo
	s_delay_alu instid0(VALU_DEP_2) | instskip(SKIP_1) | instid1(VALU_DEP_2)
	v_add_co_u32 v1, vcc_lo, v1, 0
	s_waitcnt lgkmcnt(0)
	v_add_co_ci_u32_e32 v2, vcc_lo, v2, v3, vcc_lo
.LBB165_113:
	s_or_b32 exec_lo, exec_lo, s0
.LBB165_114:
	s_delay_alu instid0(SALU_CYCLE_1)
	s_or_b32 exec_lo, exec_lo, s1
.LBB165_115:
	v_cmp_eq_u32_e64 s0, 0, v0
.LBB165_116:
	s_branch .LBB165_155
.LBB165_117:
	s_cmp_eq_u32 s26, 4
                                        ; implicit-def: $vgpr1_vgpr2
	s_cbranch_scc0 .LBB165_155
; %bb.118:
	s_mov_b32 s15, 0
	s_lshl_b32 s0, s14, 10
	s_mov_b32 s1, s15
	s_lshr_b64 s[4:5], s[18:19], 10
	s_lshl_b64 s[2:3], s[0:1], 3
	s_delay_alu instid0(SALU_CYCLE_1)
	s_add_u32 s2, s16, s2
	s_addc_u32 s3, s17, s3
	s_cmp_lg_u64 s[4:5], s[14:15]
	s_cbranch_scc0 .LBB165_124
; %bb.119:
	s_waitcnt lgkmcnt(1)
	v_lshlrev_b32_e32 v5, 3, v0
	s_delay_alu instid0(VALU_DEP_1) | instskip(NEXT) | instid1(VALU_DEP_1)
	v_add_co_u32 v1, s1, s2, v5
	v_add_co_ci_u32_e64 v2, null, s3, 0, s1
	s_mov_b32 s1, exec_lo
	s_delay_alu instid0(VALU_DEP_2) | instskip(NEXT) | instid1(VALU_DEP_2)
	v_add_co_u32 v1, vcc_lo, 0x1000, v1
	v_add_co_ci_u32_e32 v2, vcc_lo, 0, v2, vcc_lo
	s_waitcnt lgkmcnt(0)
	s_clause 0x3
	global_load_b64 v[3:4], v5, s[2:3]
	global_load_b64 v[5:6], v5, s[2:3] offset:2048
	global_load_b64 v[7:8], v[1:2], off
	global_load_b64 v[1:2], v[1:2], off offset:2048
	s_waitcnt vmcnt(2)
	v_add_co_u32 v3, vcc_lo, v5, v3
	v_add_co_ci_u32_e32 v4, vcc_lo, v6, v4, vcc_lo
	s_waitcnt vmcnt(1)
	s_delay_alu instid0(VALU_DEP_2) | instskip(NEXT) | instid1(VALU_DEP_2)
	v_add_co_u32 v3, vcc_lo, v3, v7
	v_add_co_ci_u32_e32 v4, vcc_lo, v4, v8, vcc_lo
	s_waitcnt vmcnt(0)
	s_delay_alu instid0(VALU_DEP_2) | instskip(NEXT) | instid1(VALU_DEP_2)
	v_add_co_u32 v1, vcc_lo, v3, v1
	v_add_co_ci_u32_e32 v2, vcc_lo, v4, v2, vcc_lo
	s_delay_alu instid0(VALU_DEP_2) | instskip(NEXT) | instid1(VALU_DEP_1)
	v_mov_b32_dpp v3, v1 quad_perm:[1,0,3,2] row_mask:0xf bank_mask:0xf
	v_add_co_u32 v1, vcc_lo, v1, v3
	s_delay_alu instid0(VALU_DEP_3) | instskip(SKIP_1) | instid1(VALU_DEP_3)
	v_mov_b32_dpp v3, v2 quad_perm:[1,0,3,2] row_mask:0xf bank_mask:0xf
	v_add_co_ci_u32_e32 v2, vcc_lo, 0, v2, vcc_lo
	v_mov_b32_dpp v4, v1 quad_perm:[2,3,0,1] row_mask:0xf bank_mask:0xf
	v_add_co_u32 v1, vcc_lo, 0, v1
	s_delay_alu instid0(VALU_DEP_3) | instskip(NEXT) | instid1(VALU_DEP_2)
	v_add_co_ci_u32_e32 v2, vcc_lo, v3, v2, vcc_lo
	v_add_co_u32 v1, vcc_lo, v1, v4
	s_delay_alu instid0(VALU_DEP_2) | instskip(SKIP_1) | instid1(VALU_DEP_3)
	v_mov_b32_dpp v3, v2 quad_perm:[2,3,0,1] row_mask:0xf bank_mask:0xf
	v_add_co_ci_u32_e32 v2, vcc_lo, 0, v2, vcc_lo
	v_mov_b32_dpp v4, v1 row_ror:4 row_mask:0xf bank_mask:0xf
	v_add_co_u32 v1, vcc_lo, v1, 0
	s_delay_alu instid0(VALU_DEP_3) | instskip(NEXT) | instid1(VALU_DEP_2)
	v_add_co_ci_u32_e32 v2, vcc_lo, v2, v3, vcc_lo
	v_add_co_u32 v1, vcc_lo, v1, v4
	s_delay_alu instid0(VALU_DEP_2) | instskip(SKIP_1) | instid1(VALU_DEP_3)
	v_mov_b32_dpp v3, v2 row_ror:4 row_mask:0xf bank_mask:0xf
	v_add_co_ci_u32_e32 v2, vcc_lo, 0, v2, vcc_lo
	v_mov_b32_dpp v4, v1 row_ror:8 row_mask:0xf bank_mask:0xf
	v_add_co_u32 v1, vcc_lo, v1, 0
	s_delay_alu instid0(VALU_DEP_3) | instskip(NEXT) | instid1(VALU_DEP_2)
	v_add_co_ci_u32_e32 v2, vcc_lo, v2, v3, vcc_lo
	v_add_co_u32 v1, vcc_lo, v1, v4
	s_delay_alu instid0(VALU_DEP_2)
	v_mov_b32_dpp v3, v2 row_ror:8 row_mask:0xf bank_mask:0xf
	v_add_co_ci_u32_e32 v2, vcc_lo, 0, v2, vcc_lo
	ds_swizzle_b32 v4, v1 offset:swizzle(BROADCAST,32,15)
	v_add_co_u32 v1, vcc_lo, v1, 0
	v_add_co_ci_u32_e32 v2, vcc_lo, v2, v3, vcc_lo
	ds_swizzle_b32 v3, v2 offset:swizzle(BROADCAST,32,15)
	s_waitcnt lgkmcnt(1)
	v_add_co_u32 v1, vcc_lo, v1, v4
	v_mov_b32_e32 v4, 0
	v_add_co_ci_u32_e32 v2, vcc_lo, 0, v2, vcc_lo
	ds_bpermute_b32 v1, v4, v1 offset:124
	s_waitcnt lgkmcnt(1)
	v_add_nc_u32_e32 v2, v3, v2
	v_mbcnt_lo_u32_b32 v3, -1, 0
	ds_bpermute_b32 v2, v4, v2 offset:124
	v_cmpx_eq_u32_e32 0, v3
	s_cbranch_execz .LBB165_121
; %bb.120:
	v_lshrrev_b32_e32 v4, 2, v0
	s_delay_alu instid0(VALU_DEP_1)
	v_and_b32_e32 v4, 56, v4
	s_waitcnt lgkmcnt(0)
	ds_store_b64 v4, v[1:2] offset:192
.LBB165_121:
	s_or_b32 exec_lo, exec_lo, s1
	s_delay_alu instid0(SALU_CYCLE_1)
	s_mov_b32 s1, exec_lo
	s_waitcnt lgkmcnt(0)
	s_barrier
	buffer_gl0_inv
	v_cmpx_gt_u32_e32 32, v0
	s_cbranch_execz .LBB165_123
; %bb.122:
	v_lshl_or_b32 v1, v3, 3, 0xc0
	v_and_b32_e32 v4, 7, v3
	ds_load_b64 v[1:2], v1
	v_cmp_ne_u32_e32 vcc_lo, 7, v4
	v_add_co_ci_u32_e32 v5, vcc_lo, 0, v3, vcc_lo
	v_cmp_gt_u32_e32 vcc_lo, 6, v4
	s_delay_alu instid0(VALU_DEP_2) | instskip(SKIP_1) | instid1(VALU_DEP_1)
	v_lshlrev_b32_e32 v5, 2, v5
	v_cndmask_b32_e64 v7, 0, 1, vcc_lo
	v_lshlrev_b32_e32 v7, 1, v7
	s_waitcnt lgkmcnt(0)
	ds_bpermute_b32 v6, v5, v1
	ds_bpermute_b32 v5, v5, v2
	v_add_lshl_u32 v7, v7, v3, 2
	s_waitcnt lgkmcnt(1)
	v_add_co_u32 v1, vcc_lo, v1, v6
	v_add_co_ci_u32_e32 v2, vcc_lo, 0, v2, vcc_lo
	ds_bpermute_b32 v6, v7, v1
	v_add_co_u32 v1, vcc_lo, 0, v1
	s_waitcnt lgkmcnt(1)
	v_add_co_ci_u32_e32 v2, vcc_lo, v5, v2, vcc_lo
	v_cmp_gt_u32_e32 vcc_lo, 4, v4
	ds_bpermute_b32 v5, v7, v2
	v_cndmask_b32_e64 v4, 0, 1, vcc_lo
	s_delay_alu instid0(VALU_DEP_1) | instskip(NEXT) | instid1(VALU_DEP_1)
	v_lshlrev_b32_e32 v4, 2, v4
	v_add_lshl_u32 v3, v4, v3, 2
	s_waitcnt lgkmcnt(1)
	v_add_co_u32 v1, vcc_lo, v1, v6
	v_add_co_ci_u32_e32 v2, vcc_lo, 0, v2, vcc_lo
	ds_bpermute_b32 v4, v3, v1
	v_add_co_u32 v1, vcc_lo, v1, 0
	s_waitcnt lgkmcnt(1)
	v_add_co_ci_u32_e32 v2, vcc_lo, v2, v5, vcc_lo
	ds_bpermute_b32 v3, v3, v2
	s_waitcnt lgkmcnt(1)
	v_add_co_u32 v1, vcc_lo, v1, v4
	v_add_co_ci_u32_e32 v2, vcc_lo, 0, v2, vcc_lo
	s_delay_alu instid0(VALU_DEP_2) | instskip(SKIP_1) | instid1(VALU_DEP_2)
	v_add_co_u32 v1, vcc_lo, v1, 0
	s_waitcnt lgkmcnt(0)
	v_add_co_ci_u32_e32 v2, vcc_lo, v2, v3, vcc_lo
.LBB165_123:
	s_or_b32 exec_lo, exec_lo, s1
	s_branch .LBB165_154
.LBB165_124:
                                        ; implicit-def: $vgpr1_vgpr2
	s_cbranch_execz .LBB165_154
; %bb.125:
	s_sub_i32 s4, s18, s0
	s_mov_b32 s0, exec_lo
                                        ; implicit-def: $vgpr1_vgpr2_vgpr3_vgpr4_vgpr5_vgpr6_vgpr7_vgpr8
	v_cmpx_gt_u32_e64 s4, v0
	s_cbranch_execz .LBB165_127
; %bb.126:
	v_lshlrev_b32_e32 v1, 3, v0
	global_load_b64 v[1:2], v1, s[2:3]
.LBB165_127:
	s_or_b32 exec_lo, exec_lo, s0
	v_or_b32_e32 v9, 0x100, v0
	s_delay_alu instid0(VALU_DEP_1)
	v_cmp_gt_u32_e32 vcc_lo, s4, v9
	s_and_saveexec_b32 s0, vcc_lo
	s_cbranch_execz .LBB165_129
; %bb.128:
	s_waitcnt lgkmcnt(0)
	v_lshlrev_b32_e32 v3, 3, v0
	global_load_b64 v[3:4], v3, s[2:3] offset:2048
.LBB165_129:
	s_or_b32 exec_lo, exec_lo, s0
	v_or_b32_e32 v9, 0x200, v0
	s_delay_alu instid0(VALU_DEP_1) | instskip(NEXT) | instid1(VALU_DEP_1)
	v_cmp_gt_u32_e64 s0, s4, v9
	s_and_saveexec_b32 s1, s0
	s_cbranch_execz .LBB165_131
; %bb.130:
	s_waitcnt lgkmcnt(1)
	v_lshlrev_b32_e32 v5, 3, v9
	global_load_b64 v[5:6], v5, s[2:3]
.LBB165_131:
	s_or_b32 exec_lo, exec_lo, s1
	v_or_b32_e32 v9, 0x300, v0
	s_delay_alu instid0(VALU_DEP_1) | instskip(NEXT) | instid1(VALU_DEP_1)
	v_cmp_gt_u32_e64 s1, s4, v9
	s_and_saveexec_b32 s5, s1
	s_cbranch_execz .LBB165_133
; %bb.132:
	v_lshlrev_b32_e32 v7, 3, v9
	global_load_b64 v[7:8], v7, s[2:3]
.LBB165_133:
	s_or_b32 exec_lo, exec_lo, s5
	s_waitcnt vmcnt(0) lgkmcnt(0)
	v_dual_cndmask_b32 v9, 0, v3 :: v_dual_cndmask_b32 v4, 0, v4
	v_mbcnt_lo_u32_b32 v3, -1, 0
	v_cndmask_b32_e64 v5, 0, v5, s0
	s_delay_alu instid0(VALU_DEP_3) | instskip(NEXT) | instid1(VALU_DEP_4)
	v_add_co_u32 v1, vcc_lo, v9, v1
	v_add_co_ci_u32_e32 v2, vcc_lo, v4, v2, vcc_lo
	s_delay_alu instid0(VALU_DEP_4)
	v_cmp_ne_u32_e32 vcc_lo, 31, v3
	v_cndmask_b32_e64 v4, 0, v6, s0
	v_cndmask_b32_e64 v6, 0, v7, s1
	s_min_u32 s0, s4, 0x100
	v_add_co_ci_u32_e32 v7, vcc_lo, 0, v3, vcc_lo
	v_add_co_u32 v1, vcc_lo, v1, v5
	v_add_co_ci_u32_e32 v2, vcc_lo, v2, v4, vcc_lo
	v_cndmask_b32_e64 v4, 0, v8, s1
	s_delay_alu instid0(VALU_DEP_3) | instskip(SKIP_1) | instid1(VALU_DEP_3)
	v_add_co_u32 v1, vcc_lo, v1, v6
	v_lshlrev_b32_e32 v5, 2, v7
	v_add_co_ci_u32_e32 v2, vcc_lo, v2, v4, vcc_lo
	v_and_b32_e32 v4, 0xe0, v0
	ds_bpermute_b32 v7, v5, v1
	ds_bpermute_b32 v6, v5, v2
	v_add_nc_u32_e32 v5, 1, v3
	v_sub_nc_u32_e64 v4, s0, v4 clamp
	s_delay_alu instid0(VALU_DEP_1)
	v_cmp_lt_u32_e32 vcc_lo, v5, v4
	v_mov_b32_e32 v5, v1
	s_and_saveexec_b32 s1, vcc_lo
	s_cbranch_execz .LBB165_135
; %bb.134:
	s_waitcnt lgkmcnt(1)
	v_add_co_u32 v5, vcc_lo, v1, v7
	v_add_co_ci_u32_e32 v2, vcc_lo, 0, v2, vcc_lo
	s_delay_alu instid0(VALU_DEP_2) | instskip(SKIP_1) | instid1(VALU_DEP_2)
	v_add_co_u32 v1, vcc_lo, v5, 0
	s_waitcnt lgkmcnt(0)
	v_add_co_ci_u32_e32 v2, vcc_lo, v2, v6, vcc_lo
.LBB165_135:
	s_or_b32 exec_lo, exec_lo, s1
	v_cmp_gt_u32_e32 vcc_lo, 30, v3
	v_add_nc_u32_e32 v8, 2, v3
	s_mov_b32 s1, exec_lo
	s_waitcnt lgkmcnt(0)
	v_cndmask_b32_e64 v6, 0, 1, vcc_lo
	s_delay_alu instid0(VALU_DEP_1) | instskip(NEXT) | instid1(VALU_DEP_1)
	v_lshlrev_b32_e32 v6, 1, v6
	v_add_lshl_u32 v6, v6, v3, 2
	ds_bpermute_b32 v7, v6, v5
	ds_bpermute_b32 v6, v6, v2
	v_cmpx_lt_u32_e64 v8, v4
	s_cbranch_execz .LBB165_137
; %bb.136:
	s_waitcnt lgkmcnt(1)
	v_add_co_u32 v5, vcc_lo, v1, v7
	v_add_co_ci_u32_e32 v2, vcc_lo, 0, v2, vcc_lo
	s_delay_alu instid0(VALU_DEP_2) | instskip(SKIP_1) | instid1(VALU_DEP_2)
	v_add_co_u32 v1, vcc_lo, 0, v5
	s_waitcnt lgkmcnt(0)
	v_add_co_ci_u32_e32 v2, vcc_lo, v6, v2, vcc_lo
.LBB165_137:
	s_or_b32 exec_lo, exec_lo, s1
	v_cmp_gt_u32_e32 vcc_lo, 28, v3
	v_add_nc_u32_e32 v8, 4, v3
	s_mov_b32 s1, exec_lo
	s_waitcnt lgkmcnt(0)
	v_cndmask_b32_e64 v6, 0, 1, vcc_lo
	s_delay_alu instid0(VALU_DEP_1) | instskip(NEXT) | instid1(VALU_DEP_1)
	v_lshlrev_b32_e32 v6, 2, v6
	v_add_lshl_u32 v6, v6, v3, 2
	ds_bpermute_b32 v7, v6, v5
	ds_bpermute_b32 v6, v6, v2
	v_cmpx_lt_u32_e64 v8, v4
	;; [unrolled: 22-line block ×3, first 2 shown]
	s_cbranch_execz .LBB165_141
; %bb.140:
	s_waitcnt lgkmcnt(1)
	v_add_co_u32 v5, vcc_lo, v1, v7
	v_add_co_ci_u32_e32 v2, vcc_lo, 0, v2, vcc_lo
	s_delay_alu instid0(VALU_DEP_2) | instskip(SKIP_1) | instid1(VALU_DEP_2)
	v_add_co_u32 v1, vcc_lo, 0, v5
	s_waitcnt lgkmcnt(0)
	v_add_co_ci_u32_e32 v2, vcc_lo, v6, v2, vcc_lo
.LBB165_141:
	s_or_b32 exec_lo, exec_lo, s1
	v_cmp_gt_u32_e32 vcc_lo, 16, v3
	s_mov_b32 s1, exec_lo
	s_waitcnt lgkmcnt(0)
	v_cndmask_b32_e64 v6, 0, 1, vcc_lo
	s_delay_alu instid0(VALU_DEP_1) | instskip(NEXT) | instid1(VALU_DEP_1)
	v_lshlrev_b32_e32 v6, 4, v6
	v_add_lshl_u32 v7, v6, v3, 2
	ds_bpermute_b32 v6, v7, v5
	ds_bpermute_b32 v5, v7, v2
	v_add_nc_u32_e32 v7, 16, v3
	s_delay_alu instid0(VALU_DEP_1)
	v_cmpx_lt_u32_e64 v7, v4
	s_cbranch_execz .LBB165_143
; %bb.142:
	s_waitcnt lgkmcnt(1)
	v_add_co_u32 v1, vcc_lo, v1, v6
	v_add_co_ci_u32_e32 v2, vcc_lo, 0, v2, vcc_lo
	s_delay_alu instid0(VALU_DEP_2) | instskip(SKIP_1) | instid1(VALU_DEP_2)
	v_add_co_u32 v1, vcc_lo, v1, 0
	s_waitcnt lgkmcnt(0)
	v_add_co_ci_u32_e32 v2, vcc_lo, v2, v5, vcc_lo
.LBB165_143:
	s_or_b32 exec_lo, exec_lo, s1
	s_delay_alu instid0(SALU_CYCLE_1)
	s_mov_b32 s1, exec_lo
	v_cmpx_eq_u32_e32 0, v3
	s_cbranch_execz .LBB165_145
; %bb.144:
	v_lshrrev_b32_e32 v4, 2, v0
	s_delay_alu instid0(VALU_DEP_1)
	v_and_b32_e32 v4, 56, v4
	ds_store_b64 v4, v[1:2] offset:320
.LBB165_145:
	s_or_b32 exec_lo, exec_lo, s1
	s_delay_alu instid0(SALU_CYCLE_1)
	s_mov_b32 s1, exec_lo
	s_waitcnt lgkmcnt(0)
	s_barrier
	buffer_gl0_inv
	v_cmpx_gt_u32_e32 8, v0
	s_cbranch_execz .LBB165_153
; %bb.146:
	v_lshlrev_b32_e32 v1, 3, v3
	s_add_i32 s0, s0, 31
	s_delay_alu instid0(SALU_CYCLE_1) | instskip(SKIP_2) | instid1(VALU_DEP_1)
	s_lshr_b32 s0, s0, 5
	ds_load_b64 v[1:2], v1 offset:320
	v_and_b32_e32 v4, 7, v3
	v_cmp_ne_u32_e32 vcc_lo, 7, v4
	v_add_co_ci_u32_e32 v5, vcc_lo, 0, v3, vcc_lo
	s_delay_alu instid0(VALU_DEP_1) | instskip(SKIP_4) | instid1(VALU_DEP_1)
	v_lshlrev_b32_e32 v5, 2, v5
	s_waitcnt lgkmcnt(0)
	ds_bpermute_b32 v7, v5, v1
	ds_bpermute_b32 v6, v5, v2
	v_add_nc_u32_e32 v5, 1, v4
	v_cmp_gt_u32_e32 vcc_lo, s0, v5
	v_mov_b32_e32 v5, v1
	s_and_saveexec_b32 s2, vcc_lo
	s_cbranch_execz .LBB165_148
; %bb.147:
	s_waitcnt lgkmcnt(1)
	v_add_co_u32 v5, vcc_lo, v1, v7
	v_add_co_ci_u32_e32 v2, vcc_lo, 0, v2, vcc_lo
	s_delay_alu instid0(VALU_DEP_2) | instskip(SKIP_1) | instid1(VALU_DEP_2)
	v_add_co_u32 v1, vcc_lo, 0, v5
	s_waitcnt lgkmcnt(0)
	v_add_co_ci_u32_e32 v2, vcc_lo, v6, v2, vcc_lo
.LBB165_148:
	s_or_b32 exec_lo, exec_lo, s2
	v_cmp_gt_u32_e32 vcc_lo, 6, v4
	v_add_nc_u32_e32 v8, 2, v4
	s_mov_b32 s2, exec_lo
	s_waitcnt lgkmcnt(0)
	v_cndmask_b32_e64 v6, 0, 1, vcc_lo
	s_delay_alu instid0(VALU_DEP_1) | instskip(NEXT) | instid1(VALU_DEP_1)
	v_lshlrev_b32_e32 v6, 1, v6
	v_add_lshl_u32 v6, v6, v3, 2
	ds_bpermute_b32 v7, v6, v5
	ds_bpermute_b32 v6, v6, v2
	v_cmpx_gt_u32_e64 s0, v8
	s_cbranch_execz .LBB165_150
; %bb.149:
	s_waitcnt lgkmcnt(1)
	v_add_co_u32 v5, vcc_lo, v1, v7
	v_add_co_ci_u32_e32 v2, vcc_lo, 0, v2, vcc_lo
	s_delay_alu instid0(VALU_DEP_2) | instskip(SKIP_1) | instid1(VALU_DEP_2)
	v_add_co_u32 v1, vcc_lo, 0, v5
	s_waitcnt lgkmcnt(0)
	v_add_co_ci_u32_e32 v2, vcc_lo, v6, v2, vcc_lo
.LBB165_150:
	s_or_b32 exec_lo, exec_lo, s2
	v_cmp_gt_u32_e32 vcc_lo, 4, v4
	v_add_nc_u32_e32 v4, 4, v4
	s_waitcnt lgkmcnt(0)
	v_cndmask_b32_e64 v6, 0, 1, vcc_lo
	s_delay_alu instid0(VALU_DEP_2) | instskip(NEXT) | instid1(VALU_DEP_2)
	v_cmp_gt_u32_e32 vcc_lo, s0, v4
	v_lshlrev_b32_e32 v6, 2, v6
	s_delay_alu instid0(VALU_DEP_1)
	v_add_lshl_u32 v3, v6, v3, 2
	ds_bpermute_b32 v5, v3, v5
	ds_bpermute_b32 v3, v3, v2
	s_and_saveexec_b32 s0, vcc_lo
	s_cbranch_execz .LBB165_152
; %bb.151:
	s_waitcnt lgkmcnt(1)
	v_add_co_u32 v1, vcc_lo, v1, v5
	v_add_co_ci_u32_e32 v2, vcc_lo, 0, v2, vcc_lo
	s_delay_alu instid0(VALU_DEP_2) | instskip(SKIP_1) | instid1(VALU_DEP_2)
	v_add_co_u32 v1, vcc_lo, v1, 0
	s_waitcnt lgkmcnt(0)
	v_add_co_ci_u32_e32 v2, vcc_lo, v2, v3, vcc_lo
.LBB165_152:
	s_or_b32 exec_lo, exec_lo, s0
.LBB165_153:
	s_delay_alu instid0(SALU_CYCLE_1)
	s_or_b32 exec_lo, exec_lo, s1
.LBB165_154:
	v_cmp_eq_u32_e64 s0, 0, v0
.LBB165_155:
	s_branch .LBB165_201
.LBB165_156:
	s_cmp_gt_i32 s26, 1
	s_cbranch_scc0 .LBB165_165
; %bb.157:
	s_cmp_eq_u32 s26, 2
                                        ; implicit-def: $vgpr1_vgpr2
	s_cbranch_scc0 .LBB165_166
; %bb.158:
	s_mov_b32 s15, 0
	s_lshl_b32 s2, s14, 9
	s_mov_b32 s3, s15
	s_lshr_b64 s[4:5], s[18:19], 9
	s_lshl_b64 s[0:1], s[2:3], 3
	s_delay_alu instid0(SALU_CYCLE_1)
	s_add_u32 s0, s16, s0
	s_addc_u32 s1, s17, s1
	s_cmp_lg_u64 s[4:5], s[14:15]
	s_cbranch_scc0 .LBB165_167
; %bb.159:
	s_waitcnt lgkmcnt(0)
	v_lshlrev_b32_e32 v3, 3, v0
	s_mov_b32 s3, exec_lo
	s_clause 0x1
	global_load_b64 v[1:2], v3, s[0:1]
	global_load_b64 v[3:4], v3, s[0:1] offset:2048
	s_waitcnt vmcnt(0)
	v_add_co_u32 v1, vcc_lo, v3, v1
	v_add_co_ci_u32_e32 v2, vcc_lo, v4, v2, vcc_lo
	s_delay_alu instid0(VALU_DEP_2) | instskip(NEXT) | instid1(VALU_DEP_1)
	v_mov_b32_dpp v3, v1 quad_perm:[1,0,3,2] row_mask:0xf bank_mask:0xf
	v_add_co_u32 v1, vcc_lo, v1, v3
	s_delay_alu instid0(VALU_DEP_3) | instskip(SKIP_1) | instid1(VALU_DEP_3)
	v_mov_b32_dpp v3, v2 quad_perm:[1,0,3,2] row_mask:0xf bank_mask:0xf
	v_add_co_ci_u32_e32 v2, vcc_lo, 0, v2, vcc_lo
	v_mov_b32_dpp v4, v1 quad_perm:[2,3,0,1] row_mask:0xf bank_mask:0xf
	v_add_co_u32 v1, vcc_lo, 0, v1
	s_delay_alu instid0(VALU_DEP_3) | instskip(NEXT) | instid1(VALU_DEP_2)
	v_add_co_ci_u32_e32 v2, vcc_lo, v3, v2, vcc_lo
	v_add_co_u32 v1, vcc_lo, v1, v4
	s_delay_alu instid0(VALU_DEP_2) | instskip(SKIP_1) | instid1(VALU_DEP_3)
	v_mov_b32_dpp v3, v2 quad_perm:[2,3,0,1] row_mask:0xf bank_mask:0xf
	v_add_co_ci_u32_e32 v2, vcc_lo, 0, v2, vcc_lo
	v_mov_b32_dpp v4, v1 row_ror:4 row_mask:0xf bank_mask:0xf
	v_add_co_u32 v1, vcc_lo, v1, 0
	s_delay_alu instid0(VALU_DEP_3) | instskip(NEXT) | instid1(VALU_DEP_2)
	v_add_co_ci_u32_e32 v2, vcc_lo, v2, v3, vcc_lo
	v_add_co_u32 v1, vcc_lo, v1, v4
	s_delay_alu instid0(VALU_DEP_2) | instskip(SKIP_1) | instid1(VALU_DEP_3)
	v_mov_b32_dpp v3, v2 row_ror:4 row_mask:0xf bank_mask:0xf
	v_add_co_ci_u32_e32 v2, vcc_lo, 0, v2, vcc_lo
	v_mov_b32_dpp v4, v1 row_ror:8 row_mask:0xf bank_mask:0xf
	v_add_co_u32 v1, vcc_lo, v1, 0
	s_delay_alu instid0(VALU_DEP_3) | instskip(NEXT) | instid1(VALU_DEP_2)
	v_add_co_ci_u32_e32 v2, vcc_lo, v2, v3, vcc_lo
	v_add_co_u32 v1, vcc_lo, v1, v4
	s_delay_alu instid0(VALU_DEP_2)
	v_mov_b32_dpp v3, v2 row_ror:8 row_mask:0xf bank_mask:0xf
	v_add_co_ci_u32_e32 v2, vcc_lo, 0, v2, vcc_lo
	ds_swizzle_b32 v4, v1 offset:swizzle(BROADCAST,32,15)
	v_add_co_u32 v1, vcc_lo, v1, 0
	v_add_co_ci_u32_e32 v2, vcc_lo, v2, v3, vcc_lo
	ds_swizzle_b32 v3, v2 offset:swizzle(BROADCAST,32,15)
	s_waitcnt lgkmcnt(1)
	v_add_co_u32 v1, vcc_lo, v1, v4
	v_mov_b32_e32 v4, 0
	v_add_co_ci_u32_e32 v2, vcc_lo, 0, v2, vcc_lo
	ds_bpermute_b32 v1, v4, v1 offset:124
	s_waitcnt lgkmcnt(1)
	v_add_nc_u32_e32 v2, v3, v2
	v_mbcnt_lo_u32_b32 v3, -1, 0
	ds_bpermute_b32 v2, v4, v2 offset:124
	v_cmpx_eq_u32_e32 0, v3
	s_cbranch_execz .LBB165_161
; %bb.160:
	v_lshrrev_b32_e32 v4, 2, v0
	s_delay_alu instid0(VALU_DEP_1)
	v_and_b32_e32 v4, 56, v4
	s_waitcnt lgkmcnt(0)
	ds_store_b64 v4, v[1:2] offset:128
.LBB165_161:
	s_or_b32 exec_lo, exec_lo, s3
	s_delay_alu instid0(SALU_CYCLE_1)
	s_mov_b32 s3, exec_lo
	s_waitcnt lgkmcnt(0)
	s_barrier
	buffer_gl0_inv
	v_cmpx_gt_u32_e32 32, v0
	s_cbranch_execz .LBB165_163
; %bb.162:
	v_and_b32_e32 v4, 7, v3
	s_delay_alu instid0(VALU_DEP_1) | instskip(SKIP_4) | instid1(VALU_DEP_2)
	v_lshlrev_b32_e32 v1, 3, v4
	v_cmp_ne_u32_e32 vcc_lo, 7, v4
	ds_load_b64 v[1:2], v1 offset:128
	v_add_co_ci_u32_e32 v5, vcc_lo, 0, v3, vcc_lo
	v_cmp_gt_u32_e32 vcc_lo, 6, v4
	v_lshlrev_b32_e32 v5, 2, v5
	v_cndmask_b32_e64 v7, 0, 1, vcc_lo
	s_delay_alu instid0(VALU_DEP_1) | instskip(NEXT) | instid1(VALU_DEP_1)
	v_lshlrev_b32_e32 v7, 1, v7
	v_add_lshl_u32 v7, v7, v3, 2
	s_waitcnt lgkmcnt(0)
	ds_bpermute_b32 v6, v5, v1
	ds_bpermute_b32 v5, v5, v2
	s_waitcnt lgkmcnt(1)
	v_add_co_u32 v1, vcc_lo, v1, v6
	v_add_co_ci_u32_e32 v2, vcc_lo, 0, v2, vcc_lo
	ds_bpermute_b32 v6, v7, v1
	v_add_co_u32 v1, vcc_lo, 0, v1
	s_waitcnt lgkmcnt(1)
	v_add_co_ci_u32_e32 v2, vcc_lo, v5, v2, vcc_lo
	v_cmp_gt_u32_e32 vcc_lo, 4, v4
	ds_bpermute_b32 v5, v7, v2
	v_cndmask_b32_e64 v4, 0, 1, vcc_lo
	s_delay_alu instid0(VALU_DEP_1) | instskip(NEXT) | instid1(VALU_DEP_1)
	v_lshlrev_b32_e32 v4, 2, v4
	v_add_lshl_u32 v3, v4, v3, 2
	s_waitcnt lgkmcnt(1)
	v_add_co_u32 v1, vcc_lo, v1, v6
	v_add_co_ci_u32_e32 v2, vcc_lo, 0, v2, vcc_lo
	ds_bpermute_b32 v4, v3, v1
	v_add_co_u32 v1, vcc_lo, v1, 0
	s_waitcnt lgkmcnt(1)
	v_add_co_ci_u32_e32 v2, vcc_lo, v2, v5, vcc_lo
	ds_bpermute_b32 v3, v3, v2
	s_waitcnt lgkmcnt(1)
	v_add_co_u32 v1, vcc_lo, v1, v4
	v_add_co_ci_u32_e32 v2, vcc_lo, 0, v2, vcc_lo
	s_delay_alu instid0(VALU_DEP_2) | instskip(SKIP_1) | instid1(VALU_DEP_2)
	v_add_co_u32 v1, vcc_lo, v1, 0
	s_waitcnt lgkmcnt(0)
	v_add_co_ci_u32_e32 v2, vcc_lo, v2, v3, vcc_lo
.LBB165_163:
	s_or_b32 exec_lo, exec_lo, s3
.LBB165_164:
	v_cmp_eq_u32_e64 s0, 0, v0
	s_branch .LBB165_201
.LBB165_165:
                                        ; implicit-def: $vgpr1_vgpr2
	s_cbranch_execnz .LBB165_193
	s_branch .LBB165_201
.LBB165_166:
	s_branch .LBB165_201
.LBB165_167:
                                        ; implicit-def: $vgpr1_vgpr2
	s_cbranch_execz .LBB165_164
; %bb.168:
	s_sub_i32 s2, s18, s2
	s_mov_b32 s3, exec_lo
                                        ; implicit-def: $vgpr1_vgpr2_vgpr3_vgpr4
	v_cmpx_gt_u32_e64 s2, v0
	s_cbranch_execz .LBB165_170
; %bb.169:
	v_lshlrev_b32_e32 v1, 3, v0
	global_load_b64 v[1:2], v1, s[0:1]
.LBB165_170:
	s_or_b32 exec_lo, exec_lo, s3
	s_waitcnt lgkmcnt(1)
	v_or_b32_e32 v5, 0x100, v0
	s_delay_alu instid0(VALU_DEP_1)
	v_cmp_gt_u32_e32 vcc_lo, s2, v5
	s_and_saveexec_b32 s3, vcc_lo
	s_cbranch_execz .LBB165_172
; %bb.171:
	s_waitcnt lgkmcnt(0)
	v_lshlrev_b32_e32 v3, 3, v0
	global_load_b64 v[3:4], v3, s[0:1] offset:2048
.LBB165_172:
	s_or_b32 exec_lo, exec_lo, s3
	v_mbcnt_lo_u32_b32 v5, -1, 0
	s_waitcnt vmcnt(0) lgkmcnt(0)
	v_dual_cndmask_b32 v3, 0, v3 :: v_dual_cndmask_b32 v4, 0, v4
	s_delay_alu instid0(VALU_DEP_2) | instskip(NEXT) | instid1(VALU_DEP_2)
	v_cmp_ne_u32_e64 s0, 31, v5
	v_add_co_u32 v1, vcc_lo, v3, v1
	s_delay_alu instid0(VALU_DEP_3) | instskip(NEXT) | instid1(VALU_DEP_3)
	v_add_co_ci_u32_e32 v2, vcc_lo, v4, v2, vcc_lo
	v_add_co_ci_u32_e64 v6, s0, 0, v5, s0
	v_and_b32_e32 v3, 0xe0, v0
	s_min_u32 s0, s2, 0x100
	v_add_nc_u32_e32 v4, 1, v5
	s_delay_alu instid0(VALU_DEP_3) | instskip(NEXT) | instid1(VALU_DEP_3)
	v_lshlrev_b32_e32 v6, 2, v6
	v_sub_nc_u32_e64 v3, s0, v3 clamp
	ds_bpermute_b32 v7, v6, v1
	ds_bpermute_b32 v6, v6, v2
	v_cmp_lt_u32_e32 vcc_lo, v4, v3
	v_mov_b32_e32 v4, v1
	s_and_saveexec_b32 s1, vcc_lo
	s_cbranch_execz .LBB165_174
; %bb.173:
	s_waitcnt lgkmcnt(1)
	v_add_co_u32 v4, vcc_lo, v1, v7
	v_add_co_ci_u32_e32 v2, vcc_lo, 0, v2, vcc_lo
	s_delay_alu instid0(VALU_DEP_2) | instskip(SKIP_1) | instid1(VALU_DEP_2)
	v_add_co_u32 v1, vcc_lo, 0, v4
	s_waitcnt lgkmcnt(0)
	v_add_co_ci_u32_e32 v2, vcc_lo, v6, v2, vcc_lo
.LBB165_174:
	s_or_b32 exec_lo, exec_lo, s1
	v_cmp_gt_u32_e32 vcc_lo, 30, v5
	v_add_nc_u32_e32 v8, 2, v5
	s_mov_b32 s1, exec_lo
	s_waitcnt lgkmcnt(0)
	v_cndmask_b32_e64 v6, 0, 1, vcc_lo
	s_delay_alu instid0(VALU_DEP_1) | instskip(NEXT) | instid1(VALU_DEP_1)
	v_lshlrev_b32_e32 v6, 1, v6
	v_add_lshl_u32 v6, v6, v5, 2
	ds_bpermute_b32 v7, v6, v4
	ds_bpermute_b32 v6, v6, v2
	v_cmpx_lt_u32_e64 v8, v3
	s_cbranch_execz .LBB165_176
; %bb.175:
	s_waitcnt lgkmcnt(1)
	v_add_co_u32 v4, vcc_lo, v1, v7
	v_add_co_ci_u32_e32 v2, vcc_lo, 0, v2, vcc_lo
	s_delay_alu instid0(VALU_DEP_2) | instskip(SKIP_1) | instid1(VALU_DEP_2)
	v_add_co_u32 v1, vcc_lo, 0, v4
	s_waitcnt lgkmcnt(0)
	v_add_co_ci_u32_e32 v2, vcc_lo, v6, v2, vcc_lo
.LBB165_176:
	s_or_b32 exec_lo, exec_lo, s1
	v_cmp_gt_u32_e32 vcc_lo, 28, v5
	v_add_nc_u32_e32 v8, 4, v5
	s_mov_b32 s1, exec_lo
	s_waitcnt lgkmcnt(0)
	v_cndmask_b32_e64 v6, 0, 1, vcc_lo
	s_delay_alu instid0(VALU_DEP_1) | instskip(NEXT) | instid1(VALU_DEP_1)
	v_lshlrev_b32_e32 v6, 2, v6
	v_add_lshl_u32 v6, v6, v5, 2
	ds_bpermute_b32 v7, v6, v4
	ds_bpermute_b32 v6, v6, v2
	v_cmpx_lt_u32_e64 v8, v3
	;; [unrolled: 22-line block ×3, first 2 shown]
	s_cbranch_execz .LBB165_180
; %bb.179:
	s_waitcnt lgkmcnt(1)
	v_add_co_u32 v4, vcc_lo, v1, v7
	v_add_co_ci_u32_e32 v2, vcc_lo, 0, v2, vcc_lo
	s_delay_alu instid0(VALU_DEP_2) | instskip(SKIP_1) | instid1(VALU_DEP_2)
	v_add_co_u32 v1, vcc_lo, 0, v4
	s_waitcnt lgkmcnt(0)
	v_add_co_ci_u32_e32 v2, vcc_lo, v6, v2, vcc_lo
.LBB165_180:
	s_or_b32 exec_lo, exec_lo, s1
	v_cmp_gt_u32_e32 vcc_lo, 16, v5
	s_mov_b32 s1, exec_lo
	s_waitcnt lgkmcnt(0)
	v_cndmask_b32_e64 v6, 0, 1, vcc_lo
	s_delay_alu instid0(VALU_DEP_1) | instskip(NEXT) | instid1(VALU_DEP_1)
	v_lshlrev_b32_e32 v6, 4, v6
	v_add_lshl_u32 v7, v6, v5, 2
	ds_bpermute_b32 v6, v7, v4
	ds_bpermute_b32 v4, v7, v2
	v_add_nc_u32_e32 v7, 16, v5
	s_delay_alu instid0(VALU_DEP_1)
	v_cmpx_lt_u32_e64 v7, v3
	s_cbranch_execz .LBB165_182
; %bb.181:
	s_waitcnt lgkmcnt(1)
	v_add_co_u32 v1, vcc_lo, v1, v6
	v_add_co_ci_u32_e32 v2, vcc_lo, 0, v2, vcc_lo
	s_delay_alu instid0(VALU_DEP_2) | instskip(SKIP_1) | instid1(VALU_DEP_2)
	v_add_co_u32 v1, vcc_lo, v1, 0
	s_waitcnt lgkmcnt(0)
	v_add_co_ci_u32_e32 v2, vcc_lo, v2, v4, vcc_lo
.LBB165_182:
	s_or_b32 exec_lo, exec_lo, s1
	s_delay_alu instid0(SALU_CYCLE_1)
	s_mov_b32 s1, exec_lo
	v_cmpx_eq_u32_e32 0, v5
	s_cbranch_execz .LBB165_184
; %bb.183:
	v_lshrrev_b32_e32 v3, 2, v0
	s_delay_alu instid0(VALU_DEP_1)
	v_and_b32_e32 v3, 56, v3
	ds_store_b64 v3, v[1:2] offset:320
.LBB165_184:
	s_or_b32 exec_lo, exec_lo, s1
	s_delay_alu instid0(SALU_CYCLE_1)
	s_mov_b32 s1, exec_lo
	s_waitcnt lgkmcnt(0)
	s_barrier
	buffer_gl0_inv
	v_cmpx_gt_u32_e32 8, v0
	s_cbranch_execz .LBB165_192
; %bb.185:
	v_lshlrev_b32_e32 v1, 3, v5
	s_add_i32 s0, s0, 31
	s_delay_alu instid0(SALU_CYCLE_1) | instskip(SKIP_2) | instid1(VALU_DEP_1)
	s_lshr_b32 s0, s0, 5
	ds_load_b64 v[1:2], v1 offset:320
	v_and_b32_e32 v3, 7, v5
	v_cmp_ne_u32_e32 vcc_lo, 7, v3
	v_add_co_ci_u32_e32 v4, vcc_lo, 0, v5, vcc_lo
	s_delay_alu instid0(VALU_DEP_1) | instskip(SKIP_4) | instid1(VALU_DEP_1)
	v_lshlrev_b32_e32 v4, 2, v4
	s_waitcnt lgkmcnt(0)
	ds_bpermute_b32 v7, v4, v1
	ds_bpermute_b32 v6, v4, v2
	v_add_nc_u32_e32 v4, 1, v3
	v_cmp_gt_u32_e32 vcc_lo, s0, v4
	v_mov_b32_e32 v4, v1
	s_and_saveexec_b32 s2, vcc_lo
	s_cbranch_execz .LBB165_187
; %bb.186:
	s_waitcnt lgkmcnt(1)
	v_add_co_u32 v4, vcc_lo, v1, v7
	v_add_co_ci_u32_e32 v2, vcc_lo, 0, v2, vcc_lo
	s_delay_alu instid0(VALU_DEP_2) | instskip(SKIP_1) | instid1(VALU_DEP_2)
	v_add_co_u32 v1, vcc_lo, 0, v4
	s_waitcnt lgkmcnt(0)
	v_add_co_ci_u32_e32 v2, vcc_lo, v6, v2, vcc_lo
.LBB165_187:
	s_or_b32 exec_lo, exec_lo, s2
	v_cmp_gt_u32_e32 vcc_lo, 6, v3
	v_add_nc_u32_e32 v8, 2, v3
	s_mov_b32 s2, exec_lo
	s_waitcnt lgkmcnt(0)
	v_cndmask_b32_e64 v6, 0, 1, vcc_lo
	s_delay_alu instid0(VALU_DEP_1) | instskip(NEXT) | instid1(VALU_DEP_1)
	v_lshlrev_b32_e32 v6, 1, v6
	v_add_lshl_u32 v6, v6, v5, 2
	ds_bpermute_b32 v7, v6, v4
	ds_bpermute_b32 v6, v6, v2
	v_cmpx_gt_u32_e64 s0, v8
	s_cbranch_execz .LBB165_189
; %bb.188:
	s_waitcnt lgkmcnt(1)
	v_add_co_u32 v4, vcc_lo, v1, v7
	v_add_co_ci_u32_e32 v2, vcc_lo, 0, v2, vcc_lo
	s_delay_alu instid0(VALU_DEP_2) | instskip(SKIP_1) | instid1(VALU_DEP_2)
	v_add_co_u32 v1, vcc_lo, 0, v4
	s_waitcnt lgkmcnt(0)
	v_add_co_ci_u32_e32 v2, vcc_lo, v6, v2, vcc_lo
.LBB165_189:
	s_or_b32 exec_lo, exec_lo, s2
	v_cmp_gt_u32_e32 vcc_lo, 4, v3
	v_add_nc_u32_e32 v3, 4, v3
	s_waitcnt lgkmcnt(0)
	v_cndmask_b32_e64 v6, 0, 1, vcc_lo
	s_delay_alu instid0(VALU_DEP_2) | instskip(NEXT) | instid1(VALU_DEP_2)
	v_cmp_gt_u32_e32 vcc_lo, s0, v3
	v_lshlrev_b32_e32 v6, 2, v6
	s_delay_alu instid0(VALU_DEP_1)
	v_add_lshl_u32 v6, v6, v5, 2
	ds_bpermute_b32 v5, v6, v4
	ds_bpermute_b32 v4, v6, v2
	s_and_saveexec_b32 s0, vcc_lo
	s_cbranch_execz .LBB165_191
; %bb.190:
	s_waitcnt lgkmcnt(1)
	v_add_co_u32 v1, vcc_lo, v1, v5
	v_add_co_ci_u32_e32 v2, vcc_lo, 0, v2, vcc_lo
	s_delay_alu instid0(VALU_DEP_2) | instskip(SKIP_1) | instid1(VALU_DEP_2)
	v_add_co_u32 v1, vcc_lo, v1, 0
	s_waitcnt lgkmcnt(0)
	v_add_co_ci_u32_e32 v2, vcc_lo, v2, v4, vcc_lo
.LBB165_191:
	s_or_b32 exec_lo, exec_lo, s0
.LBB165_192:
	s_delay_alu instid0(SALU_CYCLE_1)
	s_or_b32 exec_lo, exec_lo, s1
	v_cmp_eq_u32_e64 s0, 0, v0
	s_branch .LBB165_201
.LBB165_193:
	s_cmp_eq_u32 s26, 1
                                        ; implicit-def: $vgpr1_vgpr2
	s_cbranch_scc0 .LBB165_201
; %bb.194:
	s_mov_b32 s1, 0
	s_waitcnt lgkmcnt(0)
	v_mbcnt_lo_u32_b32 v3, -1, 0
	s_lshr_b64 s[2:3], s[18:19], 8
	s_mov_b32 s15, s1
	s_lshl_b32 s0, s14, 8
	s_cmp_lg_u64 s[2:3], s[14:15]
	s_cbranch_scc0 .LBB165_204
; %bb.195:
	s_lshl_b64 s[2:3], s[0:1], 3
	v_lshlrev_b32_e32 v1, 3, v0
	s_add_u32 s2, s16, s2
	s_addc_u32 s3, s17, s3
	global_load_b64 v[1:2], v1, s[2:3]
	s_mov_b32 s2, exec_lo
	s_waitcnt vmcnt(0)
	v_mov_b32_dpp v4, v1 quad_perm:[1,0,3,2] row_mask:0xf bank_mask:0xf
	s_delay_alu instid0(VALU_DEP_1) | instskip(SKIP_2) | instid1(VALU_DEP_3)
	v_add_co_u32 v1, vcc_lo, v1, v4
	v_mov_b32_dpp v4, v2 quad_perm:[1,0,3,2] row_mask:0xf bank_mask:0xf
	v_add_co_ci_u32_e32 v2, vcc_lo, 0, v2, vcc_lo
	v_mov_b32_dpp v5, v1 quad_perm:[2,3,0,1] row_mask:0xf bank_mask:0xf
	v_add_co_u32 v1, vcc_lo, 0, v1
	s_delay_alu instid0(VALU_DEP_3) | instskip(NEXT) | instid1(VALU_DEP_2)
	v_add_co_ci_u32_e32 v2, vcc_lo, v4, v2, vcc_lo
	v_add_co_u32 v1, vcc_lo, v1, v5
	s_delay_alu instid0(VALU_DEP_2) | instskip(SKIP_1) | instid1(VALU_DEP_3)
	v_mov_b32_dpp v4, v2 quad_perm:[2,3,0,1] row_mask:0xf bank_mask:0xf
	v_add_co_ci_u32_e32 v2, vcc_lo, 0, v2, vcc_lo
	v_mov_b32_dpp v5, v1 row_ror:4 row_mask:0xf bank_mask:0xf
	v_add_co_u32 v1, vcc_lo, v1, 0
	s_delay_alu instid0(VALU_DEP_3) | instskip(NEXT) | instid1(VALU_DEP_2)
	v_add_co_ci_u32_e32 v2, vcc_lo, v2, v4, vcc_lo
	v_add_co_u32 v1, vcc_lo, v1, v5
	s_delay_alu instid0(VALU_DEP_2) | instskip(SKIP_1) | instid1(VALU_DEP_3)
	v_mov_b32_dpp v4, v2 row_ror:4 row_mask:0xf bank_mask:0xf
	v_add_co_ci_u32_e32 v2, vcc_lo, 0, v2, vcc_lo
	v_mov_b32_dpp v5, v1 row_ror:8 row_mask:0xf bank_mask:0xf
	v_add_co_u32 v1, vcc_lo, v1, 0
	s_delay_alu instid0(VALU_DEP_3) | instskip(NEXT) | instid1(VALU_DEP_2)
	v_add_co_ci_u32_e32 v2, vcc_lo, v2, v4, vcc_lo
	v_add_co_u32 v1, vcc_lo, v1, v5
	s_delay_alu instid0(VALU_DEP_2)
	v_mov_b32_dpp v4, v2 row_ror:8 row_mask:0xf bank_mask:0xf
	v_add_co_ci_u32_e32 v2, vcc_lo, 0, v2, vcc_lo
	ds_swizzle_b32 v5, v1 offset:swizzle(BROADCAST,32,15)
	v_add_co_u32 v1, vcc_lo, v1, 0
	v_add_co_ci_u32_e32 v2, vcc_lo, v2, v4, vcc_lo
	ds_swizzle_b32 v4, v2 offset:swizzle(BROADCAST,32,15)
	s_waitcnt lgkmcnt(1)
	v_add_co_u32 v1, vcc_lo, v1, v5
	v_add_co_ci_u32_e32 v2, vcc_lo, 0, v2, vcc_lo
	s_waitcnt lgkmcnt(0)
	s_delay_alu instid0(VALU_DEP_1)
	v_dual_mov_b32 v5, 0 :: v_dual_add_nc_u32 v2, v4, v2
	ds_bpermute_b32 v1, v5, v1 offset:124
	ds_bpermute_b32 v2, v5, v2 offset:124
	v_cmpx_eq_u32_e32 0, v3
	s_cbranch_execz .LBB165_197
; %bb.196:
	v_lshrrev_b32_e32 v4, 2, v0
	s_delay_alu instid0(VALU_DEP_1)
	v_and_b32_e32 v4, 56, v4
	s_waitcnt lgkmcnt(0)
	ds_store_b64 v4, v[1:2] offset:64
.LBB165_197:
	s_or_b32 exec_lo, exec_lo, s2
	s_delay_alu instid0(SALU_CYCLE_1)
	s_mov_b32 s2, exec_lo
	s_waitcnt lgkmcnt(0)
	s_barrier
	buffer_gl0_inv
	v_cmpx_gt_u32_e32 32, v0
	s_cbranch_execz .LBB165_199
; %bb.198:
	v_and_b32_e32 v4, 7, v3
	s_delay_alu instid0(VALU_DEP_1) | instskip(SKIP_4) | instid1(VALU_DEP_2)
	v_lshlrev_b32_e32 v1, 3, v4
	v_cmp_ne_u32_e32 vcc_lo, 7, v4
	ds_load_b64 v[1:2], v1 offset:64
	v_add_co_ci_u32_e32 v5, vcc_lo, 0, v3, vcc_lo
	v_cmp_gt_u32_e32 vcc_lo, 6, v4
	v_lshlrev_b32_e32 v5, 2, v5
	v_cndmask_b32_e64 v7, 0, 1, vcc_lo
	s_delay_alu instid0(VALU_DEP_1) | instskip(NEXT) | instid1(VALU_DEP_1)
	v_lshlrev_b32_e32 v7, 1, v7
	v_add_lshl_u32 v7, v7, v3, 2
	s_waitcnt lgkmcnt(0)
	ds_bpermute_b32 v6, v5, v1
	ds_bpermute_b32 v5, v5, v2
	s_waitcnt lgkmcnt(1)
	v_add_co_u32 v1, vcc_lo, v1, v6
	v_add_co_ci_u32_e32 v2, vcc_lo, 0, v2, vcc_lo
	ds_bpermute_b32 v6, v7, v1
	v_add_co_u32 v1, vcc_lo, 0, v1
	s_waitcnt lgkmcnt(1)
	v_add_co_ci_u32_e32 v2, vcc_lo, v5, v2, vcc_lo
	v_cmp_gt_u32_e32 vcc_lo, 4, v4
	ds_bpermute_b32 v5, v7, v2
	v_cndmask_b32_e64 v4, 0, 1, vcc_lo
	s_delay_alu instid0(VALU_DEP_1) | instskip(NEXT) | instid1(VALU_DEP_1)
	v_lshlrev_b32_e32 v4, 2, v4
	v_add_lshl_u32 v4, v4, v3, 2
	s_waitcnt lgkmcnt(1)
	v_add_co_u32 v1, vcc_lo, v1, v6
	v_add_co_ci_u32_e32 v2, vcc_lo, 0, v2, vcc_lo
	ds_bpermute_b32 v6, v4, v1
	v_add_co_u32 v1, vcc_lo, v1, 0
	s_waitcnt lgkmcnt(1)
	v_add_co_ci_u32_e32 v2, vcc_lo, v2, v5, vcc_lo
	ds_bpermute_b32 v4, v4, v2
	s_waitcnt lgkmcnt(1)
	v_add_co_u32 v1, vcc_lo, v1, v6
	v_add_co_ci_u32_e32 v2, vcc_lo, 0, v2, vcc_lo
	s_delay_alu instid0(VALU_DEP_2) | instskip(SKIP_1) | instid1(VALU_DEP_2)
	v_add_co_u32 v1, vcc_lo, v1, 0
	s_waitcnt lgkmcnt(0)
	v_add_co_ci_u32_e32 v2, vcc_lo, v2, v4, vcc_lo
.LBB165_199:
	s_or_b32 exec_lo, exec_lo, s2
.LBB165_200:
	v_cmp_eq_u32_e64 s0, 0, v0
.LBB165_201:
	s_delay_alu instid0(VALU_DEP_1)
	s_and_saveexec_b32 s1, s0
	s_cbranch_execz .LBB165_203
.LBB165_202:
	s_lshl_b64 s[0:1], s[14:15], 3
	s_waitcnt lgkmcnt(0)
	v_mov_b32_e32 v3, 0
	s_add_u32 s0, s20, s0
	s_addc_u32 s1, s21, s1
	s_cmp_lg_u64 s[18:19], 0
	s_cselect_b32 vcc_lo, -1, 0
	v_cndmask_b32_e32 v0, 0, v1, vcc_lo
	v_cndmask_b32_e32 v2, 0, v2, vcc_lo
	s_delay_alu instid0(VALU_DEP_2) | instskip(NEXT) | instid1(VALU_DEP_2)
	v_add_co_u32 v0, vcc_lo, v0, s22
	v_add_co_ci_u32_e32 v1, vcc_lo, s23, v2, vcc_lo
	global_store_b64 v3, v[0:1], s[0:1]
.LBB165_203:
	s_nop 0
	s_sendmsg sendmsg(MSG_DEALLOC_VGPRS)
	s_endpgm
.LBB165_204:
                                        ; implicit-def: $vgpr1_vgpr2
	s_cbranch_execz .LBB165_200
; %bb.205:
	s_sub_i32 s2, s18, s0
	s_mov_b32 s3, exec_lo
                                        ; implicit-def: $vgpr1_vgpr2
	v_cmpx_gt_u32_e64 s2, v0
	s_cbranch_execz .LBB165_207
; %bb.206:
	s_lshl_b64 s[0:1], s[0:1], 3
	v_lshlrev_b32_e32 v1, 3, v0
	s_add_u32 s0, s16, s0
	s_addc_u32 s1, s17, s1
	global_load_b64 v[1:2], v1, s[0:1]
.LBB165_207:
	s_or_b32 exec_lo, exec_lo, s3
	v_cmp_ne_u32_e32 vcc_lo, 31, v3
	s_min_u32 s0, s2, 0x100
	v_add_nc_u32_e32 v5, 1, v3
	v_add_co_ci_u32_e32 v4, vcc_lo, 0, v3, vcc_lo
	s_delay_alu instid0(VALU_DEP_1) | instskip(SKIP_4) | instid1(VALU_DEP_1)
	v_lshlrev_b32_e32 v4, 2, v4
	s_waitcnt vmcnt(0)
	ds_bpermute_b32 v7, v4, v1
	ds_bpermute_b32 v6, v4, v2
	v_and_b32_e32 v4, 0xe0, v0
	v_sub_nc_u32_e64 v4, s0, v4 clamp
	s_delay_alu instid0(VALU_DEP_1)
	v_cmp_lt_u32_e32 vcc_lo, v5, v4
	v_mov_b32_e32 v5, v1
	s_and_saveexec_b32 s1, vcc_lo
	s_cbranch_execz .LBB165_209
; %bb.208:
	s_waitcnt lgkmcnt(1)
	v_add_co_u32 v5, vcc_lo, v1, v7
	v_add_co_ci_u32_e32 v2, vcc_lo, 0, v2, vcc_lo
	s_delay_alu instid0(VALU_DEP_2) | instskip(SKIP_1) | instid1(VALU_DEP_2)
	v_add_co_u32 v1, vcc_lo, 0, v5
	s_waitcnt lgkmcnt(0)
	v_add_co_ci_u32_e32 v2, vcc_lo, v6, v2, vcc_lo
.LBB165_209:
	s_or_b32 exec_lo, exec_lo, s1
	v_cmp_gt_u32_e32 vcc_lo, 30, v3
	v_add_nc_u32_e32 v8, 2, v3
	s_mov_b32 s1, exec_lo
	s_waitcnt lgkmcnt(0)
	v_cndmask_b32_e64 v6, 0, 1, vcc_lo
	s_delay_alu instid0(VALU_DEP_1) | instskip(NEXT) | instid1(VALU_DEP_1)
	v_lshlrev_b32_e32 v6, 1, v6
	v_add_lshl_u32 v6, v6, v3, 2
	ds_bpermute_b32 v7, v6, v5
	ds_bpermute_b32 v6, v6, v2
	v_cmpx_lt_u32_e64 v8, v4
	s_cbranch_execz .LBB165_211
; %bb.210:
	s_waitcnt lgkmcnt(1)
	v_add_co_u32 v5, vcc_lo, v1, v7
	v_add_co_ci_u32_e32 v2, vcc_lo, 0, v2, vcc_lo
	s_delay_alu instid0(VALU_DEP_2) | instskip(SKIP_1) | instid1(VALU_DEP_2)
	v_add_co_u32 v1, vcc_lo, 0, v5
	s_waitcnt lgkmcnt(0)
	v_add_co_ci_u32_e32 v2, vcc_lo, v6, v2, vcc_lo
.LBB165_211:
	s_or_b32 exec_lo, exec_lo, s1
	v_cmp_gt_u32_e32 vcc_lo, 28, v3
	v_add_nc_u32_e32 v8, 4, v3
	s_mov_b32 s1, exec_lo
	s_waitcnt lgkmcnt(0)
	v_cndmask_b32_e64 v6, 0, 1, vcc_lo
	s_delay_alu instid0(VALU_DEP_1) | instskip(NEXT) | instid1(VALU_DEP_1)
	v_lshlrev_b32_e32 v6, 2, v6
	v_add_lshl_u32 v6, v6, v3, 2
	ds_bpermute_b32 v7, v6, v5
	ds_bpermute_b32 v6, v6, v2
	v_cmpx_lt_u32_e64 v8, v4
	;; [unrolled: 22-line block ×3, first 2 shown]
	s_cbranch_execz .LBB165_215
; %bb.214:
	s_waitcnt lgkmcnt(1)
	v_add_co_u32 v5, vcc_lo, v1, v7
	v_add_co_ci_u32_e32 v2, vcc_lo, 0, v2, vcc_lo
	s_delay_alu instid0(VALU_DEP_2) | instskip(SKIP_1) | instid1(VALU_DEP_2)
	v_add_co_u32 v1, vcc_lo, 0, v5
	s_waitcnt lgkmcnt(0)
	v_add_co_ci_u32_e32 v2, vcc_lo, v6, v2, vcc_lo
.LBB165_215:
	s_or_b32 exec_lo, exec_lo, s1
	v_cmp_gt_u32_e32 vcc_lo, 16, v3
	s_mov_b32 s1, exec_lo
	s_waitcnt lgkmcnt(0)
	v_cndmask_b32_e64 v6, 0, 1, vcc_lo
	s_delay_alu instid0(VALU_DEP_1) | instskip(NEXT) | instid1(VALU_DEP_1)
	v_lshlrev_b32_e32 v6, 4, v6
	v_add_lshl_u32 v7, v6, v3, 2
	ds_bpermute_b32 v6, v7, v5
	ds_bpermute_b32 v5, v7, v2
	v_add_nc_u32_e32 v7, 16, v3
	s_delay_alu instid0(VALU_DEP_1)
	v_cmpx_lt_u32_e64 v7, v4
	s_cbranch_execz .LBB165_217
; %bb.216:
	s_waitcnt lgkmcnt(1)
	v_add_co_u32 v1, vcc_lo, v1, v6
	v_add_co_ci_u32_e32 v2, vcc_lo, 0, v2, vcc_lo
	s_delay_alu instid0(VALU_DEP_2) | instskip(SKIP_1) | instid1(VALU_DEP_2)
	v_add_co_u32 v1, vcc_lo, v1, 0
	s_waitcnt lgkmcnt(0)
	v_add_co_ci_u32_e32 v2, vcc_lo, v2, v5, vcc_lo
.LBB165_217:
	s_or_b32 exec_lo, exec_lo, s1
	s_delay_alu instid0(SALU_CYCLE_1)
	s_mov_b32 s1, exec_lo
	v_cmpx_eq_u32_e32 0, v3
	s_cbranch_execz .LBB165_219
; %bb.218:
	v_lshrrev_b32_e32 v4, 2, v0
	s_delay_alu instid0(VALU_DEP_1)
	v_and_b32_e32 v4, 56, v4
	ds_store_b64 v4, v[1:2] offset:320
.LBB165_219:
	s_or_b32 exec_lo, exec_lo, s1
	s_delay_alu instid0(SALU_CYCLE_1)
	s_mov_b32 s1, exec_lo
	s_waitcnt lgkmcnt(0)
	s_barrier
	buffer_gl0_inv
	v_cmpx_gt_u32_e32 8, v0
	s_cbranch_execz .LBB165_227
; %bb.220:
	v_lshlrev_b32_e32 v1, 3, v3
	s_add_i32 s0, s0, 31
	s_delay_alu instid0(SALU_CYCLE_1) | instskip(SKIP_2) | instid1(VALU_DEP_1)
	s_lshr_b32 s0, s0, 5
	ds_load_b64 v[1:2], v1 offset:320
	v_and_b32_e32 v4, 7, v3
	v_cmp_ne_u32_e32 vcc_lo, 7, v4
	v_add_co_ci_u32_e32 v5, vcc_lo, 0, v3, vcc_lo
	s_delay_alu instid0(VALU_DEP_1) | instskip(SKIP_4) | instid1(VALU_DEP_1)
	v_lshlrev_b32_e32 v5, 2, v5
	s_waitcnt lgkmcnt(0)
	ds_bpermute_b32 v7, v5, v1
	ds_bpermute_b32 v6, v5, v2
	v_add_nc_u32_e32 v5, 1, v4
	v_cmp_gt_u32_e32 vcc_lo, s0, v5
	v_mov_b32_e32 v5, v1
	s_and_saveexec_b32 s2, vcc_lo
	s_cbranch_execz .LBB165_222
; %bb.221:
	s_waitcnt lgkmcnt(1)
	v_add_co_u32 v5, vcc_lo, v1, v7
	v_add_co_ci_u32_e32 v2, vcc_lo, 0, v2, vcc_lo
	s_delay_alu instid0(VALU_DEP_2) | instskip(SKIP_1) | instid1(VALU_DEP_2)
	v_add_co_u32 v1, vcc_lo, 0, v5
	s_waitcnt lgkmcnt(0)
	v_add_co_ci_u32_e32 v2, vcc_lo, v6, v2, vcc_lo
.LBB165_222:
	s_or_b32 exec_lo, exec_lo, s2
	v_cmp_gt_u32_e32 vcc_lo, 6, v4
	v_add_nc_u32_e32 v8, 2, v4
	s_mov_b32 s2, exec_lo
	s_waitcnt lgkmcnt(0)
	v_cndmask_b32_e64 v6, 0, 1, vcc_lo
	s_delay_alu instid0(VALU_DEP_1) | instskip(NEXT) | instid1(VALU_DEP_1)
	v_lshlrev_b32_e32 v6, 1, v6
	v_add_lshl_u32 v6, v6, v3, 2
	ds_bpermute_b32 v7, v6, v5
	ds_bpermute_b32 v6, v6, v2
	v_cmpx_gt_u32_e64 s0, v8
	s_cbranch_execz .LBB165_224
; %bb.223:
	s_waitcnt lgkmcnt(1)
	v_add_co_u32 v5, vcc_lo, v1, v7
	v_add_co_ci_u32_e32 v2, vcc_lo, 0, v2, vcc_lo
	s_delay_alu instid0(VALU_DEP_2) | instskip(SKIP_1) | instid1(VALU_DEP_2)
	v_add_co_u32 v1, vcc_lo, 0, v5
	s_waitcnt lgkmcnt(0)
	v_add_co_ci_u32_e32 v2, vcc_lo, v6, v2, vcc_lo
.LBB165_224:
	s_or_b32 exec_lo, exec_lo, s2
	v_cmp_gt_u32_e32 vcc_lo, 4, v4
	v_add_nc_u32_e32 v4, 4, v4
	s_waitcnt lgkmcnt(0)
	v_cndmask_b32_e64 v6, 0, 1, vcc_lo
	s_delay_alu instid0(VALU_DEP_2) | instskip(NEXT) | instid1(VALU_DEP_2)
	v_cmp_gt_u32_e32 vcc_lo, s0, v4
	v_lshlrev_b32_e32 v6, 2, v6
	s_delay_alu instid0(VALU_DEP_1)
	v_add_lshl_u32 v3, v6, v3, 2
	ds_bpermute_b32 v5, v3, v5
	ds_bpermute_b32 v3, v3, v2
	s_and_saveexec_b32 s0, vcc_lo
	s_cbranch_execz .LBB165_226
; %bb.225:
	s_waitcnt lgkmcnt(1)
	v_add_co_u32 v1, vcc_lo, v1, v5
	v_add_co_ci_u32_e32 v2, vcc_lo, 0, v2, vcc_lo
	s_delay_alu instid0(VALU_DEP_2) | instskip(SKIP_1) | instid1(VALU_DEP_2)
	v_add_co_u32 v1, vcc_lo, v1, 0
	s_waitcnt lgkmcnt(0)
	v_add_co_ci_u32_e32 v2, vcc_lo, v2, v3, vcc_lo
.LBB165_226:
	s_or_b32 exec_lo, exec_lo, s0
.LBB165_227:
	s_delay_alu instid0(SALU_CYCLE_1) | instskip(SKIP_1) | instid1(VALU_DEP_1)
	s_or_b32 exec_lo, exec_lo, s1
	v_cmp_eq_u32_e64 s0, 0, v0
	s_and_saveexec_b32 s1, s0
	s_cbranch_execnz .LBB165_202
	s_branch .LBB165_203
	.section	.rodata,"a",@progbits
	.p2align	6, 0x0
	.amdhsa_kernel _ZN7rocprim17ROCPRIM_400000_NS6detail17trampoline_kernelINS0_14default_configENS1_22reduce_config_selectorIlEEZNS1_11reduce_implILb1ES3_PlS7_lN6hipcub16HIPCUB_304000_NS6detail34convert_binary_result_type_wrapperINS9_3SumENS9_22TransformInputIteratorIb7NonZeroIiEPilEElEEEE10hipError_tPvRmT1_T2_T3_mT4_P12ihipStream_tbEUlT_E1_NS1_11comp_targetILNS1_3genE9ELNS1_11target_archE1100ELNS1_3gpuE3ELNS1_3repE0EEENS1_30default_config_static_selectorELNS0_4arch9wavefront6targetE0EEEvSM_
		.amdhsa_group_segment_fixed_size 384
		.amdhsa_private_segment_fixed_size 0
		.amdhsa_kernarg_size 48
		.amdhsa_user_sgpr_count 15
		.amdhsa_user_sgpr_dispatch_ptr 0
		.amdhsa_user_sgpr_queue_ptr 0
		.amdhsa_user_sgpr_kernarg_segment_ptr 1
		.amdhsa_user_sgpr_dispatch_id 0
		.amdhsa_user_sgpr_private_segment_size 0
		.amdhsa_wavefront_size32 1
		.amdhsa_uses_dynamic_stack 0
		.amdhsa_enable_private_segment 0
		.amdhsa_system_sgpr_workgroup_id_x 1
		.amdhsa_system_sgpr_workgroup_id_y 0
		.amdhsa_system_sgpr_workgroup_id_z 0
		.amdhsa_system_sgpr_workgroup_info 0
		.amdhsa_system_vgpr_workitem_id 0
		.amdhsa_next_free_vgpr 34
		.amdhsa_next_free_sgpr 30
		.amdhsa_reserve_vcc 1
		.amdhsa_float_round_mode_32 0
		.amdhsa_float_round_mode_16_64 0
		.amdhsa_float_denorm_mode_32 3
		.amdhsa_float_denorm_mode_16_64 3
		.amdhsa_dx10_clamp 1
		.amdhsa_ieee_mode 1
		.amdhsa_fp16_overflow 0
		.amdhsa_workgroup_processor_mode 1
		.amdhsa_memory_ordered 1
		.amdhsa_forward_progress 0
		.amdhsa_shared_vgpr_count 0
		.amdhsa_exception_fp_ieee_invalid_op 0
		.amdhsa_exception_fp_denorm_src 0
		.amdhsa_exception_fp_ieee_div_zero 0
		.amdhsa_exception_fp_ieee_overflow 0
		.amdhsa_exception_fp_ieee_underflow 0
		.amdhsa_exception_fp_ieee_inexact 0
		.amdhsa_exception_int_div_zero 0
	.end_amdhsa_kernel
	.section	.text._ZN7rocprim17ROCPRIM_400000_NS6detail17trampoline_kernelINS0_14default_configENS1_22reduce_config_selectorIlEEZNS1_11reduce_implILb1ES3_PlS7_lN6hipcub16HIPCUB_304000_NS6detail34convert_binary_result_type_wrapperINS9_3SumENS9_22TransformInputIteratorIb7NonZeroIiEPilEElEEEE10hipError_tPvRmT1_T2_T3_mT4_P12ihipStream_tbEUlT_E1_NS1_11comp_targetILNS1_3genE9ELNS1_11target_archE1100ELNS1_3gpuE3ELNS1_3repE0EEENS1_30default_config_static_selectorELNS0_4arch9wavefront6targetE0EEEvSM_,"axG",@progbits,_ZN7rocprim17ROCPRIM_400000_NS6detail17trampoline_kernelINS0_14default_configENS1_22reduce_config_selectorIlEEZNS1_11reduce_implILb1ES3_PlS7_lN6hipcub16HIPCUB_304000_NS6detail34convert_binary_result_type_wrapperINS9_3SumENS9_22TransformInputIteratorIb7NonZeroIiEPilEElEEEE10hipError_tPvRmT1_T2_T3_mT4_P12ihipStream_tbEUlT_E1_NS1_11comp_targetILNS1_3genE9ELNS1_11target_archE1100ELNS1_3gpuE3ELNS1_3repE0EEENS1_30default_config_static_selectorELNS0_4arch9wavefront6targetE0EEEvSM_,comdat
.Lfunc_end165:
	.size	_ZN7rocprim17ROCPRIM_400000_NS6detail17trampoline_kernelINS0_14default_configENS1_22reduce_config_selectorIlEEZNS1_11reduce_implILb1ES3_PlS7_lN6hipcub16HIPCUB_304000_NS6detail34convert_binary_result_type_wrapperINS9_3SumENS9_22TransformInputIteratorIb7NonZeroIiEPilEElEEEE10hipError_tPvRmT1_T2_T3_mT4_P12ihipStream_tbEUlT_E1_NS1_11comp_targetILNS1_3genE9ELNS1_11target_archE1100ELNS1_3gpuE3ELNS1_3repE0EEENS1_30default_config_static_selectorELNS0_4arch9wavefront6targetE0EEEvSM_, .Lfunc_end165-_ZN7rocprim17ROCPRIM_400000_NS6detail17trampoline_kernelINS0_14default_configENS1_22reduce_config_selectorIlEEZNS1_11reduce_implILb1ES3_PlS7_lN6hipcub16HIPCUB_304000_NS6detail34convert_binary_result_type_wrapperINS9_3SumENS9_22TransformInputIteratorIb7NonZeroIiEPilEElEEEE10hipError_tPvRmT1_T2_T3_mT4_P12ihipStream_tbEUlT_E1_NS1_11comp_targetILNS1_3genE9ELNS1_11target_archE1100ELNS1_3gpuE3ELNS1_3repE0EEENS1_30default_config_static_selectorELNS0_4arch9wavefront6targetE0EEEvSM_
                                        ; -- End function
	.section	.AMDGPU.csdata,"",@progbits
; Kernel info:
; codeLenInByte = 11700
; NumSgprs: 32
; NumVgprs: 34
; ScratchSize: 0
; MemoryBound: 0
; FloatMode: 240
; IeeeMode: 1
; LDSByteSize: 384 bytes/workgroup (compile time only)
; SGPRBlocks: 3
; VGPRBlocks: 4
; NumSGPRsForWavesPerEU: 32
; NumVGPRsForWavesPerEU: 34
; Occupancy: 16
; WaveLimiterHint : 1
; COMPUTE_PGM_RSRC2:SCRATCH_EN: 0
; COMPUTE_PGM_RSRC2:USER_SGPR: 15
; COMPUTE_PGM_RSRC2:TRAP_HANDLER: 0
; COMPUTE_PGM_RSRC2:TGID_X_EN: 1
; COMPUTE_PGM_RSRC2:TGID_Y_EN: 0
; COMPUTE_PGM_RSRC2:TGID_Z_EN: 0
; COMPUTE_PGM_RSRC2:TIDIG_COMP_CNT: 0
	.section	.text._ZN7rocprim17ROCPRIM_400000_NS6detail17trampoline_kernelINS0_14default_configENS1_22reduce_config_selectorIlEEZNS1_11reduce_implILb1ES3_PlS7_lN6hipcub16HIPCUB_304000_NS6detail34convert_binary_result_type_wrapperINS9_3SumENS9_22TransformInputIteratorIb7NonZeroIiEPilEElEEEE10hipError_tPvRmT1_T2_T3_mT4_P12ihipStream_tbEUlT_E1_NS1_11comp_targetILNS1_3genE8ELNS1_11target_archE1030ELNS1_3gpuE2ELNS1_3repE0EEENS1_30default_config_static_selectorELNS0_4arch9wavefront6targetE0EEEvSM_,"axG",@progbits,_ZN7rocprim17ROCPRIM_400000_NS6detail17trampoline_kernelINS0_14default_configENS1_22reduce_config_selectorIlEEZNS1_11reduce_implILb1ES3_PlS7_lN6hipcub16HIPCUB_304000_NS6detail34convert_binary_result_type_wrapperINS9_3SumENS9_22TransformInputIteratorIb7NonZeroIiEPilEElEEEE10hipError_tPvRmT1_T2_T3_mT4_P12ihipStream_tbEUlT_E1_NS1_11comp_targetILNS1_3genE8ELNS1_11target_archE1030ELNS1_3gpuE2ELNS1_3repE0EEENS1_30default_config_static_selectorELNS0_4arch9wavefront6targetE0EEEvSM_,comdat
	.protected	_ZN7rocprim17ROCPRIM_400000_NS6detail17trampoline_kernelINS0_14default_configENS1_22reduce_config_selectorIlEEZNS1_11reduce_implILb1ES3_PlS7_lN6hipcub16HIPCUB_304000_NS6detail34convert_binary_result_type_wrapperINS9_3SumENS9_22TransformInputIteratorIb7NonZeroIiEPilEElEEEE10hipError_tPvRmT1_T2_T3_mT4_P12ihipStream_tbEUlT_E1_NS1_11comp_targetILNS1_3genE8ELNS1_11target_archE1030ELNS1_3gpuE2ELNS1_3repE0EEENS1_30default_config_static_selectorELNS0_4arch9wavefront6targetE0EEEvSM_ ; -- Begin function _ZN7rocprim17ROCPRIM_400000_NS6detail17trampoline_kernelINS0_14default_configENS1_22reduce_config_selectorIlEEZNS1_11reduce_implILb1ES3_PlS7_lN6hipcub16HIPCUB_304000_NS6detail34convert_binary_result_type_wrapperINS9_3SumENS9_22TransformInputIteratorIb7NonZeroIiEPilEElEEEE10hipError_tPvRmT1_T2_T3_mT4_P12ihipStream_tbEUlT_E1_NS1_11comp_targetILNS1_3genE8ELNS1_11target_archE1030ELNS1_3gpuE2ELNS1_3repE0EEENS1_30default_config_static_selectorELNS0_4arch9wavefront6targetE0EEEvSM_
	.globl	_ZN7rocprim17ROCPRIM_400000_NS6detail17trampoline_kernelINS0_14default_configENS1_22reduce_config_selectorIlEEZNS1_11reduce_implILb1ES3_PlS7_lN6hipcub16HIPCUB_304000_NS6detail34convert_binary_result_type_wrapperINS9_3SumENS9_22TransformInputIteratorIb7NonZeroIiEPilEElEEEE10hipError_tPvRmT1_T2_T3_mT4_P12ihipStream_tbEUlT_E1_NS1_11comp_targetILNS1_3genE8ELNS1_11target_archE1030ELNS1_3gpuE2ELNS1_3repE0EEENS1_30default_config_static_selectorELNS0_4arch9wavefront6targetE0EEEvSM_
	.p2align	8
	.type	_ZN7rocprim17ROCPRIM_400000_NS6detail17trampoline_kernelINS0_14default_configENS1_22reduce_config_selectorIlEEZNS1_11reduce_implILb1ES3_PlS7_lN6hipcub16HIPCUB_304000_NS6detail34convert_binary_result_type_wrapperINS9_3SumENS9_22TransformInputIteratorIb7NonZeroIiEPilEElEEEE10hipError_tPvRmT1_T2_T3_mT4_P12ihipStream_tbEUlT_E1_NS1_11comp_targetILNS1_3genE8ELNS1_11target_archE1030ELNS1_3gpuE2ELNS1_3repE0EEENS1_30default_config_static_selectorELNS0_4arch9wavefront6targetE0EEEvSM_,@function
_ZN7rocprim17ROCPRIM_400000_NS6detail17trampoline_kernelINS0_14default_configENS1_22reduce_config_selectorIlEEZNS1_11reduce_implILb1ES3_PlS7_lN6hipcub16HIPCUB_304000_NS6detail34convert_binary_result_type_wrapperINS9_3SumENS9_22TransformInputIteratorIb7NonZeroIiEPilEElEEEE10hipError_tPvRmT1_T2_T3_mT4_P12ihipStream_tbEUlT_E1_NS1_11comp_targetILNS1_3genE8ELNS1_11target_archE1030ELNS1_3gpuE2ELNS1_3repE0EEENS1_30default_config_static_selectorELNS0_4arch9wavefront6targetE0EEEvSM_: ; @_ZN7rocprim17ROCPRIM_400000_NS6detail17trampoline_kernelINS0_14default_configENS1_22reduce_config_selectorIlEEZNS1_11reduce_implILb1ES3_PlS7_lN6hipcub16HIPCUB_304000_NS6detail34convert_binary_result_type_wrapperINS9_3SumENS9_22TransformInputIteratorIb7NonZeroIiEPilEElEEEE10hipError_tPvRmT1_T2_T3_mT4_P12ihipStream_tbEUlT_E1_NS1_11comp_targetILNS1_3genE8ELNS1_11target_archE1030ELNS1_3gpuE2ELNS1_3repE0EEENS1_30default_config_static_selectorELNS0_4arch9wavefront6targetE0EEEvSM_
; %bb.0:
	.section	.rodata,"a",@progbits
	.p2align	6, 0x0
	.amdhsa_kernel _ZN7rocprim17ROCPRIM_400000_NS6detail17trampoline_kernelINS0_14default_configENS1_22reduce_config_selectorIlEEZNS1_11reduce_implILb1ES3_PlS7_lN6hipcub16HIPCUB_304000_NS6detail34convert_binary_result_type_wrapperINS9_3SumENS9_22TransformInputIteratorIb7NonZeroIiEPilEElEEEE10hipError_tPvRmT1_T2_T3_mT4_P12ihipStream_tbEUlT_E1_NS1_11comp_targetILNS1_3genE8ELNS1_11target_archE1030ELNS1_3gpuE2ELNS1_3repE0EEENS1_30default_config_static_selectorELNS0_4arch9wavefront6targetE0EEEvSM_
		.amdhsa_group_segment_fixed_size 0
		.amdhsa_private_segment_fixed_size 0
		.amdhsa_kernarg_size 48
		.amdhsa_user_sgpr_count 15
		.amdhsa_user_sgpr_dispatch_ptr 0
		.amdhsa_user_sgpr_queue_ptr 0
		.amdhsa_user_sgpr_kernarg_segment_ptr 1
		.amdhsa_user_sgpr_dispatch_id 0
		.amdhsa_user_sgpr_private_segment_size 0
		.amdhsa_wavefront_size32 1
		.amdhsa_uses_dynamic_stack 0
		.amdhsa_enable_private_segment 0
		.amdhsa_system_sgpr_workgroup_id_x 1
		.amdhsa_system_sgpr_workgroup_id_y 0
		.amdhsa_system_sgpr_workgroup_id_z 0
		.amdhsa_system_sgpr_workgroup_info 0
		.amdhsa_system_vgpr_workitem_id 0
		.amdhsa_next_free_vgpr 1
		.amdhsa_next_free_sgpr 1
		.amdhsa_reserve_vcc 0
		.amdhsa_float_round_mode_32 0
		.amdhsa_float_round_mode_16_64 0
		.amdhsa_float_denorm_mode_32 3
		.amdhsa_float_denorm_mode_16_64 3
		.amdhsa_dx10_clamp 1
		.amdhsa_ieee_mode 1
		.amdhsa_fp16_overflow 0
		.amdhsa_workgroup_processor_mode 1
		.amdhsa_memory_ordered 1
		.amdhsa_forward_progress 0
		.amdhsa_shared_vgpr_count 0
		.amdhsa_exception_fp_ieee_invalid_op 0
		.amdhsa_exception_fp_denorm_src 0
		.amdhsa_exception_fp_ieee_div_zero 0
		.amdhsa_exception_fp_ieee_overflow 0
		.amdhsa_exception_fp_ieee_underflow 0
		.amdhsa_exception_fp_ieee_inexact 0
		.amdhsa_exception_int_div_zero 0
	.end_amdhsa_kernel
	.section	.text._ZN7rocprim17ROCPRIM_400000_NS6detail17trampoline_kernelINS0_14default_configENS1_22reduce_config_selectorIlEEZNS1_11reduce_implILb1ES3_PlS7_lN6hipcub16HIPCUB_304000_NS6detail34convert_binary_result_type_wrapperINS9_3SumENS9_22TransformInputIteratorIb7NonZeroIiEPilEElEEEE10hipError_tPvRmT1_T2_T3_mT4_P12ihipStream_tbEUlT_E1_NS1_11comp_targetILNS1_3genE8ELNS1_11target_archE1030ELNS1_3gpuE2ELNS1_3repE0EEENS1_30default_config_static_selectorELNS0_4arch9wavefront6targetE0EEEvSM_,"axG",@progbits,_ZN7rocprim17ROCPRIM_400000_NS6detail17trampoline_kernelINS0_14default_configENS1_22reduce_config_selectorIlEEZNS1_11reduce_implILb1ES3_PlS7_lN6hipcub16HIPCUB_304000_NS6detail34convert_binary_result_type_wrapperINS9_3SumENS9_22TransformInputIteratorIb7NonZeroIiEPilEElEEEE10hipError_tPvRmT1_T2_T3_mT4_P12ihipStream_tbEUlT_E1_NS1_11comp_targetILNS1_3genE8ELNS1_11target_archE1030ELNS1_3gpuE2ELNS1_3repE0EEENS1_30default_config_static_selectorELNS0_4arch9wavefront6targetE0EEEvSM_,comdat
.Lfunc_end166:
	.size	_ZN7rocprim17ROCPRIM_400000_NS6detail17trampoline_kernelINS0_14default_configENS1_22reduce_config_selectorIlEEZNS1_11reduce_implILb1ES3_PlS7_lN6hipcub16HIPCUB_304000_NS6detail34convert_binary_result_type_wrapperINS9_3SumENS9_22TransformInputIteratorIb7NonZeroIiEPilEElEEEE10hipError_tPvRmT1_T2_T3_mT4_P12ihipStream_tbEUlT_E1_NS1_11comp_targetILNS1_3genE8ELNS1_11target_archE1030ELNS1_3gpuE2ELNS1_3repE0EEENS1_30default_config_static_selectorELNS0_4arch9wavefront6targetE0EEEvSM_, .Lfunc_end166-_ZN7rocprim17ROCPRIM_400000_NS6detail17trampoline_kernelINS0_14default_configENS1_22reduce_config_selectorIlEEZNS1_11reduce_implILb1ES3_PlS7_lN6hipcub16HIPCUB_304000_NS6detail34convert_binary_result_type_wrapperINS9_3SumENS9_22TransformInputIteratorIb7NonZeroIiEPilEElEEEE10hipError_tPvRmT1_T2_T3_mT4_P12ihipStream_tbEUlT_E1_NS1_11comp_targetILNS1_3genE8ELNS1_11target_archE1030ELNS1_3gpuE2ELNS1_3repE0EEENS1_30default_config_static_selectorELNS0_4arch9wavefront6targetE0EEEvSM_
                                        ; -- End function
	.section	.AMDGPU.csdata,"",@progbits
; Kernel info:
; codeLenInByte = 0
; NumSgprs: 0
; NumVgprs: 0
; ScratchSize: 0
; MemoryBound: 0
; FloatMode: 240
; IeeeMode: 1
; LDSByteSize: 0 bytes/workgroup (compile time only)
; SGPRBlocks: 0
; VGPRBlocks: 0
; NumSGPRsForWavesPerEU: 1
; NumVGPRsForWavesPerEU: 1
; Occupancy: 16
; WaveLimiterHint : 0
; COMPUTE_PGM_RSRC2:SCRATCH_EN: 0
; COMPUTE_PGM_RSRC2:USER_SGPR: 15
; COMPUTE_PGM_RSRC2:TRAP_HANDLER: 0
; COMPUTE_PGM_RSRC2:TGID_X_EN: 1
; COMPUTE_PGM_RSRC2:TGID_Y_EN: 0
; COMPUTE_PGM_RSRC2:TGID_Z_EN: 0
; COMPUTE_PGM_RSRC2:TIDIG_COMP_CNT: 0
	.section	.text._ZN7rocprim17ROCPRIM_400000_NS6detail17trampoline_kernelINS0_14default_configENS1_22reduce_config_selectorIbEEZNS1_11reduce_implILb1ES3_N6hipcub16HIPCUB_304000_NS22TransformInputIteratorIb7NonZeroIiEPilEEPllNS8_6detail34convert_binary_result_type_wrapperINS8_3SumESD_lEEEE10hipError_tPvRmT1_T2_T3_mT4_P12ihipStream_tbEUlT_E0_NS1_11comp_targetILNS1_3genE0ELNS1_11target_archE4294967295ELNS1_3gpuE0ELNS1_3repE0EEENS1_30default_config_static_selectorELNS0_4arch9wavefront6targetE0EEEvSM_,"axG",@progbits,_ZN7rocprim17ROCPRIM_400000_NS6detail17trampoline_kernelINS0_14default_configENS1_22reduce_config_selectorIbEEZNS1_11reduce_implILb1ES3_N6hipcub16HIPCUB_304000_NS22TransformInputIteratorIb7NonZeroIiEPilEEPllNS8_6detail34convert_binary_result_type_wrapperINS8_3SumESD_lEEEE10hipError_tPvRmT1_T2_T3_mT4_P12ihipStream_tbEUlT_E0_NS1_11comp_targetILNS1_3genE0ELNS1_11target_archE4294967295ELNS1_3gpuE0ELNS1_3repE0EEENS1_30default_config_static_selectorELNS0_4arch9wavefront6targetE0EEEvSM_,comdat
	.protected	_ZN7rocprim17ROCPRIM_400000_NS6detail17trampoline_kernelINS0_14default_configENS1_22reduce_config_selectorIbEEZNS1_11reduce_implILb1ES3_N6hipcub16HIPCUB_304000_NS22TransformInputIteratorIb7NonZeroIiEPilEEPllNS8_6detail34convert_binary_result_type_wrapperINS8_3SumESD_lEEEE10hipError_tPvRmT1_T2_T3_mT4_P12ihipStream_tbEUlT_E0_NS1_11comp_targetILNS1_3genE0ELNS1_11target_archE4294967295ELNS1_3gpuE0ELNS1_3repE0EEENS1_30default_config_static_selectorELNS0_4arch9wavefront6targetE0EEEvSM_ ; -- Begin function _ZN7rocprim17ROCPRIM_400000_NS6detail17trampoline_kernelINS0_14default_configENS1_22reduce_config_selectorIbEEZNS1_11reduce_implILb1ES3_N6hipcub16HIPCUB_304000_NS22TransformInputIteratorIb7NonZeroIiEPilEEPllNS8_6detail34convert_binary_result_type_wrapperINS8_3SumESD_lEEEE10hipError_tPvRmT1_T2_T3_mT4_P12ihipStream_tbEUlT_E0_NS1_11comp_targetILNS1_3genE0ELNS1_11target_archE4294967295ELNS1_3gpuE0ELNS1_3repE0EEENS1_30default_config_static_selectorELNS0_4arch9wavefront6targetE0EEEvSM_
	.globl	_ZN7rocprim17ROCPRIM_400000_NS6detail17trampoline_kernelINS0_14default_configENS1_22reduce_config_selectorIbEEZNS1_11reduce_implILb1ES3_N6hipcub16HIPCUB_304000_NS22TransformInputIteratorIb7NonZeroIiEPilEEPllNS8_6detail34convert_binary_result_type_wrapperINS8_3SumESD_lEEEE10hipError_tPvRmT1_T2_T3_mT4_P12ihipStream_tbEUlT_E0_NS1_11comp_targetILNS1_3genE0ELNS1_11target_archE4294967295ELNS1_3gpuE0ELNS1_3repE0EEENS1_30default_config_static_selectorELNS0_4arch9wavefront6targetE0EEEvSM_
	.p2align	8
	.type	_ZN7rocprim17ROCPRIM_400000_NS6detail17trampoline_kernelINS0_14default_configENS1_22reduce_config_selectorIbEEZNS1_11reduce_implILb1ES3_N6hipcub16HIPCUB_304000_NS22TransformInputIteratorIb7NonZeroIiEPilEEPllNS8_6detail34convert_binary_result_type_wrapperINS8_3SumESD_lEEEE10hipError_tPvRmT1_T2_T3_mT4_P12ihipStream_tbEUlT_E0_NS1_11comp_targetILNS1_3genE0ELNS1_11target_archE4294967295ELNS1_3gpuE0ELNS1_3repE0EEENS1_30default_config_static_selectorELNS0_4arch9wavefront6targetE0EEEvSM_,@function
_ZN7rocprim17ROCPRIM_400000_NS6detail17trampoline_kernelINS0_14default_configENS1_22reduce_config_selectorIbEEZNS1_11reduce_implILb1ES3_N6hipcub16HIPCUB_304000_NS22TransformInputIteratorIb7NonZeroIiEPilEEPllNS8_6detail34convert_binary_result_type_wrapperINS8_3SumESD_lEEEE10hipError_tPvRmT1_T2_T3_mT4_P12ihipStream_tbEUlT_E0_NS1_11comp_targetILNS1_3genE0ELNS1_11target_archE4294967295ELNS1_3gpuE0ELNS1_3repE0EEENS1_30default_config_static_selectorELNS0_4arch9wavefront6targetE0EEEvSM_: ; @_ZN7rocprim17ROCPRIM_400000_NS6detail17trampoline_kernelINS0_14default_configENS1_22reduce_config_selectorIbEEZNS1_11reduce_implILb1ES3_N6hipcub16HIPCUB_304000_NS22TransformInputIteratorIb7NonZeroIiEPilEEPllNS8_6detail34convert_binary_result_type_wrapperINS8_3SumESD_lEEEE10hipError_tPvRmT1_T2_T3_mT4_P12ihipStream_tbEUlT_E0_NS1_11comp_targetILNS1_3genE0ELNS1_11target_archE4294967295ELNS1_3gpuE0ELNS1_3repE0EEENS1_30default_config_static_selectorELNS0_4arch9wavefront6targetE0EEEvSM_
; %bb.0:
	.section	.rodata,"a",@progbits
	.p2align	6, 0x0
	.amdhsa_kernel _ZN7rocprim17ROCPRIM_400000_NS6detail17trampoline_kernelINS0_14default_configENS1_22reduce_config_selectorIbEEZNS1_11reduce_implILb1ES3_N6hipcub16HIPCUB_304000_NS22TransformInputIteratorIb7NonZeroIiEPilEEPllNS8_6detail34convert_binary_result_type_wrapperINS8_3SumESD_lEEEE10hipError_tPvRmT1_T2_T3_mT4_P12ihipStream_tbEUlT_E0_NS1_11comp_targetILNS1_3genE0ELNS1_11target_archE4294967295ELNS1_3gpuE0ELNS1_3repE0EEENS1_30default_config_static_selectorELNS0_4arch9wavefront6targetE0EEEvSM_
		.amdhsa_group_segment_fixed_size 0
		.amdhsa_private_segment_fixed_size 0
		.amdhsa_kernarg_size 72
		.amdhsa_user_sgpr_count 15
		.amdhsa_user_sgpr_dispatch_ptr 0
		.amdhsa_user_sgpr_queue_ptr 0
		.amdhsa_user_sgpr_kernarg_segment_ptr 1
		.amdhsa_user_sgpr_dispatch_id 0
		.amdhsa_user_sgpr_private_segment_size 0
		.amdhsa_wavefront_size32 1
		.amdhsa_uses_dynamic_stack 0
		.amdhsa_enable_private_segment 0
		.amdhsa_system_sgpr_workgroup_id_x 1
		.amdhsa_system_sgpr_workgroup_id_y 0
		.amdhsa_system_sgpr_workgroup_id_z 0
		.amdhsa_system_sgpr_workgroup_info 0
		.amdhsa_system_vgpr_workitem_id 0
		.amdhsa_next_free_vgpr 1
		.amdhsa_next_free_sgpr 1
		.amdhsa_reserve_vcc 0
		.amdhsa_float_round_mode_32 0
		.amdhsa_float_round_mode_16_64 0
		.amdhsa_float_denorm_mode_32 3
		.amdhsa_float_denorm_mode_16_64 3
		.amdhsa_dx10_clamp 1
		.amdhsa_ieee_mode 1
		.amdhsa_fp16_overflow 0
		.amdhsa_workgroup_processor_mode 1
		.amdhsa_memory_ordered 1
		.amdhsa_forward_progress 0
		.amdhsa_shared_vgpr_count 0
		.amdhsa_exception_fp_ieee_invalid_op 0
		.amdhsa_exception_fp_denorm_src 0
		.amdhsa_exception_fp_ieee_div_zero 0
		.amdhsa_exception_fp_ieee_overflow 0
		.amdhsa_exception_fp_ieee_underflow 0
		.amdhsa_exception_fp_ieee_inexact 0
		.amdhsa_exception_int_div_zero 0
	.end_amdhsa_kernel
	.section	.text._ZN7rocprim17ROCPRIM_400000_NS6detail17trampoline_kernelINS0_14default_configENS1_22reduce_config_selectorIbEEZNS1_11reduce_implILb1ES3_N6hipcub16HIPCUB_304000_NS22TransformInputIteratorIb7NonZeroIiEPilEEPllNS8_6detail34convert_binary_result_type_wrapperINS8_3SumESD_lEEEE10hipError_tPvRmT1_T2_T3_mT4_P12ihipStream_tbEUlT_E0_NS1_11comp_targetILNS1_3genE0ELNS1_11target_archE4294967295ELNS1_3gpuE0ELNS1_3repE0EEENS1_30default_config_static_selectorELNS0_4arch9wavefront6targetE0EEEvSM_,"axG",@progbits,_ZN7rocprim17ROCPRIM_400000_NS6detail17trampoline_kernelINS0_14default_configENS1_22reduce_config_selectorIbEEZNS1_11reduce_implILb1ES3_N6hipcub16HIPCUB_304000_NS22TransformInputIteratorIb7NonZeroIiEPilEEPllNS8_6detail34convert_binary_result_type_wrapperINS8_3SumESD_lEEEE10hipError_tPvRmT1_T2_T3_mT4_P12ihipStream_tbEUlT_E0_NS1_11comp_targetILNS1_3genE0ELNS1_11target_archE4294967295ELNS1_3gpuE0ELNS1_3repE0EEENS1_30default_config_static_selectorELNS0_4arch9wavefront6targetE0EEEvSM_,comdat
.Lfunc_end167:
	.size	_ZN7rocprim17ROCPRIM_400000_NS6detail17trampoline_kernelINS0_14default_configENS1_22reduce_config_selectorIbEEZNS1_11reduce_implILb1ES3_N6hipcub16HIPCUB_304000_NS22TransformInputIteratorIb7NonZeroIiEPilEEPllNS8_6detail34convert_binary_result_type_wrapperINS8_3SumESD_lEEEE10hipError_tPvRmT1_T2_T3_mT4_P12ihipStream_tbEUlT_E0_NS1_11comp_targetILNS1_3genE0ELNS1_11target_archE4294967295ELNS1_3gpuE0ELNS1_3repE0EEENS1_30default_config_static_selectorELNS0_4arch9wavefront6targetE0EEEvSM_, .Lfunc_end167-_ZN7rocprim17ROCPRIM_400000_NS6detail17trampoline_kernelINS0_14default_configENS1_22reduce_config_selectorIbEEZNS1_11reduce_implILb1ES3_N6hipcub16HIPCUB_304000_NS22TransformInputIteratorIb7NonZeroIiEPilEEPllNS8_6detail34convert_binary_result_type_wrapperINS8_3SumESD_lEEEE10hipError_tPvRmT1_T2_T3_mT4_P12ihipStream_tbEUlT_E0_NS1_11comp_targetILNS1_3genE0ELNS1_11target_archE4294967295ELNS1_3gpuE0ELNS1_3repE0EEENS1_30default_config_static_selectorELNS0_4arch9wavefront6targetE0EEEvSM_
                                        ; -- End function
	.section	.AMDGPU.csdata,"",@progbits
; Kernel info:
; codeLenInByte = 0
; NumSgprs: 0
; NumVgprs: 0
; ScratchSize: 0
; MemoryBound: 0
; FloatMode: 240
; IeeeMode: 1
; LDSByteSize: 0 bytes/workgroup (compile time only)
; SGPRBlocks: 0
; VGPRBlocks: 0
; NumSGPRsForWavesPerEU: 1
; NumVGPRsForWavesPerEU: 1
; Occupancy: 16
; WaveLimiterHint : 0
; COMPUTE_PGM_RSRC2:SCRATCH_EN: 0
; COMPUTE_PGM_RSRC2:USER_SGPR: 15
; COMPUTE_PGM_RSRC2:TRAP_HANDLER: 0
; COMPUTE_PGM_RSRC2:TGID_X_EN: 1
; COMPUTE_PGM_RSRC2:TGID_Y_EN: 0
; COMPUTE_PGM_RSRC2:TGID_Z_EN: 0
; COMPUTE_PGM_RSRC2:TIDIG_COMP_CNT: 0
	.section	.text._ZN7rocprim17ROCPRIM_400000_NS6detail17trampoline_kernelINS0_14default_configENS1_22reduce_config_selectorIbEEZNS1_11reduce_implILb1ES3_N6hipcub16HIPCUB_304000_NS22TransformInputIteratorIb7NonZeroIiEPilEEPllNS8_6detail34convert_binary_result_type_wrapperINS8_3SumESD_lEEEE10hipError_tPvRmT1_T2_T3_mT4_P12ihipStream_tbEUlT_E0_NS1_11comp_targetILNS1_3genE5ELNS1_11target_archE942ELNS1_3gpuE9ELNS1_3repE0EEENS1_30default_config_static_selectorELNS0_4arch9wavefront6targetE0EEEvSM_,"axG",@progbits,_ZN7rocprim17ROCPRIM_400000_NS6detail17trampoline_kernelINS0_14default_configENS1_22reduce_config_selectorIbEEZNS1_11reduce_implILb1ES3_N6hipcub16HIPCUB_304000_NS22TransformInputIteratorIb7NonZeroIiEPilEEPllNS8_6detail34convert_binary_result_type_wrapperINS8_3SumESD_lEEEE10hipError_tPvRmT1_T2_T3_mT4_P12ihipStream_tbEUlT_E0_NS1_11comp_targetILNS1_3genE5ELNS1_11target_archE942ELNS1_3gpuE9ELNS1_3repE0EEENS1_30default_config_static_selectorELNS0_4arch9wavefront6targetE0EEEvSM_,comdat
	.protected	_ZN7rocprim17ROCPRIM_400000_NS6detail17trampoline_kernelINS0_14default_configENS1_22reduce_config_selectorIbEEZNS1_11reduce_implILb1ES3_N6hipcub16HIPCUB_304000_NS22TransformInputIteratorIb7NonZeroIiEPilEEPllNS8_6detail34convert_binary_result_type_wrapperINS8_3SumESD_lEEEE10hipError_tPvRmT1_T2_T3_mT4_P12ihipStream_tbEUlT_E0_NS1_11comp_targetILNS1_3genE5ELNS1_11target_archE942ELNS1_3gpuE9ELNS1_3repE0EEENS1_30default_config_static_selectorELNS0_4arch9wavefront6targetE0EEEvSM_ ; -- Begin function _ZN7rocprim17ROCPRIM_400000_NS6detail17trampoline_kernelINS0_14default_configENS1_22reduce_config_selectorIbEEZNS1_11reduce_implILb1ES3_N6hipcub16HIPCUB_304000_NS22TransformInputIteratorIb7NonZeroIiEPilEEPllNS8_6detail34convert_binary_result_type_wrapperINS8_3SumESD_lEEEE10hipError_tPvRmT1_T2_T3_mT4_P12ihipStream_tbEUlT_E0_NS1_11comp_targetILNS1_3genE5ELNS1_11target_archE942ELNS1_3gpuE9ELNS1_3repE0EEENS1_30default_config_static_selectorELNS0_4arch9wavefront6targetE0EEEvSM_
	.globl	_ZN7rocprim17ROCPRIM_400000_NS6detail17trampoline_kernelINS0_14default_configENS1_22reduce_config_selectorIbEEZNS1_11reduce_implILb1ES3_N6hipcub16HIPCUB_304000_NS22TransformInputIteratorIb7NonZeroIiEPilEEPllNS8_6detail34convert_binary_result_type_wrapperINS8_3SumESD_lEEEE10hipError_tPvRmT1_T2_T3_mT4_P12ihipStream_tbEUlT_E0_NS1_11comp_targetILNS1_3genE5ELNS1_11target_archE942ELNS1_3gpuE9ELNS1_3repE0EEENS1_30default_config_static_selectorELNS0_4arch9wavefront6targetE0EEEvSM_
	.p2align	8
	.type	_ZN7rocprim17ROCPRIM_400000_NS6detail17trampoline_kernelINS0_14default_configENS1_22reduce_config_selectorIbEEZNS1_11reduce_implILb1ES3_N6hipcub16HIPCUB_304000_NS22TransformInputIteratorIb7NonZeroIiEPilEEPllNS8_6detail34convert_binary_result_type_wrapperINS8_3SumESD_lEEEE10hipError_tPvRmT1_T2_T3_mT4_P12ihipStream_tbEUlT_E0_NS1_11comp_targetILNS1_3genE5ELNS1_11target_archE942ELNS1_3gpuE9ELNS1_3repE0EEENS1_30default_config_static_selectorELNS0_4arch9wavefront6targetE0EEEvSM_,@function
_ZN7rocprim17ROCPRIM_400000_NS6detail17trampoline_kernelINS0_14default_configENS1_22reduce_config_selectorIbEEZNS1_11reduce_implILb1ES3_N6hipcub16HIPCUB_304000_NS22TransformInputIteratorIb7NonZeroIiEPilEEPllNS8_6detail34convert_binary_result_type_wrapperINS8_3SumESD_lEEEE10hipError_tPvRmT1_T2_T3_mT4_P12ihipStream_tbEUlT_E0_NS1_11comp_targetILNS1_3genE5ELNS1_11target_archE942ELNS1_3gpuE9ELNS1_3repE0EEENS1_30default_config_static_selectorELNS0_4arch9wavefront6targetE0EEEvSM_: ; @_ZN7rocprim17ROCPRIM_400000_NS6detail17trampoline_kernelINS0_14default_configENS1_22reduce_config_selectorIbEEZNS1_11reduce_implILb1ES3_N6hipcub16HIPCUB_304000_NS22TransformInputIteratorIb7NonZeroIiEPilEEPllNS8_6detail34convert_binary_result_type_wrapperINS8_3SumESD_lEEEE10hipError_tPvRmT1_T2_T3_mT4_P12ihipStream_tbEUlT_E0_NS1_11comp_targetILNS1_3genE5ELNS1_11target_archE942ELNS1_3gpuE9ELNS1_3repE0EEENS1_30default_config_static_selectorELNS0_4arch9wavefront6targetE0EEEvSM_
; %bb.0:
	.section	.rodata,"a",@progbits
	.p2align	6, 0x0
	.amdhsa_kernel _ZN7rocprim17ROCPRIM_400000_NS6detail17trampoline_kernelINS0_14default_configENS1_22reduce_config_selectorIbEEZNS1_11reduce_implILb1ES3_N6hipcub16HIPCUB_304000_NS22TransformInputIteratorIb7NonZeroIiEPilEEPllNS8_6detail34convert_binary_result_type_wrapperINS8_3SumESD_lEEEE10hipError_tPvRmT1_T2_T3_mT4_P12ihipStream_tbEUlT_E0_NS1_11comp_targetILNS1_3genE5ELNS1_11target_archE942ELNS1_3gpuE9ELNS1_3repE0EEENS1_30default_config_static_selectorELNS0_4arch9wavefront6targetE0EEEvSM_
		.amdhsa_group_segment_fixed_size 0
		.amdhsa_private_segment_fixed_size 0
		.amdhsa_kernarg_size 72
		.amdhsa_user_sgpr_count 15
		.amdhsa_user_sgpr_dispatch_ptr 0
		.amdhsa_user_sgpr_queue_ptr 0
		.amdhsa_user_sgpr_kernarg_segment_ptr 1
		.amdhsa_user_sgpr_dispatch_id 0
		.amdhsa_user_sgpr_private_segment_size 0
		.amdhsa_wavefront_size32 1
		.amdhsa_uses_dynamic_stack 0
		.amdhsa_enable_private_segment 0
		.amdhsa_system_sgpr_workgroup_id_x 1
		.amdhsa_system_sgpr_workgroup_id_y 0
		.amdhsa_system_sgpr_workgroup_id_z 0
		.amdhsa_system_sgpr_workgroup_info 0
		.amdhsa_system_vgpr_workitem_id 0
		.amdhsa_next_free_vgpr 1
		.amdhsa_next_free_sgpr 1
		.amdhsa_reserve_vcc 0
		.amdhsa_float_round_mode_32 0
		.amdhsa_float_round_mode_16_64 0
		.amdhsa_float_denorm_mode_32 3
		.amdhsa_float_denorm_mode_16_64 3
		.amdhsa_dx10_clamp 1
		.amdhsa_ieee_mode 1
		.amdhsa_fp16_overflow 0
		.amdhsa_workgroup_processor_mode 1
		.amdhsa_memory_ordered 1
		.amdhsa_forward_progress 0
		.amdhsa_shared_vgpr_count 0
		.amdhsa_exception_fp_ieee_invalid_op 0
		.amdhsa_exception_fp_denorm_src 0
		.amdhsa_exception_fp_ieee_div_zero 0
		.amdhsa_exception_fp_ieee_overflow 0
		.amdhsa_exception_fp_ieee_underflow 0
		.amdhsa_exception_fp_ieee_inexact 0
		.amdhsa_exception_int_div_zero 0
	.end_amdhsa_kernel
	.section	.text._ZN7rocprim17ROCPRIM_400000_NS6detail17trampoline_kernelINS0_14default_configENS1_22reduce_config_selectorIbEEZNS1_11reduce_implILb1ES3_N6hipcub16HIPCUB_304000_NS22TransformInputIteratorIb7NonZeroIiEPilEEPllNS8_6detail34convert_binary_result_type_wrapperINS8_3SumESD_lEEEE10hipError_tPvRmT1_T2_T3_mT4_P12ihipStream_tbEUlT_E0_NS1_11comp_targetILNS1_3genE5ELNS1_11target_archE942ELNS1_3gpuE9ELNS1_3repE0EEENS1_30default_config_static_selectorELNS0_4arch9wavefront6targetE0EEEvSM_,"axG",@progbits,_ZN7rocprim17ROCPRIM_400000_NS6detail17trampoline_kernelINS0_14default_configENS1_22reduce_config_selectorIbEEZNS1_11reduce_implILb1ES3_N6hipcub16HIPCUB_304000_NS22TransformInputIteratorIb7NonZeroIiEPilEEPllNS8_6detail34convert_binary_result_type_wrapperINS8_3SumESD_lEEEE10hipError_tPvRmT1_T2_T3_mT4_P12ihipStream_tbEUlT_E0_NS1_11comp_targetILNS1_3genE5ELNS1_11target_archE942ELNS1_3gpuE9ELNS1_3repE0EEENS1_30default_config_static_selectorELNS0_4arch9wavefront6targetE0EEEvSM_,comdat
.Lfunc_end168:
	.size	_ZN7rocprim17ROCPRIM_400000_NS6detail17trampoline_kernelINS0_14default_configENS1_22reduce_config_selectorIbEEZNS1_11reduce_implILb1ES3_N6hipcub16HIPCUB_304000_NS22TransformInputIteratorIb7NonZeroIiEPilEEPllNS8_6detail34convert_binary_result_type_wrapperINS8_3SumESD_lEEEE10hipError_tPvRmT1_T2_T3_mT4_P12ihipStream_tbEUlT_E0_NS1_11comp_targetILNS1_3genE5ELNS1_11target_archE942ELNS1_3gpuE9ELNS1_3repE0EEENS1_30default_config_static_selectorELNS0_4arch9wavefront6targetE0EEEvSM_, .Lfunc_end168-_ZN7rocprim17ROCPRIM_400000_NS6detail17trampoline_kernelINS0_14default_configENS1_22reduce_config_selectorIbEEZNS1_11reduce_implILb1ES3_N6hipcub16HIPCUB_304000_NS22TransformInputIteratorIb7NonZeroIiEPilEEPllNS8_6detail34convert_binary_result_type_wrapperINS8_3SumESD_lEEEE10hipError_tPvRmT1_T2_T3_mT4_P12ihipStream_tbEUlT_E0_NS1_11comp_targetILNS1_3genE5ELNS1_11target_archE942ELNS1_3gpuE9ELNS1_3repE0EEENS1_30default_config_static_selectorELNS0_4arch9wavefront6targetE0EEEvSM_
                                        ; -- End function
	.section	.AMDGPU.csdata,"",@progbits
; Kernel info:
; codeLenInByte = 0
; NumSgprs: 0
; NumVgprs: 0
; ScratchSize: 0
; MemoryBound: 0
; FloatMode: 240
; IeeeMode: 1
; LDSByteSize: 0 bytes/workgroup (compile time only)
; SGPRBlocks: 0
; VGPRBlocks: 0
; NumSGPRsForWavesPerEU: 1
; NumVGPRsForWavesPerEU: 1
; Occupancy: 16
; WaveLimiterHint : 0
; COMPUTE_PGM_RSRC2:SCRATCH_EN: 0
; COMPUTE_PGM_RSRC2:USER_SGPR: 15
; COMPUTE_PGM_RSRC2:TRAP_HANDLER: 0
; COMPUTE_PGM_RSRC2:TGID_X_EN: 1
; COMPUTE_PGM_RSRC2:TGID_Y_EN: 0
; COMPUTE_PGM_RSRC2:TGID_Z_EN: 0
; COMPUTE_PGM_RSRC2:TIDIG_COMP_CNT: 0
	.section	.text._ZN7rocprim17ROCPRIM_400000_NS6detail17trampoline_kernelINS0_14default_configENS1_22reduce_config_selectorIbEEZNS1_11reduce_implILb1ES3_N6hipcub16HIPCUB_304000_NS22TransformInputIteratorIb7NonZeroIiEPilEEPllNS8_6detail34convert_binary_result_type_wrapperINS8_3SumESD_lEEEE10hipError_tPvRmT1_T2_T3_mT4_P12ihipStream_tbEUlT_E0_NS1_11comp_targetILNS1_3genE4ELNS1_11target_archE910ELNS1_3gpuE8ELNS1_3repE0EEENS1_30default_config_static_selectorELNS0_4arch9wavefront6targetE0EEEvSM_,"axG",@progbits,_ZN7rocprim17ROCPRIM_400000_NS6detail17trampoline_kernelINS0_14default_configENS1_22reduce_config_selectorIbEEZNS1_11reduce_implILb1ES3_N6hipcub16HIPCUB_304000_NS22TransformInputIteratorIb7NonZeroIiEPilEEPllNS8_6detail34convert_binary_result_type_wrapperINS8_3SumESD_lEEEE10hipError_tPvRmT1_T2_T3_mT4_P12ihipStream_tbEUlT_E0_NS1_11comp_targetILNS1_3genE4ELNS1_11target_archE910ELNS1_3gpuE8ELNS1_3repE0EEENS1_30default_config_static_selectorELNS0_4arch9wavefront6targetE0EEEvSM_,comdat
	.protected	_ZN7rocprim17ROCPRIM_400000_NS6detail17trampoline_kernelINS0_14default_configENS1_22reduce_config_selectorIbEEZNS1_11reduce_implILb1ES3_N6hipcub16HIPCUB_304000_NS22TransformInputIteratorIb7NonZeroIiEPilEEPllNS8_6detail34convert_binary_result_type_wrapperINS8_3SumESD_lEEEE10hipError_tPvRmT1_T2_T3_mT4_P12ihipStream_tbEUlT_E0_NS1_11comp_targetILNS1_3genE4ELNS1_11target_archE910ELNS1_3gpuE8ELNS1_3repE0EEENS1_30default_config_static_selectorELNS0_4arch9wavefront6targetE0EEEvSM_ ; -- Begin function _ZN7rocprim17ROCPRIM_400000_NS6detail17trampoline_kernelINS0_14default_configENS1_22reduce_config_selectorIbEEZNS1_11reduce_implILb1ES3_N6hipcub16HIPCUB_304000_NS22TransformInputIteratorIb7NonZeroIiEPilEEPllNS8_6detail34convert_binary_result_type_wrapperINS8_3SumESD_lEEEE10hipError_tPvRmT1_T2_T3_mT4_P12ihipStream_tbEUlT_E0_NS1_11comp_targetILNS1_3genE4ELNS1_11target_archE910ELNS1_3gpuE8ELNS1_3repE0EEENS1_30default_config_static_selectorELNS0_4arch9wavefront6targetE0EEEvSM_
	.globl	_ZN7rocprim17ROCPRIM_400000_NS6detail17trampoline_kernelINS0_14default_configENS1_22reduce_config_selectorIbEEZNS1_11reduce_implILb1ES3_N6hipcub16HIPCUB_304000_NS22TransformInputIteratorIb7NonZeroIiEPilEEPllNS8_6detail34convert_binary_result_type_wrapperINS8_3SumESD_lEEEE10hipError_tPvRmT1_T2_T3_mT4_P12ihipStream_tbEUlT_E0_NS1_11comp_targetILNS1_3genE4ELNS1_11target_archE910ELNS1_3gpuE8ELNS1_3repE0EEENS1_30default_config_static_selectorELNS0_4arch9wavefront6targetE0EEEvSM_
	.p2align	8
	.type	_ZN7rocprim17ROCPRIM_400000_NS6detail17trampoline_kernelINS0_14default_configENS1_22reduce_config_selectorIbEEZNS1_11reduce_implILb1ES3_N6hipcub16HIPCUB_304000_NS22TransformInputIteratorIb7NonZeroIiEPilEEPllNS8_6detail34convert_binary_result_type_wrapperINS8_3SumESD_lEEEE10hipError_tPvRmT1_T2_T3_mT4_P12ihipStream_tbEUlT_E0_NS1_11comp_targetILNS1_3genE4ELNS1_11target_archE910ELNS1_3gpuE8ELNS1_3repE0EEENS1_30default_config_static_selectorELNS0_4arch9wavefront6targetE0EEEvSM_,@function
_ZN7rocprim17ROCPRIM_400000_NS6detail17trampoline_kernelINS0_14default_configENS1_22reduce_config_selectorIbEEZNS1_11reduce_implILb1ES3_N6hipcub16HIPCUB_304000_NS22TransformInputIteratorIb7NonZeroIiEPilEEPllNS8_6detail34convert_binary_result_type_wrapperINS8_3SumESD_lEEEE10hipError_tPvRmT1_T2_T3_mT4_P12ihipStream_tbEUlT_E0_NS1_11comp_targetILNS1_3genE4ELNS1_11target_archE910ELNS1_3gpuE8ELNS1_3repE0EEENS1_30default_config_static_selectorELNS0_4arch9wavefront6targetE0EEEvSM_: ; @_ZN7rocprim17ROCPRIM_400000_NS6detail17trampoline_kernelINS0_14default_configENS1_22reduce_config_selectorIbEEZNS1_11reduce_implILb1ES3_N6hipcub16HIPCUB_304000_NS22TransformInputIteratorIb7NonZeroIiEPilEEPllNS8_6detail34convert_binary_result_type_wrapperINS8_3SumESD_lEEEE10hipError_tPvRmT1_T2_T3_mT4_P12ihipStream_tbEUlT_E0_NS1_11comp_targetILNS1_3genE4ELNS1_11target_archE910ELNS1_3gpuE8ELNS1_3repE0EEENS1_30default_config_static_selectorELNS0_4arch9wavefront6targetE0EEEvSM_
; %bb.0:
	.section	.rodata,"a",@progbits
	.p2align	6, 0x0
	.amdhsa_kernel _ZN7rocprim17ROCPRIM_400000_NS6detail17trampoline_kernelINS0_14default_configENS1_22reduce_config_selectorIbEEZNS1_11reduce_implILb1ES3_N6hipcub16HIPCUB_304000_NS22TransformInputIteratorIb7NonZeroIiEPilEEPllNS8_6detail34convert_binary_result_type_wrapperINS8_3SumESD_lEEEE10hipError_tPvRmT1_T2_T3_mT4_P12ihipStream_tbEUlT_E0_NS1_11comp_targetILNS1_3genE4ELNS1_11target_archE910ELNS1_3gpuE8ELNS1_3repE0EEENS1_30default_config_static_selectorELNS0_4arch9wavefront6targetE0EEEvSM_
		.amdhsa_group_segment_fixed_size 0
		.amdhsa_private_segment_fixed_size 0
		.amdhsa_kernarg_size 72
		.amdhsa_user_sgpr_count 15
		.amdhsa_user_sgpr_dispatch_ptr 0
		.amdhsa_user_sgpr_queue_ptr 0
		.amdhsa_user_sgpr_kernarg_segment_ptr 1
		.amdhsa_user_sgpr_dispatch_id 0
		.amdhsa_user_sgpr_private_segment_size 0
		.amdhsa_wavefront_size32 1
		.amdhsa_uses_dynamic_stack 0
		.amdhsa_enable_private_segment 0
		.amdhsa_system_sgpr_workgroup_id_x 1
		.amdhsa_system_sgpr_workgroup_id_y 0
		.amdhsa_system_sgpr_workgroup_id_z 0
		.amdhsa_system_sgpr_workgroup_info 0
		.amdhsa_system_vgpr_workitem_id 0
		.amdhsa_next_free_vgpr 1
		.amdhsa_next_free_sgpr 1
		.amdhsa_reserve_vcc 0
		.amdhsa_float_round_mode_32 0
		.amdhsa_float_round_mode_16_64 0
		.amdhsa_float_denorm_mode_32 3
		.amdhsa_float_denorm_mode_16_64 3
		.amdhsa_dx10_clamp 1
		.amdhsa_ieee_mode 1
		.amdhsa_fp16_overflow 0
		.amdhsa_workgroup_processor_mode 1
		.amdhsa_memory_ordered 1
		.amdhsa_forward_progress 0
		.amdhsa_shared_vgpr_count 0
		.amdhsa_exception_fp_ieee_invalid_op 0
		.amdhsa_exception_fp_denorm_src 0
		.amdhsa_exception_fp_ieee_div_zero 0
		.amdhsa_exception_fp_ieee_overflow 0
		.amdhsa_exception_fp_ieee_underflow 0
		.amdhsa_exception_fp_ieee_inexact 0
		.amdhsa_exception_int_div_zero 0
	.end_amdhsa_kernel
	.section	.text._ZN7rocprim17ROCPRIM_400000_NS6detail17trampoline_kernelINS0_14default_configENS1_22reduce_config_selectorIbEEZNS1_11reduce_implILb1ES3_N6hipcub16HIPCUB_304000_NS22TransformInputIteratorIb7NonZeroIiEPilEEPllNS8_6detail34convert_binary_result_type_wrapperINS8_3SumESD_lEEEE10hipError_tPvRmT1_T2_T3_mT4_P12ihipStream_tbEUlT_E0_NS1_11comp_targetILNS1_3genE4ELNS1_11target_archE910ELNS1_3gpuE8ELNS1_3repE0EEENS1_30default_config_static_selectorELNS0_4arch9wavefront6targetE0EEEvSM_,"axG",@progbits,_ZN7rocprim17ROCPRIM_400000_NS6detail17trampoline_kernelINS0_14default_configENS1_22reduce_config_selectorIbEEZNS1_11reduce_implILb1ES3_N6hipcub16HIPCUB_304000_NS22TransformInputIteratorIb7NonZeroIiEPilEEPllNS8_6detail34convert_binary_result_type_wrapperINS8_3SumESD_lEEEE10hipError_tPvRmT1_T2_T3_mT4_P12ihipStream_tbEUlT_E0_NS1_11comp_targetILNS1_3genE4ELNS1_11target_archE910ELNS1_3gpuE8ELNS1_3repE0EEENS1_30default_config_static_selectorELNS0_4arch9wavefront6targetE0EEEvSM_,comdat
.Lfunc_end169:
	.size	_ZN7rocprim17ROCPRIM_400000_NS6detail17trampoline_kernelINS0_14default_configENS1_22reduce_config_selectorIbEEZNS1_11reduce_implILb1ES3_N6hipcub16HIPCUB_304000_NS22TransformInputIteratorIb7NonZeroIiEPilEEPllNS8_6detail34convert_binary_result_type_wrapperINS8_3SumESD_lEEEE10hipError_tPvRmT1_T2_T3_mT4_P12ihipStream_tbEUlT_E0_NS1_11comp_targetILNS1_3genE4ELNS1_11target_archE910ELNS1_3gpuE8ELNS1_3repE0EEENS1_30default_config_static_selectorELNS0_4arch9wavefront6targetE0EEEvSM_, .Lfunc_end169-_ZN7rocprim17ROCPRIM_400000_NS6detail17trampoline_kernelINS0_14default_configENS1_22reduce_config_selectorIbEEZNS1_11reduce_implILb1ES3_N6hipcub16HIPCUB_304000_NS22TransformInputIteratorIb7NonZeroIiEPilEEPllNS8_6detail34convert_binary_result_type_wrapperINS8_3SumESD_lEEEE10hipError_tPvRmT1_T2_T3_mT4_P12ihipStream_tbEUlT_E0_NS1_11comp_targetILNS1_3genE4ELNS1_11target_archE910ELNS1_3gpuE8ELNS1_3repE0EEENS1_30default_config_static_selectorELNS0_4arch9wavefront6targetE0EEEvSM_
                                        ; -- End function
	.section	.AMDGPU.csdata,"",@progbits
; Kernel info:
; codeLenInByte = 0
; NumSgprs: 0
; NumVgprs: 0
; ScratchSize: 0
; MemoryBound: 0
; FloatMode: 240
; IeeeMode: 1
; LDSByteSize: 0 bytes/workgroup (compile time only)
; SGPRBlocks: 0
; VGPRBlocks: 0
; NumSGPRsForWavesPerEU: 1
; NumVGPRsForWavesPerEU: 1
; Occupancy: 16
; WaveLimiterHint : 0
; COMPUTE_PGM_RSRC2:SCRATCH_EN: 0
; COMPUTE_PGM_RSRC2:USER_SGPR: 15
; COMPUTE_PGM_RSRC2:TRAP_HANDLER: 0
; COMPUTE_PGM_RSRC2:TGID_X_EN: 1
; COMPUTE_PGM_RSRC2:TGID_Y_EN: 0
; COMPUTE_PGM_RSRC2:TGID_Z_EN: 0
; COMPUTE_PGM_RSRC2:TIDIG_COMP_CNT: 0
	.section	.text._ZN7rocprim17ROCPRIM_400000_NS6detail17trampoline_kernelINS0_14default_configENS1_22reduce_config_selectorIbEEZNS1_11reduce_implILb1ES3_N6hipcub16HIPCUB_304000_NS22TransformInputIteratorIb7NonZeroIiEPilEEPllNS8_6detail34convert_binary_result_type_wrapperINS8_3SumESD_lEEEE10hipError_tPvRmT1_T2_T3_mT4_P12ihipStream_tbEUlT_E0_NS1_11comp_targetILNS1_3genE3ELNS1_11target_archE908ELNS1_3gpuE7ELNS1_3repE0EEENS1_30default_config_static_selectorELNS0_4arch9wavefront6targetE0EEEvSM_,"axG",@progbits,_ZN7rocprim17ROCPRIM_400000_NS6detail17trampoline_kernelINS0_14default_configENS1_22reduce_config_selectorIbEEZNS1_11reduce_implILb1ES3_N6hipcub16HIPCUB_304000_NS22TransformInputIteratorIb7NonZeroIiEPilEEPllNS8_6detail34convert_binary_result_type_wrapperINS8_3SumESD_lEEEE10hipError_tPvRmT1_T2_T3_mT4_P12ihipStream_tbEUlT_E0_NS1_11comp_targetILNS1_3genE3ELNS1_11target_archE908ELNS1_3gpuE7ELNS1_3repE0EEENS1_30default_config_static_selectorELNS0_4arch9wavefront6targetE0EEEvSM_,comdat
	.protected	_ZN7rocprim17ROCPRIM_400000_NS6detail17trampoline_kernelINS0_14default_configENS1_22reduce_config_selectorIbEEZNS1_11reduce_implILb1ES3_N6hipcub16HIPCUB_304000_NS22TransformInputIteratorIb7NonZeroIiEPilEEPllNS8_6detail34convert_binary_result_type_wrapperINS8_3SumESD_lEEEE10hipError_tPvRmT1_T2_T3_mT4_P12ihipStream_tbEUlT_E0_NS1_11comp_targetILNS1_3genE3ELNS1_11target_archE908ELNS1_3gpuE7ELNS1_3repE0EEENS1_30default_config_static_selectorELNS0_4arch9wavefront6targetE0EEEvSM_ ; -- Begin function _ZN7rocprim17ROCPRIM_400000_NS6detail17trampoline_kernelINS0_14default_configENS1_22reduce_config_selectorIbEEZNS1_11reduce_implILb1ES3_N6hipcub16HIPCUB_304000_NS22TransformInputIteratorIb7NonZeroIiEPilEEPllNS8_6detail34convert_binary_result_type_wrapperINS8_3SumESD_lEEEE10hipError_tPvRmT1_T2_T3_mT4_P12ihipStream_tbEUlT_E0_NS1_11comp_targetILNS1_3genE3ELNS1_11target_archE908ELNS1_3gpuE7ELNS1_3repE0EEENS1_30default_config_static_selectorELNS0_4arch9wavefront6targetE0EEEvSM_
	.globl	_ZN7rocprim17ROCPRIM_400000_NS6detail17trampoline_kernelINS0_14default_configENS1_22reduce_config_selectorIbEEZNS1_11reduce_implILb1ES3_N6hipcub16HIPCUB_304000_NS22TransformInputIteratorIb7NonZeroIiEPilEEPllNS8_6detail34convert_binary_result_type_wrapperINS8_3SumESD_lEEEE10hipError_tPvRmT1_T2_T3_mT4_P12ihipStream_tbEUlT_E0_NS1_11comp_targetILNS1_3genE3ELNS1_11target_archE908ELNS1_3gpuE7ELNS1_3repE0EEENS1_30default_config_static_selectorELNS0_4arch9wavefront6targetE0EEEvSM_
	.p2align	8
	.type	_ZN7rocprim17ROCPRIM_400000_NS6detail17trampoline_kernelINS0_14default_configENS1_22reduce_config_selectorIbEEZNS1_11reduce_implILb1ES3_N6hipcub16HIPCUB_304000_NS22TransformInputIteratorIb7NonZeroIiEPilEEPllNS8_6detail34convert_binary_result_type_wrapperINS8_3SumESD_lEEEE10hipError_tPvRmT1_T2_T3_mT4_P12ihipStream_tbEUlT_E0_NS1_11comp_targetILNS1_3genE3ELNS1_11target_archE908ELNS1_3gpuE7ELNS1_3repE0EEENS1_30default_config_static_selectorELNS0_4arch9wavefront6targetE0EEEvSM_,@function
_ZN7rocprim17ROCPRIM_400000_NS6detail17trampoline_kernelINS0_14default_configENS1_22reduce_config_selectorIbEEZNS1_11reduce_implILb1ES3_N6hipcub16HIPCUB_304000_NS22TransformInputIteratorIb7NonZeroIiEPilEEPllNS8_6detail34convert_binary_result_type_wrapperINS8_3SumESD_lEEEE10hipError_tPvRmT1_T2_T3_mT4_P12ihipStream_tbEUlT_E0_NS1_11comp_targetILNS1_3genE3ELNS1_11target_archE908ELNS1_3gpuE7ELNS1_3repE0EEENS1_30default_config_static_selectorELNS0_4arch9wavefront6targetE0EEEvSM_: ; @_ZN7rocprim17ROCPRIM_400000_NS6detail17trampoline_kernelINS0_14default_configENS1_22reduce_config_selectorIbEEZNS1_11reduce_implILb1ES3_N6hipcub16HIPCUB_304000_NS22TransformInputIteratorIb7NonZeroIiEPilEEPllNS8_6detail34convert_binary_result_type_wrapperINS8_3SumESD_lEEEE10hipError_tPvRmT1_T2_T3_mT4_P12ihipStream_tbEUlT_E0_NS1_11comp_targetILNS1_3genE3ELNS1_11target_archE908ELNS1_3gpuE7ELNS1_3repE0EEENS1_30default_config_static_selectorELNS0_4arch9wavefront6targetE0EEEvSM_
; %bb.0:
	.section	.rodata,"a",@progbits
	.p2align	6, 0x0
	.amdhsa_kernel _ZN7rocprim17ROCPRIM_400000_NS6detail17trampoline_kernelINS0_14default_configENS1_22reduce_config_selectorIbEEZNS1_11reduce_implILb1ES3_N6hipcub16HIPCUB_304000_NS22TransformInputIteratorIb7NonZeroIiEPilEEPllNS8_6detail34convert_binary_result_type_wrapperINS8_3SumESD_lEEEE10hipError_tPvRmT1_T2_T3_mT4_P12ihipStream_tbEUlT_E0_NS1_11comp_targetILNS1_3genE3ELNS1_11target_archE908ELNS1_3gpuE7ELNS1_3repE0EEENS1_30default_config_static_selectorELNS0_4arch9wavefront6targetE0EEEvSM_
		.amdhsa_group_segment_fixed_size 0
		.amdhsa_private_segment_fixed_size 0
		.amdhsa_kernarg_size 72
		.amdhsa_user_sgpr_count 15
		.amdhsa_user_sgpr_dispatch_ptr 0
		.amdhsa_user_sgpr_queue_ptr 0
		.amdhsa_user_sgpr_kernarg_segment_ptr 1
		.amdhsa_user_sgpr_dispatch_id 0
		.amdhsa_user_sgpr_private_segment_size 0
		.amdhsa_wavefront_size32 1
		.amdhsa_uses_dynamic_stack 0
		.amdhsa_enable_private_segment 0
		.amdhsa_system_sgpr_workgroup_id_x 1
		.amdhsa_system_sgpr_workgroup_id_y 0
		.amdhsa_system_sgpr_workgroup_id_z 0
		.amdhsa_system_sgpr_workgroup_info 0
		.amdhsa_system_vgpr_workitem_id 0
		.amdhsa_next_free_vgpr 1
		.amdhsa_next_free_sgpr 1
		.amdhsa_reserve_vcc 0
		.amdhsa_float_round_mode_32 0
		.amdhsa_float_round_mode_16_64 0
		.amdhsa_float_denorm_mode_32 3
		.amdhsa_float_denorm_mode_16_64 3
		.amdhsa_dx10_clamp 1
		.amdhsa_ieee_mode 1
		.amdhsa_fp16_overflow 0
		.amdhsa_workgroup_processor_mode 1
		.amdhsa_memory_ordered 1
		.amdhsa_forward_progress 0
		.amdhsa_shared_vgpr_count 0
		.amdhsa_exception_fp_ieee_invalid_op 0
		.amdhsa_exception_fp_denorm_src 0
		.amdhsa_exception_fp_ieee_div_zero 0
		.amdhsa_exception_fp_ieee_overflow 0
		.amdhsa_exception_fp_ieee_underflow 0
		.amdhsa_exception_fp_ieee_inexact 0
		.amdhsa_exception_int_div_zero 0
	.end_amdhsa_kernel
	.section	.text._ZN7rocprim17ROCPRIM_400000_NS6detail17trampoline_kernelINS0_14default_configENS1_22reduce_config_selectorIbEEZNS1_11reduce_implILb1ES3_N6hipcub16HIPCUB_304000_NS22TransformInputIteratorIb7NonZeroIiEPilEEPllNS8_6detail34convert_binary_result_type_wrapperINS8_3SumESD_lEEEE10hipError_tPvRmT1_T2_T3_mT4_P12ihipStream_tbEUlT_E0_NS1_11comp_targetILNS1_3genE3ELNS1_11target_archE908ELNS1_3gpuE7ELNS1_3repE0EEENS1_30default_config_static_selectorELNS0_4arch9wavefront6targetE0EEEvSM_,"axG",@progbits,_ZN7rocprim17ROCPRIM_400000_NS6detail17trampoline_kernelINS0_14default_configENS1_22reduce_config_selectorIbEEZNS1_11reduce_implILb1ES3_N6hipcub16HIPCUB_304000_NS22TransformInputIteratorIb7NonZeroIiEPilEEPllNS8_6detail34convert_binary_result_type_wrapperINS8_3SumESD_lEEEE10hipError_tPvRmT1_T2_T3_mT4_P12ihipStream_tbEUlT_E0_NS1_11comp_targetILNS1_3genE3ELNS1_11target_archE908ELNS1_3gpuE7ELNS1_3repE0EEENS1_30default_config_static_selectorELNS0_4arch9wavefront6targetE0EEEvSM_,comdat
.Lfunc_end170:
	.size	_ZN7rocprim17ROCPRIM_400000_NS6detail17trampoline_kernelINS0_14default_configENS1_22reduce_config_selectorIbEEZNS1_11reduce_implILb1ES3_N6hipcub16HIPCUB_304000_NS22TransformInputIteratorIb7NonZeroIiEPilEEPllNS8_6detail34convert_binary_result_type_wrapperINS8_3SumESD_lEEEE10hipError_tPvRmT1_T2_T3_mT4_P12ihipStream_tbEUlT_E0_NS1_11comp_targetILNS1_3genE3ELNS1_11target_archE908ELNS1_3gpuE7ELNS1_3repE0EEENS1_30default_config_static_selectorELNS0_4arch9wavefront6targetE0EEEvSM_, .Lfunc_end170-_ZN7rocprim17ROCPRIM_400000_NS6detail17trampoline_kernelINS0_14default_configENS1_22reduce_config_selectorIbEEZNS1_11reduce_implILb1ES3_N6hipcub16HIPCUB_304000_NS22TransformInputIteratorIb7NonZeroIiEPilEEPllNS8_6detail34convert_binary_result_type_wrapperINS8_3SumESD_lEEEE10hipError_tPvRmT1_T2_T3_mT4_P12ihipStream_tbEUlT_E0_NS1_11comp_targetILNS1_3genE3ELNS1_11target_archE908ELNS1_3gpuE7ELNS1_3repE0EEENS1_30default_config_static_selectorELNS0_4arch9wavefront6targetE0EEEvSM_
                                        ; -- End function
	.section	.AMDGPU.csdata,"",@progbits
; Kernel info:
; codeLenInByte = 0
; NumSgprs: 0
; NumVgprs: 0
; ScratchSize: 0
; MemoryBound: 0
; FloatMode: 240
; IeeeMode: 1
; LDSByteSize: 0 bytes/workgroup (compile time only)
; SGPRBlocks: 0
; VGPRBlocks: 0
; NumSGPRsForWavesPerEU: 1
; NumVGPRsForWavesPerEU: 1
; Occupancy: 16
; WaveLimiterHint : 0
; COMPUTE_PGM_RSRC2:SCRATCH_EN: 0
; COMPUTE_PGM_RSRC2:USER_SGPR: 15
; COMPUTE_PGM_RSRC2:TRAP_HANDLER: 0
; COMPUTE_PGM_RSRC2:TGID_X_EN: 1
; COMPUTE_PGM_RSRC2:TGID_Y_EN: 0
; COMPUTE_PGM_RSRC2:TGID_Z_EN: 0
; COMPUTE_PGM_RSRC2:TIDIG_COMP_CNT: 0
	.section	.text._ZN7rocprim17ROCPRIM_400000_NS6detail17trampoline_kernelINS0_14default_configENS1_22reduce_config_selectorIbEEZNS1_11reduce_implILb1ES3_N6hipcub16HIPCUB_304000_NS22TransformInputIteratorIb7NonZeroIiEPilEEPllNS8_6detail34convert_binary_result_type_wrapperINS8_3SumESD_lEEEE10hipError_tPvRmT1_T2_T3_mT4_P12ihipStream_tbEUlT_E0_NS1_11comp_targetILNS1_3genE2ELNS1_11target_archE906ELNS1_3gpuE6ELNS1_3repE0EEENS1_30default_config_static_selectorELNS0_4arch9wavefront6targetE0EEEvSM_,"axG",@progbits,_ZN7rocprim17ROCPRIM_400000_NS6detail17trampoline_kernelINS0_14default_configENS1_22reduce_config_selectorIbEEZNS1_11reduce_implILb1ES3_N6hipcub16HIPCUB_304000_NS22TransformInputIteratorIb7NonZeroIiEPilEEPllNS8_6detail34convert_binary_result_type_wrapperINS8_3SumESD_lEEEE10hipError_tPvRmT1_T2_T3_mT4_P12ihipStream_tbEUlT_E0_NS1_11comp_targetILNS1_3genE2ELNS1_11target_archE906ELNS1_3gpuE6ELNS1_3repE0EEENS1_30default_config_static_selectorELNS0_4arch9wavefront6targetE0EEEvSM_,comdat
	.protected	_ZN7rocprim17ROCPRIM_400000_NS6detail17trampoline_kernelINS0_14default_configENS1_22reduce_config_selectorIbEEZNS1_11reduce_implILb1ES3_N6hipcub16HIPCUB_304000_NS22TransformInputIteratorIb7NonZeroIiEPilEEPllNS8_6detail34convert_binary_result_type_wrapperINS8_3SumESD_lEEEE10hipError_tPvRmT1_T2_T3_mT4_P12ihipStream_tbEUlT_E0_NS1_11comp_targetILNS1_3genE2ELNS1_11target_archE906ELNS1_3gpuE6ELNS1_3repE0EEENS1_30default_config_static_selectorELNS0_4arch9wavefront6targetE0EEEvSM_ ; -- Begin function _ZN7rocprim17ROCPRIM_400000_NS6detail17trampoline_kernelINS0_14default_configENS1_22reduce_config_selectorIbEEZNS1_11reduce_implILb1ES3_N6hipcub16HIPCUB_304000_NS22TransformInputIteratorIb7NonZeroIiEPilEEPllNS8_6detail34convert_binary_result_type_wrapperINS8_3SumESD_lEEEE10hipError_tPvRmT1_T2_T3_mT4_P12ihipStream_tbEUlT_E0_NS1_11comp_targetILNS1_3genE2ELNS1_11target_archE906ELNS1_3gpuE6ELNS1_3repE0EEENS1_30default_config_static_selectorELNS0_4arch9wavefront6targetE0EEEvSM_
	.globl	_ZN7rocprim17ROCPRIM_400000_NS6detail17trampoline_kernelINS0_14default_configENS1_22reduce_config_selectorIbEEZNS1_11reduce_implILb1ES3_N6hipcub16HIPCUB_304000_NS22TransformInputIteratorIb7NonZeroIiEPilEEPllNS8_6detail34convert_binary_result_type_wrapperINS8_3SumESD_lEEEE10hipError_tPvRmT1_T2_T3_mT4_P12ihipStream_tbEUlT_E0_NS1_11comp_targetILNS1_3genE2ELNS1_11target_archE906ELNS1_3gpuE6ELNS1_3repE0EEENS1_30default_config_static_selectorELNS0_4arch9wavefront6targetE0EEEvSM_
	.p2align	8
	.type	_ZN7rocprim17ROCPRIM_400000_NS6detail17trampoline_kernelINS0_14default_configENS1_22reduce_config_selectorIbEEZNS1_11reduce_implILb1ES3_N6hipcub16HIPCUB_304000_NS22TransformInputIteratorIb7NonZeroIiEPilEEPllNS8_6detail34convert_binary_result_type_wrapperINS8_3SumESD_lEEEE10hipError_tPvRmT1_T2_T3_mT4_P12ihipStream_tbEUlT_E0_NS1_11comp_targetILNS1_3genE2ELNS1_11target_archE906ELNS1_3gpuE6ELNS1_3repE0EEENS1_30default_config_static_selectorELNS0_4arch9wavefront6targetE0EEEvSM_,@function
_ZN7rocprim17ROCPRIM_400000_NS6detail17trampoline_kernelINS0_14default_configENS1_22reduce_config_selectorIbEEZNS1_11reduce_implILb1ES3_N6hipcub16HIPCUB_304000_NS22TransformInputIteratorIb7NonZeroIiEPilEEPllNS8_6detail34convert_binary_result_type_wrapperINS8_3SumESD_lEEEE10hipError_tPvRmT1_T2_T3_mT4_P12ihipStream_tbEUlT_E0_NS1_11comp_targetILNS1_3genE2ELNS1_11target_archE906ELNS1_3gpuE6ELNS1_3repE0EEENS1_30default_config_static_selectorELNS0_4arch9wavefront6targetE0EEEvSM_: ; @_ZN7rocprim17ROCPRIM_400000_NS6detail17trampoline_kernelINS0_14default_configENS1_22reduce_config_selectorIbEEZNS1_11reduce_implILb1ES3_N6hipcub16HIPCUB_304000_NS22TransformInputIteratorIb7NonZeroIiEPilEEPllNS8_6detail34convert_binary_result_type_wrapperINS8_3SumESD_lEEEE10hipError_tPvRmT1_T2_T3_mT4_P12ihipStream_tbEUlT_E0_NS1_11comp_targetILNS1_3genE2ELNS1_11target_archE906ELNS1_3gpuE6ELNS1_3repE0EEENS1_30default_config_static_selectorELNS0_4arch9wavefront6targetE0EEEvSM_
; %bb.0:
	.section	.rodata,"a",@progbits
	.p2align	6, 0x0
	.amdhsa_kernel _ZN7rocprim17ROCPRIM_400000_NS6detail17trampoline_kernelINS0_14default_configENS1_22reduce_config_selectorIbEEZNS1_11reduce_implILb1ES3_N6hipcub16HIPCUB_304000_NS22TransformInputIteratorIb7NonZeroIiEPilEEPllNS8_6detail34convert_binary_result_type_wrapperINS8_3SumESD_lEEEE10hipError_tPvRmT1_T2_T3_mT4_P12ihipStream_tbEUlT_E0_NS1_11comp_targetILNS1_3genE2ELNS1_11target_archE906ELNS1_3gpuE6ELNS1_3repE0EEENS1_30default_config_static_selectorELNS0_4arch9wavefront6targetE0EEEvSM_
		.amdhsa_group_segment_fixed_size 0
		.amdhsa_private_segment_fixed_size 0
		.amdhsa_kernarg_size 72
		.amdhsa_user_sgpr_count 15
		.amdhsa_user_sgpr_dispatch_ptr 0
		.amdhsa_user_sgpr_queue_ptr 0
		.amdhsa_user_sgpr_kernarg_segment_ptr 1
		.amdhsa_user_sgpr_dispatch_id 0
		.amdhsa_user_sgpr_private_segment_size 0
		.amdhsa_wavefront_size32 1
		.amdhsa_uses_dynamic_stack 0
		.amdhsa_enable_private_segment 0
		.amdhsa_system_sgpr_workgroup_id_x 1
		.amdhsa_system_sgpr_workgroup_id_y 0
		.amdhsa_system_sgpr_workgroup_id_z 0
		.amdhsa_system_sgpr_workgroup_info 0
		.amdhsa_system_vgpr_workitem_id 0
		.amdhsa_next_free_vgpr 1
		.amdhsa_next_free_sgpr 1
		.amdhsa_reserve_vcc 0
		.amdhsa_float_round_mode_32 0
		.amdhsa_float_round_mode_16_64 0
		.amdhsa_float_denorm_mode_32 3
		.amdhsa_float_denorm_mode_16_64 3
		.amdhsa_dx10_clamp 1
		.amdhsa_ieee_mode 1
		.amdhsa_fp16_overflow 0
		.amdhsa_workgroup_processor_mode 1
		.amdhsa_memory_ordered 1
		.amdhsa_forward_progress 0
		.amdhsa_shared_vgpr_count 0
		.amdhsa_exception_fp_ieee_invalid_op 0
		.amdhsa_exception_fp_denorm_src 0
		.amdhsa_exception_fp_ieee_div_zero 0
		.amdhsa_exception_fp_ieee_overflow 0
		.amdhsa_exception_fp_ieee_underflow 0
		.amdhsa_exception_fp_ieee_inexact 0
		.amdhsa_exception_int_div_zero 0
	.end_amdhsa_kernel
	.section	.text._ZN7rocprim17ROCPRIM_400000_NS6detail17trampoline_kernelINS0_14default_configENS1_22reduce_config_selectorIbEEZNS1_11reduce_implILb1ES3_N6hipcub16HIPCUB_304000_NS22TransformInputIteratorIb7NonZeroIiEPilEEPllNS8_6detail34convert_binary_result_type_wrapperINS8_3SumESD_lEEEE10hipError_tPvRmT1_T2_T3_mT4_P12ihipStream_tbEUlT_E0_NS1_11comp_targetILNS1_3genE2ELNS1_11target_archE906ELNS1_3gpuE6ELNS1_3repE0EEENS1_30default_config_static_selectorELNS0_4arch9wavefront6targetE0EEEvSM_,"axG",@progbits,_ZN7rocprim17ROCPRIM_400000_NS6detail17trampoline_kernelINS0_14default_configENS1_22reduce_config_selectorIbEEZNS1_11reduce_implILb1ES3_N6hipcub16HIPCUB_304000_NS22TransformInputIteratorIb7NonZeroIiEPilEEPllNS8_6detail34convert_binary_result_type_wrapperINS8_3SumESD_lEEEE10hipError_tPvRmT1_T2_T3_mT4_P12ihipStream_tbEUlT_E0_NS1_11comp_targetILNS1_3genE2ELNS1_11target_archE906ELNS1_3gpuE6ELNS1_3repE0EEENS1_30default_config_static_selectorELNS0_4arch9wavefront6targetE0EEEvSM_,comdat
.Lfunc_end171:
	.size	_ZN7rocprim17ROCPRIM_400000_NS6detail17trampoline_kernelINS0_14default_configENS1_22reduce_config_selectorIbEEZNS1_11reduce_implILb1ES3_N6hipcub16HIPCUB_304000_NS22TransformInputIteratorIb7NonZeroIiEPilEEPllNS8_6detail34convert_binary_result_type_wrapperINS8_3SumESD_lEEEE10hipError_tPvRmT1_T2_T3_mT4_P12ihipStream_tbEUlT_E0_NS1_11comp_targetILNS1_3genE2ELNS1_11target_archE906ELNS1_3gpuE6ELNS1_3repE0EEENS1_30default_config_static_selectorELNS0_4arch9wavefront6targetE0EEEvSM_, .Lfunc_end171-_ZN7rocprim17ROCPRIM_400000_NS6detail17trampoline_kernelINS0_14default_configENS1_22reduce_config_selectorIbEEZNS1_11reduce_implILb1ES3_N6hipcub16HIPCUB_304000_NS22TransformInputIteratorIb7NonZeroIiEPilEEPllNS8_6detail34convert_binary_result_type_wrapperINS8_3SumESD_lEEEE10hipError_tPvRmT1_T2_T3_mT4_P12ihipStream_tbEUlT_E0_NS1_11comp_targetILNS1_3genE2ELNS1_11target_archE906ELNS1_3gpuE6ELNS1_3repE0EEENS1_30default_config_static_selectorELNS0_4arch9wavefront6targetE0EEEvSM_
                                        ; -- End function
	.section	.AMDGPU.csdata,"",@progbits
; Kernel info:
; codeLenInByte = 0
; NumSgprs: 0
; NumVgprs: 0
; ScratchSize: 0
; MemoryBound: 0
; FloatMode: 240
; IeeeMode: 1
; LDSByteSize: 0 bytes/workgroup (compile time only)
; SGPRBlocks: 0
; VGPRBlocks: 0
; NumSGPRsForWavesPerEU: 1
; NumVGPRsForWavesPerEU: 1
; Occupancy: 16
; WaveLimiterHint : 0
; COMPUTE_PGM_RSRC2:SCRATCH_EN: 0
; COMPUTE_PGM_RSRC2:USER_SGPR: 15
; COMPUTE_PGM_RSRC2:TRAP_HANDLER: 0
; COMPUTE_PGM_RSRC2:TGID_X_EN: 1
; COMPUTE_PGM_RSRC2:TGID_Y_EN: 0
; COMPUTE_PGM_RSRC2:TGID_Z_EN: 0
; COMPUTE_PGM_RSRC2:TIDIG_COMP_CNT: 0
	.section	.text._ZN7rocprim17ROCPRIM_400000_NS6detail17trampoline_kernelINS0_14default_configENS1_22reduce_config_selectorIbEEZNS1_11reduce_implILb1ES3_N6hipcub16HIPCUB_304000_NS22TransformInputIteratorIb7NonZeroIiEPilEEPllNS8_6detail34convert_binary_result_type_wrapperINS8_3SumESD_lEEEE10hipError_tPvRmT1_T2_T3_mT4_P12ihipStream_tbEUlT_E0_NS1_11comp_targetILNS1_3genE10ELNS1_11target_archE1201ELNS1_3gpuE5ELNS1_3repE0EEENS1_30default_config_static_selectorELNS0_4arch9wavefront6targetE0EEEvSM_,"axG",@progbits,_ZN7rocprim17ROCPRIM_400000_NS6detail17trampoline_kernelINS0_14default_configENS1_22reduce_config_selectorIbEEZNS1_11reduce_implILb1ES3_N6hipcub16HIPCUB_304000_NS22TransformInputIteratorIb7NonZeroIiEPilEEPllNS8_6detail34convert_binary_result_type_wrapperINS8_3SumESD_lEEEE10hipError_tPvRmT1_T2_T3_mT4_P12ihipStream_tbEUlT_E0_NS1_11comp_targetILNS1_3genE10ELNS1_11target_archE1201ELNS1_3gpuE5ELNS1_3repE0EEENS1_30default_config_static_selectorELNS0_4arch9wavefront6targetE0EEEvSM_,comdat
	.protected	_ZN7rocprim17ROCPRIM_400000_NS6detail17trampoline_kernelINS0_14default_configENS1_22reduce_config_selectorIbEEZNS1_11reduce_implILb1ES3_N6hipcub16HIPCUB_304000_NS22TransformInputIteratorIb7NonZeroIiEPilEEPllNS8_6detail34convert_binary_result_type_wrapperINS8_3SumESD_lEEEE10hipError_tPvRmT1_T2_T3_mT4_P12ihipStream_tbEUlT_E0_NS1_11comp_targetILNS1_3genE10ELNS1_11target_archE1201ELNS1_3gpuE5ELNS1_3repE0EEENS1_30default_config_static_selectorELNS0_4arch9wavefront6targetE0EEEvSM_ ; -- Begin function _ZN7rocprim17ROCPRIM_400000_NS6detail17trampoline_kernelINS0_14default_configENS1_22reduce_config_selectorIbEEZNS1_11reduce_implILb1ES3_N6hipcub16HIPCUB_304000_NS22TransformInputIteratorIb7NonZeroIiEPilEEPllNS8_6detail34convert_binary_result_type_wrapperINS8_3SumESD_lEEEE10hipError_tPvRmT1_T2_T3_mT4_P12ihipStream_tbEUlT_E0_NS1_11comp_targetILNS1_3genE10ELNS1_11target_archE1201ELNS1_3gpuE5ELNS1_3repE0EEENS1_30default_config_static_selectorELNS0_4arch9wavefront6targetE0EEEvSM_
	.globl	_ZN7rocprim17ROCPRIM_400000_NS6detail17trampoline_kernelINS0_14default_configENS1_22reduce_config_selectorIbEEZNS1_11reduce_implILb1ES3_N6hipcub16HIPCUB_304000_NS22TransformInputIteratorIb7NonZeroIiEPilEEPllNS8_6detail34convert_binary_result_type_wrapperINS8_3SumESD_lEEEE10hipError_tPvRmT1_T2_T3_mT4_P12ihipStream_tbEUlT_E0_NS1_11comp_targetILNS1_3genE10ELNS1_11target_archE1201ELNS1_3gpuE5ELNS1_3repE0EEENS1_30default_config_static_selectorELNS0_4arch9wavefront6targetE0EEEvSM_
	.p2align	8
	.type	_ZN7rocprim17ROCPRIM_400000_NS6detail17trampoline_kernelINS0_14default_configENS1_22reduce_config_selectorIbEEZNS1_11reduce_implILb1ES3_N6hipcub16HIPCUB_304000_NS22TransformInputIteratorIb7NonZeroIiEPilEEPllNS8_6detail34convert_binary_result_type_wrapperINS8_3SumESD_lEEEE10hipError_tPvRmT1_T2_T3_mT4_P12ihipStream_tbEUlT_E0_NS1_11comp_targetILNS1_3genE10ELNS1_11target_archE1201ELNS1_3gpuE5ELNS1_3repE0EEENS1_30default_config_static_selectorELNS0_4arch9wavefront6targetE0EEEvSM_,@function
_ZN7rocprim17ROCPRIM_400000_NS6detail17trampoline_kernelINS0_14default_configENS1_22reduce_config_selectorIbEEZNS1_11reduce_implILb1ES3_N6hipcub16HIPCUB_304000_NS22TransformInputIteratorIb7NonZeroIiEPilEEPllNS8_6detail34convert_binary_result_type_wrapperINS8_3SumESD_lEEEE10hipError_tPvRmT1_T2_T3_mT4_P12ihipStream_tbEUlT_E0_NS1_11comp_targetILNS1_3genE10ELNS1_11target_archE1201ELNS1_3gpuE5ELNS1_3repE0EEENS1_30default_config_static_selectorELNS0_4arch9wavefront6targetE0EEEvSM_: ; @_ZN7rocprim17ROCPRIM_400000_NS6detail17trampoline_kernelINS0_14default_configENS1_22reduce_config_selectorIbEEZNS1_11reduce_implILb1ES3_N6hipcub16HIPCUB_304000_NS22TransformInputIteratorIb7NonZeroIiEPilEEPllNS8_6detail34convert_binary_result_type_wrapperINS8_3SumESD_lEEEE10hipError_tPvRmT1_T2_T3_mT4_P12ihipStream_tbEUlT_E0_NS1_11comp_targetILNS1_3genE10ELNS1_11target_archE1201ELNS1_3gpuE5ELNS1_3repE0EEENS1_30default_config_static_selectorELNS0_4arch9wavefront6targetE0EEEvSM_
; %bb.0:
	.section	.rodata,"a",@progbits
	.p2align	6, 0x0
	.amdhsa_kernel _ZN7rocprim17ROCPRIM_400000_NS6detail17trampoline_kernelINS0_14default_configENS1_22reduce_config_selectorIbEEZNS1_11reduce_implILb1ES3_N6hipcub16HIPCUB_304000_NS22TransformInputIteratorIb7NonZeroIiEPilEEPllNS8_6detail34convert_binary_result_type_wrapperINS8_3SumESD_lEEEE10hipError_tPvRmT1_T2_T3_mT4_P12ihipStream_tbEUlT_E0_NS1_11comp_targetILNS1_3genE10ELNS1_11target_archE1201ELNS1_3gpuE5ELNS1_3repE0EEENS1_30default_config_static_selectorELNS0_4arch9wavefront6targetE0EEEvSM_
		.amdhsa_group_segment_fixed_size 0
		.amdhsa_private_segment_fixed_size 0
		.amdhsa_kernarg_size 72
		.amdhsa_user_sgpr_count 15
		.amdhsa_user_sgpr_dispatch_ptr 0
		.amdhsa_user_sgpr_queue_ptr 0
		.amdhsa_user_sgpr_kernarg_segment_ptr 1
		.amdhsa_user_sgpr_dispatch_id 0
		.amdhsa_user_sgpr_private_segment_size 0
		.amdhsa_wavefront_size32 1
		.amdhsa_uses_dynamic_stack 0
		.amdhsa_enable_private_segment 0
		.amdhsa_system_sgpr_workgroup_id_x 1
		.amdhsa_system_sgpr_workgroup_id_y 0
		.amdhsa_system_sgpr_workgroup_id_z 0
		.amdhsa_system_sgpr_workgroup_info 0
		.amdhsa_system_vgpr_workitem_id 0
		.amdhsa_next_free_vgpr 1
		.amdhsa_next_free_sgpr 1
		.amdhsa_reserve_vcc 0
		.amdhsa_float_round_mode_32 0
		.amdhsa_float_round_mode_16_64 0
		.amdhsa_float_denorm_mode_32 3
		.amdhsa_float_denorm_mode_16_64 3
		.amdhsa_dx10_clamp 1
		.amdhsa_ieee_mode 1
		.amdhsa_fp16_overflow 0
		.amdhsa_workgroup_processor_mode 1
		.amdhsa_memory_ordered 1
		.amdhsa_forward_progress 0
		.amdhsa_shared_vgpr_count 0
		.amdhsa_exception_fp_ieee_invalid_op 0
		.amdhsa_exception_fp_denorm_src 0
		.amdhsa_exception_fp_ieee_div_zero 0
		.amdhsa_exception_fp_ieee_overflow 0
		.amdhsa_exception_fp_ieee_underflow 0
		.amdhsa_exception_fp_ieee_inexact 0
		.amdhsa_exception_int_div_zero 0
	.end_amdhsa_kernel
	.section	.text._ZN7rocprim17ROCPRIM_400000_NS6detail17trampoline_kernelINS0_14default_configENS1_22reduce_config_selectorIbEEZNS1_11reduce_implILb1ES3_N6hipcub16HIPCUB_304000_NS22TransformInputIteratorIb7NonZeroIiEPilEEPllNS8_6detail34convert_binary_result_type_wrapperINS8_3SumESD_lEEEE10hipError_tPvRmT1_T2_T3_mT4_P12ihipStream_tbEUlT_E0_NS1_11comp_targetILNS1_3genE10ELNS1_11target_archE1201ELNS1_3gpuE5ELNS1_3repE0EEENS1_30default_config_static_selectorELNS0_4arch9wavefront6targetE0EEEvSM_,"axG",@progbits,_ZN7rocprim17ROCPRIM_400000_NS6detail17trampoline_kernelINS0_14default_configENS1_22reduce_config_selectorIbEEZNS1_11reduce_implILb1ES3_N6hipcub16HIPCUB_304000_NS22TransformInputIteratorIb7NonZeroIiEPilEEPllNS8_6detail34convert_binary_result_type_wrapperINS8_3SumESD_lEEEE10hipError_tPvRmT1_T2_T3_mT4_P12ihipStream_tbEUlT_E0_NS1_11comp_targetILNS1_3genE10ELNS1_11target_archE1201ELNS1_3gpuE5ELNS1_3repE0EEENS1_30default_config_static_selectorELNS0_4arch9wavefront6targetE0EEEvSM_,comdat
.Lfunc_end172:
	.size	_ZN7rocprim17ROCPRIM_400000_NS6detail17trampoline_kernelINS0_14default_configENS1_22reduce_config_selectorIbEEZNS1_11reduce_implILb1ES3_N6hipcub16HIPCUB_304000_NS22TransformInputIteratorIb7NonZeroIiEPilEEPllNS8_6detail34convert_binary_result_type_wrapperINS8_3SumESD_lEEEE10hipError_tPvRmT1_T2_T3_mT4_P12ihipStream_tbEUlT_E0_NS1_11comp_targetILNS1_3genE10ELNS1_11target_archE1201ELNS1_3gpuE5ELNS1_3repE0EEENS1_30default_config_static_selectorELNS0_4arch9wavefront6targetE0EEEvSM_, .Lfunc_end172-_ZN7rocprim17ROCPRIM_400000_NS6detail17trampoline_kernelINS0_14default_configENS1_22reduce_config_selectorIbEEZNS1_11reduce_implILb1ES3_N6hipcub16HIPCUB_304000_NS22TransformInputIteratorIb7NonZeroIiEPilEEPllNS8_6detail34convert_binary_result_type_wrapperINS8_3SumESD_lEEEE10hipError_tPvRmT1_T2_T3_mT4_P12ihipStream_tbEUlT_E0_NS1_11comp_targetILNS1_3genE10ELNS1_11target_archE1201ELNS1_3gpuE5ELNS1_3repE0EEENS1_30default_config_static_selectorELNS0_4arch9wavefront6targetE0EEEvSM_
                                        ; -- End function
	.section	.AMDGPU.csdata,"",@progbits
; Kernel info:
; codeLenInByte = 0
; NumSgprs: 0
; NumVgprs: 0
; ScratchSize: 0
; MemoryBound: 0
; FloatMode: 240
; IeeeMode: 1
; LDSByteSize: 0 bytes/workgroup (compile time only)
; SGPRBlocks: 0
; VGPRBlocks: 0
; NumSGPRsForWavesPerEU: 1
; NumVGPRsForWavesPerEU: 1
; Occupancy: 16
; WaveLimiterHint : 0
; COMPUTE_PGM_RSRC2:SCRATCH_EN: 0
; COMPUTE_PGM_RSRC2:USER_SGPR: 15
; COMPUTE_PGM_RSRC2:TRAP_HANDLER: 0
; COMPUTE_PGM_RSRC2:TGID_X_EN: 1
; COMPUTE_PGM_RSRC2:TGID_Y_EN: 0
; COMPUTE_PGM_RSRC2:TGID_Z_EN: 0
; COMPUTE_PGM_RSRC2:TIDIG_COMP_CNT: 0
	.section	.text._ZN7rocprim17ROCPRIM_400000_NS6detail17trampoline_kernelINS0_14default_configENS1_22reduce_config_selectorIbEEZNS1_11reduce_implILb1ES3_N6hipcub16HIPCUB_304000_NS22TransformInputIteratorIb7NonZeroIiEPilEEPllNS8_6detail34convert_binary_result_type_wrapperINS8_3SumESD_lEEEE10hipError_tPvRmT1_T2_T3_mT4_P12ihipStream_tbEUlT_E0_NS1_11comp_targetILNS1_3genE10ELNS1_11target_archE1200ELNS1_3gpuE4ELNS1_3repE0EEENS1_30default_config_static_selectorELNS0_4arch9wavefront6targetE0EEEvSM_,"axG",@progbits,_ZN7rocprim17ROCPRIM_400000_NS6detail17trampoline_kernelINS0_14default_configENS1_22reduce_config_selectorIbEEZNS1_11reduce_implILb1ES3_N6hipcub16HIPCUB_304000_NS22TransformInputIteratorIb7NonZeroIiEPilEEPllNS8_6detail34convert_binary_result_type_wrapperINS8_3SumESD_lEEEE10hipError_tPvRmT1_T2_T3_mT4_P12ihipStream_tbEUlT_E0_NS1_11comp_targetILNS1_3genE10ELNS1_11target_archE1200ELNS1_3gpuE4ELNS1_3repE0EEENS1_30default_config_static_selectorELNS0_4arch9wavefront6targetE0EEEvSM_,comdat
	.protected	_ZN7rocprim17ROCPRIM_400000_NS6detail17trampoline_kernelINS0_14default_configENS1_22reduce_config_selectorIbEEZNS1_11reduce_implILb1ES3_N6hipcub16HIPCUB_304000_NS22TransformInputIteratorIb7NonZeroIiEPilEEPllNS8_6detail34convert_binary_result_type_wrapperINS8_3SumESD_lEEEE10hipError_tPvRmT1_T2_T3_mT4_P12ihipStream_tbEUlT_E0_NS1_11comp_targetILNS1_3genE10ELNS1_11target_archE1200ELNS1_3gpuE4ELNS1_3repE0EEENS1_30default_config_static_selectorELNS0_4arch9wavefront6targetE0EEEvSM_ ; -- Begin function _ZN7rocprim17ROCPRIM_400000_NS6detail17trampoline_kernelINS0_14default_configENS1_22reduce_config_selectorIbEEZNS1_11reduce_implILb1ES3_N6hipcub16HIPCUB_304000_NS22TransformInputIteratorIb7NonZeroIiEPilEEPllNS8_6detail34convert_binary_result_type_wrapperINS8_3SumESD_lEEEE10hipError_tPvRmT1_T2_T3_mT4_P12ihipStream_tbEUlT_E0_NS1_11comp_targetILNS1_3genE10ELNS1_11target_archE1200ELNS1_3gpuE4ELNS1_3repE0EEENS1_30default_config_static_selectorELNS0_4arch9wavefront6targetE0EEEvSM_
	.globl	_ZN7rocprim17ROCPRIM_400000_NS6detail17trampoline_kernelINS0_14default_configENS1_22reduce_config_selectorIbEEZNS1_11reduce_implILb1ES3_N6hipcub16HIPCUB_304000_NS22TransformInputIteratorIb7NonZeroIiEPilEEPllNS8_6detail34convert_binary_result_type_wrapperINS8_3SumESD_lEEEE10hipError_tPvRmT1_T2_T3_mT4_P12ihipStream_tbEUlT_E0_NS1_11comp_targetILNS1_3genE10ELNS1_11target_archE1200ELNS1_3gpuE4ELNS1_3repE0EEENS1_30default_config_static_selectorELNS0_4arch9wavefront6targetE0EEEvSM_
	.p2align	8
	.type	_ZN7rocprim17ROCPRIM_400000_NS6detail17trampoline_kernelINS0_14default_configENS1_22reduce_config_selectorIbEEZNS1_11reduce_implILb1ES3_N6hipcub16HIPCUB_304000_NS22TransformInputIteratorIb7NonZeroIiEPilEEPllNS8_6detail34convert_binary_result_type_wrapperINS8_3SumESD_lEEEE10hipError_tPvRmT1_T2_T3_mT4_P12ihipStream_tbEUlT_E0_NS1_11comp_targetILNS1_3genE10ELNS1_11target_archE1200ELNS1_3gpuE4ELNS1_3repE0EEENS1_30default_config_static_selectorELNS0_4arch9wavefront6targetE0EEEvSM_,@function
_ZN7rocprim17ROCPRIM_400000_NS6detail17trampoline_kernelINS0_14default_configENS1_22reduce_config_selectorIbEEZNS1_11reduce_implILb1ES3_N6hipcub16HIPCUB_304000_NS22TransformInputIteratorIb7NonZeroIiEPilEEPllNS8_6detail34convert_binary_result_type_wrapperINS8_3SumESD_lEEEE10hipError_tPvRmT1_T2_T3_mT4_P12ihipStream_tbEUlT_E0_NS1_11comp_targetILNS1_3genE10ELNS1_11target_archE1200ELNS1_3gpuE4ELNS1_3repE0EEENS1_30default_config_static_selectorELNS0_4arch9wavefront6targetE0EEEvSM_: ; @_ZN7rocprim17ROCPRIM_400000_NS6detail17trampoline_kernelINS0_14default_configENS1_22reduce_config_selectorIbEEZNS1_11reduce_implILb1ES3_N6hipcub16HIPCUB_304000_NS22TransformInputIteratorIb7NonZeroIiEPilEEPllNS8_6detail34convert_binary_result_type_wrapperINS8_3SumESD_lEEEE10hipError_tPvRmT1_T2_T3_mT4_P12ihipStream_tbEUlT_E0_NS1_11comp_targetILNS1_3genE10ELNS1_11target_archE1200ELNS1_3gpuE4ELNS1_3repE0EEENS1_30default_config_static_selectorELNS0_4arch9wavefront6targetE0EEEvSM_
; %bb.0:
	.section	.rodata,"a",@progbits
	.p2align	6, 0x0
	.amdhsa_kernel _ZN7rocprim17ROCPRIM_400000_NS6detail17trampoline_kernelINS0_14default_configENS1_22reduce_config_selectorIbEEZNS1_11reduce_implILb1ES3_N6hipcub16HIPCUB_304000_NS22TransformInputIteratorIb7NonZeroIiEPilEEPllNS8_6detail34convert_binary_result_type_wrapperINS8_3SumESD_lEEEE10hipError_tPvRmT1_T2_T3_mT4_P12ihipStream_tbEUlT_E0_NS1_11comp_targetILNS1_3genE10ELNS1_11target_archE1200ELNS1_3gpuE4ELNS1_3repE0EEENS1_30default_config_static_selectorELNS0_4arch9wavefront6targetE0EEEvSM_
		.amdhsa_group_segment_fixed_size 0
		.amdhsa_private_segment_fixed_size 0
		.amdhsa_kernarg_size 72
		.amdhsa_user_sgpr_count 15
		.amdhsa_user_sgpr_dispatch_ptr 0
		.amdhsa_user_sgpr_queue_ptr 0
		.amdhsa_user_sgpr_kernarg_segment_ptr 1
		.amdhsa_user_sgpr_dispatch_id 0
		.amdhsa_user_sgpr_private_segment_size 0
		.amdhsa_wavefront_size32 1
		.amdhsa_uses_dynamic_stack 0
		.amdhsa_enable_private_segment 0
		.amdhsa_system_sgpr_workgroup_id_x 1
		.amdhsa_system_sgpr_workgroup_id_y 0
		.amdhsa_system_sgpr_workgroup_id_z 0
		.amdhsa_system_sgpr_workgroup_info 0
		.amdhsa_system_vgpr_workitem_id 0
		.amdhsa_next_free_vgpr 1
		.amdhsa_next_free_sgpr 1
		.amdhsa_reserve_vcc 0
		.amdhsa_float_round_mode_32 0
		.amdhsa_float_round_mode_16_64 0
		.amdhsa_float_denorm_mode_32 3
		.amdhsa_float_denorm_mode_16_64 3
		.amdhsa_dx10_clamp 1
		.amdhsa_ieee_mode 1
		.amdhsa_fp16_overflow 0
		.amdhsa_workgroup_processor_mode 1
		.amdhsa_memory_ordered 1
		.amdhsa_forward_progress 0
		.amdhsa_shared_vgpr_count 0
		.amdhsa_exception_fp_ieee_invalid_op 0
		.amdhsa_exception_fp_denorm_src 0
		.amdhsa_exception_fp_ieee_div_zero 0
		.amdhsa_exception_fp_ieee_overflow 0
		.amdhsa_exception_fp_ieee_underflow 0
		.amdhsa_exception_fp_ieee_inexact 0
		.amdhsa_exception_int_div_zero 0
	.end_amdhsa_kernel
	.section	.text._ZN7rocprim17ROCPRIM_400000_NS6detail17trampoline_kernelINS0_14default_configENS1_22reduce_config_selectorIbEEZNS1_11reduce_implILb1ES3_N6hipcub16HIPCUB_304000_NS22TransformInputIteratorIb7NonZeroIiEPilEEPllNS8_6detail34convert_binary_result_type_wrapperINS8_3SumESD_lEEEE10hipError_tPvRmT1_T2_T3_mT4_P12ihipStream_tbEUlT_E0_NS1_11comp_targetILNS1_3genE10ELNS1_11target_archE1200ELNS1_3gpuE4ELNS1_3repE0EEENS1_30default_config_static_selectorELNS0_4arch9wavefront6targetE0EEEvSM_,"axG",@progbits,_ZN7rocprim17ROCPRIM_400000_NS6detail17trampoline_kernelINS0_14default_configENS1_22reduce_config_selectorIbEEZNS1_11reduce_implILb1ES3_N6hipcub16HIPCUB_304000_NS22TransformInputIteratorIb7NonZeroIiEPilEEPllNS8_6detail34convert_binary_result_type_wrapperINS8_3SumESD_lEEEE10hipError_tPvRmT1_T2_T3_mT4_P12ihipStream_tbEUlT_E0_NS1_11comp_targetILNS1_3genE10ELNS1_11target_archE1200ELNS1_3gpuE4ELNS1_3repE0EEENS1_30default_config_static_selectorELNS0_4arch9wavefront6targetE0EEEvSM_,comdat
.Lfunc_end173:
	.size	_ZN7rocprim17ROCPRIM_400000_NS6detail17trampoline_kernelINS0_14default_configENS1_22reduce_config_selectorIbEEZNS1_11reduce_implILb1ES3_N6hipcub16HIPCUB_304000_NS22TransformInputIteratorIb7NonZeroIiEPilEEPllNS8_6detail34convert_binary_result_type_wrapperINS8_3SumESD_lEEEE10hipError_tPvRmT1_T2_T3_mT4_P12ihipStream_tbEUlT_E0_NS1_11comp_targetILNS1_3genE10ELNS1_11target_archE1200ELNS1_3gpuE4ELNS1_3repE0EEENS1_30default_config_static_selectorELNS0_4arch9wavefront6targetE0EEEvSM_, .Lfunc_end173-_ZN7rocprim17ROCPRIM_400000_NS6detail17trampoline_kernelINS0_14default_configENS1_22reduce_config_selectorIbEEZNS1_11reduce_implILb1ES3_N6hipcub16HIPCUB_304000_NS22TransformInputIteratorIb7NonZeroIiEPilEEPllNS8_6detail34convert_binary_result_type_wrapperINS8_3SumESD_lEEEE10hipError_tPvRmT1_T2_T3_mT4_P12ihipStream_tbEUlT_E0_NS1_11comp_targetILNS1_3genE10ELNS1_11target_archE1200ELNS1_3gpuE4ELNS1_3repE0EEENS1_30default_config_static_selectorELNS0_4arch9wavefront6targetE0EEEvSM_
                                        ; -- End function
	.section	.AMDGPU.csdata,"",@progbits
; Kernel info:
; codeLenInByte = 0
; NumSgprs: 0
; NumVgprs: 0
; ScratchSize: 0
; MemoryBound: 0
; FloatMode: 240
; IeeeMode: 1
; LDSByteSize: 0 bytes/workgroup (compile time only)
; SGPRBlocks: 0
; VGPRBlocks: 0
; NumSGPRsForWavesPerEU: 1
; NumVGPRsForWavesPerEU: 1
; Occupancy: 16
; WaveLimiterHint : 0
; COMPUTE_PGM_RSRC2:SCRATCH_EN: 0
; COMPUTE_PGM_RSRC2:USER_SGPR: 15
; COMPUTE_PGM_RSRC2:TRAP_HANDLER: 0
; COMPUTE_PGM_RSRC2:TGID_X_EN: 1
; COMPUTE_PGM_RSRC2:TGID_Y_EN: 0
; COMPUTE_PGM_RSRC2:TGID_Z_EN: 0
; COMPUTE_PGM_RSRC2:TIDIG_COMP_CNT: 0
	.section	.text._ZN7rocprim17ROCPRIM_400000_NS6detail17trampoline_kernelINS0_14default_configENS1_22reduce_config_selectorIbEEZNS1_11reduce_implILb1ES3_N6hipcub16HIPCUB_304000_NS22TransformInputIteratorIb7NonZeroIiEPilEEPllNS8_6detail34convert_binary_result_type_wrapperINS8_3SumESD_lEEEE10hipError_tPvRmT1_T2_T3_mT4_P12ihipStream_tbEUlT_E0_NS1_11comp_targetILNS1_3genE9ELNS1_11target_archE1100ELNS1_3gpuE3ELNS1_3repE0EEENS1_30default_config_static_selectorELNS0_4arch9wavefront6targetE0EEEvSM_,"axG",@progbits,_ZN7rocprim17ROCPRIM_400000_NS6detail17trampoline_kernelINS0_14default_configENS1_22reduce_config_selectorIbEEZNS1_11reduce_implILb1ES3_N6hipcub16HIPCUB_304000_NS22TransformInputIteratorIb7NonZeroIiEPilEEPllNS8_6detail34convert_binary_result_type_wrapperINS8_3SumESD_lEEEE10hipError_tPvRmT1_T2_T3_mT4_P12ihipStream_tbEUlT_E0_NS1_11comp_targetILNS1_3genE9ELNS1_11target_archE1100ELNS1_3gpuE3ELNS1_3repE0EEENS1_30default_config_static_selectorELNS0_4arch9wavefront6targetE0EEEvSM_,comdat
	.protected	_ZN7rocprim17ROCPRIM_400000_NS6detail17trampoline_kernelINS0_14default_configENS1_22reduce_config_selectorIbEEZNS1_11reduce_implILb1ES3_N6hipcub16HIPCUB_304000_NS22TransformInputIteratorIb7NonZeroIiEPilEEPllNS8_6detail34convert_binary_result_type_wrapperINS8_3SumESD_lEEEE10hipError_tPvRmT1_T2_T3_mT4_P12ihipStream_tbEUlT_E0_NS1_11comp_targetILNS1_3genE9ELNS1_11target_archE1100ELNS1_3gpuE3ELNS1_3repE0EEENS1_30default_config_static_selectorELNS0_4arch9wavefront6targetE0EEEvSM_ ; -- Begin function _ZN7rocprim17ROCPRIM_400000_NS6detail17trampoline_kernelINS0_14default_configENS1_22reduce_config_selectorIbEEZNS1_11reduce_implILb1ES3_N6hipcub16HIPCUB_304000_NS22TransformInputIteratorIb7NonZeroIiEPilEEPllNS8_6detail34convert_binary_result_type_wrapperINS8_3SumESD_lEEEE10hipError_tPvRmT1_T2_T3_mT4_P12ihipStream_tbEUlT_E0_NS1_11comp_targetILNS1_3genE9ELNS1_11target_archE1100ELNS1_3gpuE3ELNS1_3repE0EEENS1_30default_config_static_selectorELNS0_4arch9wavefront6targetE0EEEvSM_
	.globl	_ZN7rocprim17ROCPRIM_400000_NS6detail17trampoline_kernelINS0_14default_configENS1_22reduce_config_selectorIbEEZNS1_11reduce_implILb1ES3_N6hipcub16HIPCUB_304000_NS22TransformInputIteratorIb7NonZeroIiEPilEEPllNS8_6detail34convert_binary_result_type_wrapperINS8_3SumESD_lEEEE10hipError_tPvRmT1_T2_T3_mT4_P12ihipStream_tbEUlT_E0_NS1_11comp_targetILNS1_3genE9ELNS1_11target_archE1100ELNS1_3gpuE3ELNS1_3repE0EEENS1_30default_config_static_selectorELNS0_4arch9wavefront6targetE0EEEvSM_
	.p2align	8
	.type	_ZN7rocprim17ROCPRIM_400000_NS6detail17trampoline_kernelINS0_14default_configENS1_22reduce_config_selectorIbEEZNS1_11reduce_implILb1ES3_N6hipcub16HIPCUB_304000_NS22TransformInputIteratorIb7NonZeroIiEPilEEPllNS8_6detail34convert_binary_result_type_wrapperINS8_3SumESD_lEEEE10hipError_tPvRmT1_T2_T3_mT4_P12ihipStream_tbEUlT_E0_NS1_11comp_targetILNS1_3genE9ELNS1_11target_archE1100ELNS1_3gpuE3ELNS1_3repE0EEENS1_30default_config_static_selectorELNS0_4arch9wavefront6targetE0EEEvSM_,@function
_ZN7rocprim17ROCPRIM_400000_NS6detail17trampoline_kernelINS0_14default_configENS1_22reduce_config_selectorIbEEZNS1_11reduce_implILb1ES3_N6hipcub16HIPCUB_304000_NS22TransformInputIteratorIb7NonZeroIiEPilEEPllNS8_6detail34convert_binary_result_type_wrapperINS8_3SumESD_lEEEE10hipError_tPvRmT1_T2_T3_mT4_P12ihipStream_tbEUlT_E0_NS1_11comp_targetILNS1_3genE9ELNS1_11target_archE1100ELNS1_3gpuE3ELNS1_3repE0EEENS1_30default_config_static_selectorELNS0_4arch9wavefront6targetE0EEEvSM_: ; @_ZN7rocprim17ROCPRIM_400000_NS6detail17trampoline_kernelINS0_14default_configENS1_22reduce_config_selectorIbEEZNS1_11reduce_implILb1ES3_N6hipcub16HIPCUB_304000_NS22TransformInputIteratorIb7NonZeroIiEPilEEPllNS8_6detail34convert_binary_result_type_wrapperINS8_3SumESD_lEEEE10hipError_tPvRmT1_T2_T3_mT4_P12ihipStream_tbEUlT_E0_NS1_11comp_targetILNS1_3genE9ELNS1_11target_archE1100ELNS1_3gpuE3ELNS1_3repE0EEENS1_30default_config_static_selectorELNS0_4arch9wavefront6targetE0EEEvSM_
; %bb.0:
	s_clause 0x2
	s_load_b256 s[16:23], s[0:1], 0x10
	s_load_b64 s[4:5], s[0:1], 0x0
	s_load_b128 s[24:27], s[0:1], 0x30
	s_mov_b32 s3, 0
	v_lshlrev_b32_e32 v34, 2, v0
	v_mbcnt_lo_u32_b32 v33, -1, 0
	s_mov_b32 s28, s15
	s_mov_b32 s29, s3
	s_waitcnt lgkmcnt(0)
	s_lshl_b64 s[0:1], s[16:17], 2
	s_delay_alu instid0(SALU_CYCLE_1) | instskip(SKIP_4) | instid1(SALU_CYCLE_1)
	s_add_u32 s6, s4, s0
	s_addc_u32 s7, s5, s1
	s_lshl_b32 s2, s15, 11
	s_lshr_b64 s[4:5], s[18:19], 11
	s_lshl_b64 s[0:1], s[2:3], 2
	s_add_u32 s14, s6, s0
	s_addc_u32 s15, s7, s1
	s_cmp_lg_u64 s[4:5], s[28:29]
	s_cbranch_scc0 .LBB174_6
; %bb.1:
	s_clause 0x6
	global_load_b32 v3, v34, s[14:15]
	global_load_b32 v4, v34, s[14:15] offset:512
	global_load_b32 v5, v34, s[14:15] offset:1024
	global_load_b32 v6, v34, s[14:15] offset:1536
	global_load_b32 v7, v34, s[14:15] offset:2048
	global_load_b32 v8, v34, s[14:15] offset:2560
	global_load_b32 v9, v34, s[14:15] offset:3072
	v_add_co_u32 v1, s0, s14, v34
	global_load_b32 v10, v34, s[14:15] offset:3584
	v_add_co_ci_u32_e64 v2, null, s15, 0, s0
	v_add_co_u32 v1, vcc_lo, 0x1000, v1
	s_delay_alu instid0(VALU_DEP_2)
	v_add_co_ci_u32_e32 v2, vcc_lo, 0, v2, vcc_lo
	s_clause 0x7
	global_load_b32 v11, v[1:2], off
	global_load_b32 v12, v[1:2], off offset:512
	global_load_b32 v13, v[1:2], off offset:1024
	;; [unrolled: 1-line block ×7, first 2 shown]
	s_waitcnt vmcnt(15)
	v_cmp_ne_u32_e32 vcc_lo, 0, v3
	v_cndmask_b32_e64 v2, 0, 1, vcc_lo
	s_waitcnt vmcnt(14)
	v_cmp_ne_u32_e32 vcc_lo, 0, v4
	v_cndmask_b32_e64 v3, 0, 1, vcc_lo
	s_waitcnt vmcnt(13)
	v_cmp_ne_u32_e32 vcc_lo, 0, v5
	s_delay_alu instid0(VALU_DEP_2)
	v_add_co_u32 v2, s0, v3, v2
	v_cndmask_b32_e64 v4, 0, 1, vcc_lo
	s_waitcnt vmcnt(12)
	v_cmp_ne_u32_e32 vcc_lo, 0, v6
	v_add_co_ci_u32_e64 v5, null, 0, 0, s0
	s_waitcnt vmcnt(11)
	v_cmp_ne_u32_e64 s0, 0, v7
	v_cndmask_b32_e64 v3, 0, 1, vcc_lo
	v_add_co_u32 v2, vcc_lo, v2, v4
	v_add_co_ci_u32_e32 v5, vcc_lo, 0, v5, vcc_lo
	s_delay_alu instid0(VALU_DEP_4) | instskip(NEXT) | instid1(VALU_DEP_3)
	v_cndmask_b32_e64 v4, 0, 1, s0
	v_add_co_u32 v2, vcc_lo, v2, v3
	s_waitcnt vmcnt(10)
	v_cmp_ne_u32_e64 s0, 0, v8
	v_add_co_ci_u32_e32 v5, vcc_lo, 0, v5, vcc_lo
	s_delay_alu instid0(VALU_DEP_3) | instskip(NEXT) | instid1(VALU_DEP_3)
	v_add_co_u32 v2, vcc_lo, v2, v4
	v_cndmask_b32_e64 v3, 0, 1, s0
	s_waitcnt vmcnt(9)
	v_cmp_ne_u32_e64 s0, 0, v9
	v_add_co_ci_u32_e32 v5, vcc_lo, 0, v5, vcc_lo
	s_delay_alu instid0(VALU_DEP_3) | instskip(NEXT) | instid1(VALU_DEP_3)
	v_add_co_u32 v2, vcc_lo, v2, v3
	v_cndmask_b32_e64 v4, 0, 1, s0
	;; [unrolled: 6-line block ×11, first 2 shown]
	s_delay_alu instid0(VALU_DEP_3) | instskip(SKIP_2) | instid1(VALU_DEP_3)
	v_add_co_ci_u32_e32 v3, vcc_lo, 0, v3, vcc_lo
	v_mov_b32_e32 v4, 0
	s_mov_b32 s0, exec_lo
	v_add_co_u32 v1, vcc_lo, v2, v1
	s_delay_alu instid0(VALU_DEP_3) | instskip(NEXT) | instid1(VALU_DEP_2)
	v_add_co_ci_u32_e32 v2, vcc_lo, 0, v3, vcc_lo
	v_mov_b32_dpp v3, v1 quad_perm:[1,0,3,2] row_mask:0xf bank_mask:0xf
	s_delay_alu instid0(VALU_DEP_1) | instskip(SKIP_1) | instid1(VALU_DEP_4)
	v_add_co_u32 v1, vcc_lo, v1, v3
	v_mov_b32_dpp v3, v4 quad_perm:[1,0,3,2] row_mask:0xf bank_mask:0xf
	v_add_co_ci_u32_e32 v2, vcc_lo, 0, v2, vcc_lo
	s_delay_alu instid0(VALU_DEP_3) | instskip(SKIP_1) | instid1(VALU_DEP_3)
	v_mov_b32_dpp v5, v1 quad_perm:[2,3,0,1] row_mask:0xf bank_mask:0xf
	v_add_co_u32 v1, vcc_lo, 0, v1
	v_add_co_ci_u32_e32 v2, vcc_lo, v3, v2, vcc_lo
	s_delay_alu instid0(VALU_DEP_2) | instskip(NEXT) | instid1(VALU_DEP_2)
	v_add_co_u32 v1, vcc_lo, v1, v5
	v_mov_b32_dpp v3, v2 quad_perm:[2,3,0,1] row_mask:0xf bank_mask:0xf
	v_add_co_ci_u32_e32 v2, vcc_lo, 0, v2, vcc_lo
	s_delay_alu instid0(VALU_DEP_3) | instskip(SKIP_1) | instid1(VALU_DEP_3)
	v_mov_b32_dpp v5, v1 row_ror:4 row_mask:0xf bank_mask:0xf
	v_add_co_u32 v1, vcc_lo, v1, 0
	v_add_co_ci_u32_e32 v2, vcc_lo, v2, v3, vcc_lo
	s_delay_alu instid0(VALU_DEP_2) | instskip(NEXT) | instid1(VALU_DEP_2)
	v_add_co_u32 v1, vcc_lo, v1, v5
	v_mov_b32_dpp v3, v2 row_ror:4 row_mask:0xf bank_mask:0xf
	v_add_co_ci_u32_e32 v2, vcc_lo, 0, v2, vcc_lo
	s_delay_alu instid0(VALU_DEP_3) | instskip(SKIP_1) | instid1(VALU_DEP_3)
	v_mov_b32_dpp v5, v1 row_ror:8 row_mask:0xf bank_mask:0xf
	v_add_co_u32 v1, vcc_lo, v1, 0
	v_add_co_ci_u32_e32 v2, vcc_lo, v2, v3, vcc_lo
	s_delay_alu instid0(VALU_DEP_2) | instskip(NEXT) | instid1(VALU_DEP_2)
	v_add_co_u32 v1, vcc_lo, v1, v5
	v_mov_b32_dpp v3, v2 row_ror:8 row_mask:0xf bank_mask:0xf
	v_add_co_ci_u32_e32 v2, vcc_lo, 0, v2, vcc_lo
	ds_swizzle_b32 v5, v1 offset:swizzle(BROADCAST,32,15)
	v_add_co_u32 v1, vcc_lo, v1, 0
	v_add_co_ci_u32_e32 v2, vcc_lo, v2, v3, vcc_lo
	ds_swizzle_b32 v3, v2 offset:swizzle(BROADCAST,32,15)
	s_waitcnt lgkmcnt(1)
	v_add_co_u32 v1, vcc_lo, v1, v5
	v_add_co_ci_u32_e32 v2, vcc_lo, 0, v2, vcc_lo
	ds_bpermute_b32 v1, v4, v1 offset:124
	s_waitcnt lgkmcnt(1)
	v_add_nc_u32_e32 v2, v3, v2
	ds_bpermute_b32 v2, v4, v2 offset:124
	v_cmpx_eq_u32_e32 0, v33
	s_cbranch_execz .LBB174_3
; %bb.2:
	v_lshrrev_b32_e32 v3, 2, v0
	s_delay_alu instid0(VALU_DEP_1)
	v_and_b32_e32 v3, 24, v3
	s_waitcnt lgkmcnt(0)
	ds_store_b64 v3, v[1:2]
.LBB174_3:
	s_or_b32 exec_lo, exec_lo, s0
	s_delay_alu instid0(SALU_CYCLE_1)
	s_mov_b32 s0, exec_lo
	s_waitcnt lgkmcnt(0)
	s_barrier
	buffer_gl0_inv
	v_cmpx_gt_u32_e32 32, v0
	s_cbranch_execz .LBB174_5
; %bb.4:
	v_and_b32_e32 v3, 3, v33
	s_delay_alu instid0(VALU_DEP_1) | instskip(SKIP_4) | instid1(VALU_DEP_2)
	v_lshlrev_b32_e32 v1, 3, v3
	v_cmp_ne_u32_e32 vcc_lo, 3, v3
	ds_load_b64 v[1:2], v1
	v_add_co_ci_u32_e32 v4, vcc_lo, 0, v33, vcc_lo
	v_cmp_gt_u32_e32 vcc_lo, 2, v3
	v_lshlrev_b32_e32 v4, 2, v4
	v_cndmask_b32_e64 v3, 0, 1, vcc_lo
	s_delay_alu instid0(VALU_DEP_1) | instskip(NEXT) | instid1(VALU_DEP_1)
	v_lshlrev_b32_e32 v3, 1, v3
	v_add_lshl_u32 v3, v3, v33, 2
	s_waitcnt lgkmcnt(0)
	ds_bpermute_b32 v5, v4, v1
	ds_bpermute_b32 v4, v4, v2
	s_waitcnt lgkmcnt(1)
	v_add_co_u32 v1, vcc_lo, v1, v5
	v_add_co_ci_u32_e32 v2, vcc_lo, 0, v2, vcc_lo
	ds_bpermute_b32 v5, v3, v1
	v_add_co_u32 v1, vcc_lo, 0, v1
	s_waitcnt lgkmcnt(1)
	v_add_co_ci_u32_e32 v2, vcc_lo, v4, v2, vcc_lo
	ds_bpermute_b32 v3, v3, v2
	s_waitcnt lgkmcnt(1)
	v_add_co_u32 v1, vcc_lo, v1, v5
	v_add_co_ci_u32_e32 v2, vcc_lo, 0, v2, vcc_lo
	s_delay_alu instid0(VALU_DEP_2) | instskip(SKIP_1) | instid1(VALU_DEP_2)
	v_add_co_u32 v1, vcc_lo, v1, 0
	s_waitcnt lgkmcnt(0)
	v_add_co_ci_u32_e32 v2, vcc_lo, v2, v3, vcc_lo
.LBB174_5:
	s_or_b32 exec_lo, exec_lo, s0
	s_branch .LBB174_58
.LBB174_6:
                                        ; implicit-def: $vgpr1_vgpr2
	s_cbranch_execz .LBB174_58
; %bb.7:
	s_sub_i32 s16, s18, s2
	s_mov_b32 s0, exec_lo
                                        ; implicit-def: $vgpr1_vgpr2_vgpr3_vgpr4_vgpr5_vgpr6_vgpr7_vgpr8_vgpr9_vgpr10_vgpr11_vgpr12_vgpr13_vgpr14_vgpr15_vgpr16_vgpr17_vgpr18_vgpr19_vgpr20_vgpr21_vgpr22_vgpr23_vgpr24_vgpr25_vgpr26_vgpr27_vgpr28_vgpr29_vgpr30_vgpr31_vgpr32
	v_cmpx_gt_u32_e64 s16, v0
	s_cbranch_execz .LBB174_9
; %bb.8:
	global_load_b32 v1, v34, s[14:15]
	v_mov_b32_e32 v2, 0
	s_waitcnt vmcnt(0)
	v_cmp_ne_u32_e32 vcc_lo, 0, v1
	v_cndmask_b32_e64 v1, 0, 1, vcc_lo
.LBB174_9:
	s_or_b32 exec_lo, exec_lo, s0
	v_or_b32_e32 v35, 0x80, v0
	s_delay_alu instid0(VALU_DEP_1)
	v_cmp_gt_u32_e32 vcc_lo, s16, v35
	s_and_saveexec_b32 s1, vcc_lo
	s_cbranch_execz .LBB174_11
; %bb.10:
	global_load_b32 v3, v34, s[14:15] offset:512
	v_mov_b32_e32 v4, 0
	s_waitcnt vmcnt(0)
	v_cmp_ne_u32_e64 s0, 0, v3
	s_delay_alu instid0(VALU_DEP_1)
	v_cndmask_b32_e64 v3, 0, 1, s0
.LBB174_11:
	s_or_b32 exec_lo, exec_lo, s1
	v_or_b32_e32 v35, 0x100, v0
	s_delay_alu instid0(VALU_DEP_1) | instskip(NEXT) | instid1(VALU_DEP_1)
	v_cmp_gt_u32_e64 s0, s16, v35
	s_and_saveexec_b32 s2, s0
	s_cbranch_execz .LBB174_13
; %bb.12:
	global_load_b32 v5, v34, s[14:15] offset:1024
	v_mov_b32_e32 v6, 0
	s_waitcnt vmcnt(0)
	v_cmp_ne_u32_e64 s1, 0, v5
	s_delay_alu instid0(VALU_DEP_1)
	v_cndmask_b32_e64 v5, 0, 1, s1
.LBB174_13:
	s_or_b32 exec_lo, exec_lo, s2
	v_or_b32_e32 v35, 0x180, v0
	s_delay_alu instid0(VALU_DEP_1) | instskip(NEXT) | instid1(VALU_DEP_1)
	v_cmp_gt_u32_e64 s1, s16, v35
	s_and_saveexec_b32 s3, s1
	;; [unrolled: 14-line block ×7, first 2 shown]
	s_cbranch_execz .LBB174_25
; %bb.24:
	v_dual_mov_b32 v18, 0 :: v_dual_lshlrev_b32 v17, 2, v34
	global_load_b32 v17, v17, s[14:15]
	s_waitcnt vmcnt(0)
	v_cmp_ne_u32_e64 s7, 0, v17
	s_delay_alu instid0(VALU_DEP_1)
	v_cndmask_b32_e64 v17, 0, 1, s7
.LBB174_25:
	s_or_b32 exec_lo, exec_lo, s8
	v_or_b32_e32 v34, 0x480, v0
	s_delay_alu instid0(VALU_DEP_1) | instskip(NEXT) | instid1(VALU_DEP_1)
	v_cmp_gt_u32_e64 s7, s16, v34
	s_and_saveexec_b32 s9, s7
	s_cbranch_execz .LBB174_27
; %bb.26:
	v_dual_mov_b32 v20, 0 :: v_dual_lshlrev_b32 v19, 2, v34
	global_load_b32 v19, v19, s[14:15]
	s_waitcnt vmcnt(0)
	v_cmp_ne_u32_e64 s8, 0, v19
	s_delay_alu instid0(VALU_DEP_1)
	v_cndmask_b32_e64 v19, 0, 1, s8
.LBB174_27:
	s_or_b32 exec_lo, exec_lo, s9
	v_or_b32_e32 v34, 0x500, v0
	s_delay_alu instid0(VALU_DEP_1) | instskip(NEXT) | instid1(VALU_DEP_1)
	v_cmp_gt_u32_e64 s8, s16, v34
	s_and_saveexec_b32 s10, s8
	;; [unrolled: 14-line block ×7, first 2 shown]
	s_cbranch_execz .LBB174_39
; %bb.38:
	v_dual_mov_b32 v32, 0 :: v_dual_lshlrev_b32 v31, 2, v34
	global_load_b32 v31, v31, s[14:15]
	s_waitcnt vmcnt(0)
	v_cmp_ne_u32_e64 s14, 0, v31
	s_delay_alu instid0(VALU_DEP_1)
	v_cndmask_b32_e64 v31, 0, 1, s14
.LBB174_39:
	s_or_b32 exec_lo, exec_lo, s17
	v_dual_cndmask_b32 v3, 0, v3 :: v_dual_cndmask_b32 v4, 0, v4
	v_cndmask_b32_e64 v5, 0, v5, s0
	v_cndmask_b32_e64 v6, 0, v6, s0
	s_min_u32 s0, s16, 0x80
	s_delay_alu instid0(VALU_DEP_3) | instskip(SKIP_2) | instid1(VALU_DEP_3)
	v_add_co_u32 v1, vcc_lo, v3, v1
	v_add_co_ci_u32_e32 v2, vcc_lo, v4, v2, vcc_lo
	v_cndmask_b32_e64 v3, 0, v7, s1
	v_add_co_u32 v1, vcc_lo, v1, v5
	s_delay_alu instid0(VALU_DEP_3) | instskip(SKIP_2) | instid1(VALU_DEP_4)
	v_add_co_ci_u32_e32 v2, vcc_lo, v2, v6, vcc_lo
	v_cndmask_b32_e64 v4, 0, v8, s1
	v_cndmask_b32_e64 v5, 0, v9, s2
	v_add_co_u32 v1, vcc_lo, v1, v3
	v_cndmask_b32_e64 v3, 0, v10, s2
	s_delay_alu instid0(VALU_DEP_4) | instskip(SKIP_1) | instid1(VALU_DEP_4)
	v_add_co_ci_u32_e32 v2, vcc_lo, v2, v4, vcc_lo
	v_cndmask_b32_e64 v4, 0, v11, s3
	v_add_co_u32 v1, vcc_lo, v1, v5
	s_delay_alu instid0(VALU_DEP_3) | instskip(SKIP_2) | instid1(VALU_DEP_4)
	v_add_co_ci_u32_e32 v2, vcc_lo, v2, v3, vcc_lo
	v_cndmask_b32_e64 v3, 0, v12, s3
	v_cndmask_b32_e64 v5, 0, v13, s4
	v_add_co_u32 v1, vcc_lo, v1, v4
	v_cndmask_b32_e64 v4, 0, v15, s5
	s_delay_alu instid0(VALU_DEP_4) | instskip(SKIP_1) | instid1(VALU_DEP_4)
	v_add_co_ci_u32_e32 v2, vcc_lo, v2, v3, vcc_lo
	v_cndmask_b32_e64 v3, 0, v14, s4
	v_add_co_u32 v1, vcc_lo, v1, v5
	v_cndmask_b32_e64 v5, 0, v17, s6
	s_delay_alu instid0(VALU_DEP_3) | instskip(SKIP_1) | instid1(VALU_DEP_4)
	v_add_co_ci_u32_e32 v2, vcc_lo, v2, v3, vcc_lo
	v_cndmask_b32_e64 v3, 0, v16, s5
	v_add_co_u32 v1, vcc_lo, v1, v4
	v_cndmask_b32_e64 v4, 0, v19, s7
	s_delay_alu instid0(VALU_DEP_3) | instskip(SKIP_1) | instid1(VALU_DEP_4)
	;; [unrolled: 5-line block ×7, first 2 shown]
	v_add_co_ci_u32_e32 v2, vcc_lo, v2, v3, vcc_lo
	v_cndmask_b32_e64 v3, 0, v28, s11
	v_add_co_u32 v1, vcc_lo, v1, v4
	v_cndmask_b32_e64 v4, 0, v29, s12
	s_delay_alu instid0(VALU_DEP_3) | instskip(SKIP_4) | instid1(VALU_DEP_3)
	v_add_co_ci_u32_e32 v2, vcc_lo, v2, v3, vcc_lo
	v_cmp_ne_u32_e32 vcc_lo, 31, v33
	v_cndmask_b32_e64 v3, 0, v30, s12
	v_add_co_ci_u32_e32 v6, vcc_lo, 0, v33, vcc_lo
	v_add_co_u32 v1, vcc_lo, v1, v4
	v_add_co_ci_u32_e32 v2, vcc_lo, v2, v3, vcc_lo
	v_cndmask_b32_e64 v3, 0, v32, s13
	s_delay_alu instid0(VALU_DEP_3) | instskip(SKIP_1) | instid1(VALU_DEP_3)
	v_add_co_u32 v1, vcc_lo, v1, v5
	v_lshlrev_b32_e32 v4, 2, v6
	v_add_co_ci_u32_e32 v2, vcc_lo, v2, v3, vcc_lo
	v_and_b32_e32 v3, 0x60, v0
	ds_bpermute_b32 v6, v4, v1
	ds_bpermute_b32 v5, v4, v2
	v_add_nc_u32_e32 v4, 1, v33
	v_sub_nc_u32_e64 v3, s0, v3 clamp
	s_delay_alu instid0(VALU_DEP_1)
	v_cmp_lt_u32_e32 vcc_lo, v4, v3
	v_mov_b32_e32 v4, v1
	s_and_saveexec_b32 s1, vcc_lo
	s_cbranch_execz .LBB174_41
; %bb.40:
	s_waitcnt lgkmcnt(1)
	v_add_co_u32 v4, vcc_lo, v1, v6
	v_add_co_ci_u32_e32 v2, vcc_lo, 0, v2, vcc_lo
	s_delay_alu instid0(VALU_DEP_2) | instskip(SKIP_1) | instid1(VALU_DEP_2)
	v_add_co_u32 v1, vcc_lo, v4, 0
	s_waitcnt lgkmcnt(0)
	v_add_co_ci_u32_e32 v2, vcc_lo, v2, v5, vcc_lo
.LBB174_41:
	s_or_b32 exec_lo, exec_lo, s1
	v_cmp_gt_u32_e32 vcc_lo, 30, v33
	v_add_nc_u32_e32 v7, 2, v33
	s_mov_b32 s1, exec_lo
	s_waitcnt lgkmcnt(0)
	v_cndmask_b32_e64 v5, 0, 1, vcc_lo
	s_delay_alu instid0(VALU_DEP_1) | instskip(NEXT) | instid1(VALU_DEP_1)
	v_lshlrev_b32_e32 v5, 1, v5
	v_add_lshl_u32 v5, v5, v33, 2
	ds_bpermute_b32 v6, v5, v4
	ds_bpermute_b32 v5, v5, v2
	v_cmpx_lt_u32_e64 v7, v3
	s_cbranch_execz .LBB174_43
; %bb.42:
	s_waitcnt lgkmcnt(1)
	v_add_co_u32 v4, vcc_lo, v1, v6
	v_add_co_ci_u32_e32 v2, vcc_lo, 0, v2, vcc_lo
	s_delay_alu instid0(VALU_DEP_2) | instskip(SKIP_1) | instid1(VALU_DEP_2)
	v_add_co_u32 v1, vcc_lo, 0, v4
	s_waitcnt lgkmcnt(0)
	v_add_co_ci_u32_e32 v2, vcc_lo, v5, v2, vcc_lo
.LBB174_43:
	s_or_b32 exec_lo, exec_lo, s1
	v_cmp_gt_u32_e32 vcc_lo, 28, v33
	v_add_nc_u32_e32 v7, 4, v33
	s_mov_b32 s1, exec_lo
	s_waitcnt lgkmcnt(0)
	v_cndmask_b32_e64 v5, 0, 1, vcc_lo
	s_delay_alu instid0(VALU_DEP_1) | instskip(NEXT) | instid1(VALU_DEP_1)
	v_lshlrev_b32_e32 v5, 2, v5
	v_add_lshl_u32 v5, v5, v33, 2
	ds_bpermute_b32 v6, v5, v4
	ds_bpermute_b32 v5, v5, v2
	v_cmpx_lt_u32_e64 v7, v3
	;; [unrolled: 22-line block ×3, first 2 shown]
	s_cbranch_execz .LBB174_47
; %bb.46:
	s_waitcnt lgkmcnt(1)
	v_add_co_u32 v4, vcc_lo, v1, v6
	v_add_co_ci_u32_e32 v2, vcc_lo, 0, v2, vcc_lo
	s_delay_alu instid0(VALU_DEP_2) | instskip(SKIP_1) | instid1(VALU_DEP_2)
	v_add_co_u32 v1, vcc_lo, 0, v4
	s_waitcnt lgkmcnt(0)
	v_add_co_ci_u32_e32 v2, vcc_lo, v5, v2, vcc_lo
.LBB174_47:
	s_or_b32 exec_lo, exec_lo, s1
	v_cmp_gt_u32_e32 vcc_lo, 16, v33
	s_mov_b32 s1, exec_lo
	s_waitcnt lgkmcnt(0)
	v_cndmask_b32_e64 v5, 0, 1, vcc_lo
	s_delay_alu instid0(VALU_DEP_1) | instskip(NEXT) | instid1(VALU_DEP_1)
	v_lshlrev_b32_e32 v5, 4, v5
	v_add_lshl_u32 v6, v5, v33, 2
	ds_bpermute_b32 v5, v6, v4
	ds_bpermute_b32 v4, v6, v2
	v_add_nc_u32_e32 v6, 16, v33
	s_delay_alu instid0(VALU_DEP_1)
	v_cmpx_lt_u32_e64 v6, v3
	s_cbranch_execz .LBB174_49
; %bb.48:
	s_waitcnt lgkmcnt(1)
	v_add_co_u32 v1, vcc_lo, v1, v5
	v_add_co_ci_u32_e32 v2, vcc_lo, 0, v2, vcc_lo
	s_delay_alu instid0(VALU_DEP_2) | instskip(SKIP_1) | instid1(VALU_DEP_2)
	v_add_co_u32 v1, vcc_lo, v1, 0
	s_waitcnt lgkmcnt(0)
	v_add_co_ci_u32_e32 v2, vcc_lo, v2, v4, vcc_lo
.LBB174_49:
	s_or_b32 exec_lo, exec_lo, s1
	s_delay_alu instid0(SALU_CYCLE_1)
	s_mov_b32 s1, exec_lo
	v_cmpx_eq_u32_e32 0, v33
	s_cbranch_execz .LBB174_51
; %bb.50:
	v_lshrrev_b32_e32 v3, 2, v0
	s_delay_alu instid0(VALU_DEP_1)
	v_and_b32_e32 v3, 24, v3
	ds_store_b64 v3, v[1:2] offset:32
.LBB174_51:
	s_or_b32 exec_lo, exec_lo, s1
	s_delay_alu instid0(SALU_CYCLE_1)
	s_mov_b32 s1, exec_lo
	s_waitcnt lgkmcnt(0)
	s_barrier
	buffer_gl0_inv
	v_cmpx_gt_u32_e32 4, v0
	s_cbranch_execz .LBB174_57
; %bb.52:
	v_lshlrev_b32_e32 v1, 3, v33
	s_add_i32 s0, s0, 31
	s_delay_alu instid0(SALU_CYCLE_1) | instskip(SKIP_2) | instid1(VALU_DEP_1)
	s_lshr_b32 s0, s0, 5
	ds_load_b64 v[1:2], v1 offset:32
	v_and_b32_e32 v3, 3, v33
	v_cmp_ne_u32_e32 vcc_lo, 3, v3
	v_add_co_ci_u32_e32 v4, vcc_lo, 0, v33, vcc_lo
	s_delay_alu instid0(VALU_DEP_1) | instskip(SKIP_4) | instid1(VALU_DEP_1)
	v_lshlrev_b32_e32 v4, 2, v4
	s_waitcnt lgkmcnt(0)
	ds_bpermute_b32 v6, v4, v1
	ds_bpermute_b32 v5, v4, v2
	v_add_nc_u32_e32 v4, 1, v3
	v_cmp_gt_u32_e32 vcc_lo, s0, v4
	v_mov_b32_e32 v4, v1
	s_and_saveexec_b32 s2, vcc_lo
	s_cbranch_execz .LBB174_54
; %bb.53:
	s_waitcnt lgkmcnt(1)
	v_add_co_u32 v4, vcc_lo, v1, v6
	v_add_co_ci_u32_e32 v2, vcc_lo, 0, v2, vcc_lo
	s_delay_alu instid0(VALU_DEP_2) | instskip(SKIP_1) | instid1(VALU_DEP_2)
	v_add_co_u32 v1, vcc_lo, 0, v4
	s_waitcnt lgkmcnt(0)
	v_add_co_ci_u32_e32 v2, vcc_lo, v5, v2, vcc_lo
.LBB174_54:
	s_or_b32 exec_lo, exec_lo, s2
	v_cmp_gt_u32_e32 vcc_lo, 2, v3
	v_add_nc_u32_e32 v3, 2, v3
	s_waitcnt lgkmcnt(0)
	v_cndmask_b32_e64 v5, 0, 1, vcc_lo
	s_delay_alu instid0(VALU_DEP_2) | instskip(NEXT) | instid1(VALU_DEP_2)
	v_cmp_gt_u32_e32 vcc_lo, s0, v3
	v_lshlrev_b32_e32 v5, 1, v5
	s_delay_alu instid0(VALU_DEP_1)
	v_add_lshl_u32 v6, v5, v33, 2
	ds_bpermute_b32 v5, v6, v4
	ds_bpermute_b32 v4, v6, v2
	s_and_saveexec_b32 s0, vcc_lo
	s_cbranch_execz .LBB174_56
; %bb.55:
	s_waitcnt lgkmcnt(1)
	v_add_co_u32 v1, vcc_lo, v1, v5
	v_add_co_ci_u32_e32 v2, vcc_lo, 0, v2, vcc_lo
	s_delay_alu instid0(VALU_DEP_2) | instskip(SKIP_1) | instid1(VALU_DEP_2)
	v_add_co_u32 v1, vcc_lo, v1, 0
	s_waitcnt lgkmcnt(0)
	v_add_co_ci_u32_e32 v2, vcc_lo, v2, v4, vcc_lo
.LBB174_56:
	s_or_b32 exec_lo, exec_lo, s0
.LBB174_57:
	s_delay_alu instid0(SALU_CYCLE_1)
	s_or_b32 exec_lo, exec_lo, s1
.LBB174_58:
	s_delay_alu instid0(SALU_CYCLE_1)
	s_mov_b32 s0, exec_lo
	v_cmpx_eq_u32_e32 0, v0
	s_cbranch_execz .LBB174_60
; %bb.59:
	s_mul_i32 s0, s24, s23
	s_mul_hi_u32 s1, s24, s22
	s_mul_i32 s2, s25, s22
	s_add_i32 s1, s1, s0
	s_mul_i32 s0, s24, s22
	s_add_i32 s1, s1, s2
	v_mov_b32_e32 v0, 0
	s_lshl_b64 s[0:1], s[0:1], 3
	s_delay_alu instid0(SALU_CYCLE_1)
	s_add_u32 s2, s20, s0
	s_addc_u32 s3, s21, s1
	s_cmp_eq_u64 s[18:19], 0
	s_cselect_b32 s4, -1, 0
	s_lshl_b64 s[0:1], s[28:29], 3
	v_cndmask_b32_e64 v2, v2, s27, s4
	v_cndmask_b32_e64 v1, v1, s26, s4
	s_add_u32 s0, s2, s0
	s_addc_u32 s1, s3, s1
	global_store_b64 v0, v[1:2], s[0:1]
.LBB174_60:
	s_nop 0
	s_sendmsg sendmsg(MSG_DEALLOC_VGPRS)
	s_endpgm
	.section	.rodata,"a",@progbits
	.p2align	6, 0x0
	.amdhsa_kernel _ZN7rocprim17ROCPRIM_400000_NS6detail17trampoline_kernelINS0_14default_configENS1_22reduce_config_selectorIbEEZNS1_11reduce_implILb1ES3_N6hipcub16HIPCUB_304000_NS22TransformInputIteratorIb7NonZeroIiEPilEEPllNS8_6detail34convert_binary_result_type_wrapperINS8_3SumESD_lEEEE10hipError_tPvRmT1_T2_T3_mT4_P12ihipStream_tbEUlT_E0_NS1_11comp_targetILNS1_3genE9ELNS1_11target_archE1100ELNS1_3gpuE3ELNS1_3repE0EEENS1_30default_config_static_selectorELNS0_4arch9wavefront6targetE0EEEvSM_
		.amdhsa_group_segment_fixed_size 64
		.amdhsa_private_segment_fixed_size 0
		.amdhsa_kernarg_size 72
		.amdhsa_user_sgpr_count 15
		.amdhsa_user_sgpr_dispatch_ptr 0
		.amdhsa_user_sgpr_queue_ptr 0
		.amdhsa_user_sgpr_kernarg_segment_ptr 1
		.amdhsa_user_sgpr_dispatch_id 0
		.amdhsa_user_sgpr_private_segment_size 0
		.amdhsa_wavefront_size32 1
		.amdhsa_uses_dynamic_stack 0
		.amdhsa_enable_private_segment 0
		.amdhsa_system_sgpr_workgroup_id_x 1
		.amdhsa_system_sgpr_workgroup_id_y 0
		.amdhsa_system_sgpr_workgroup_id_z 0
		.amdhsa_system_sgpr_workgroup_info 0
		.amdhsa_system_vgpr_workitem_id 0
		.amdhsa_next_free_vgpr 36
		.amdhsa_next_free_sgpr 30
		.amdhsa_reserve_vcc 1
		.amdhsa_float_round_mode_32 0
		.amdhsa_float_round_mode_16_64 0
		.amdhsa_float_denorm_mode_32 3
		.amdhsa_float_denorm_mode_16_64 3
		.amdhsa_dx10_clamp 1
		.amdhsa_ieee_mode 1
		.amdhsa_fp16_overflow 0
		.amdhsa_workgroup_processor_mode 1
		.amdhsa_memory_ordered 1
		.amdhsa_forward_progress 0
		.amdhsa_shared_vgpr_count 0
		.amdhsa_exception_fp_ieee_invalid_op 0
		.amdhsa_exception_fp_denorm_src 0
		.amdhsa_exception_fp_ieee_div_zero 0
		.amdhsa_exception_fp_ieee_overflow 0
		.amdhsa_exception_fp_ieee_underflow 0
		.amdhsa_exception_fp_ieee_inexact 0
		.amdhsa_exception_int_div_zero 0
	.end_amdhsa_kernel
	.section	.text._ZN7rocprim17ROCPRIM_400000_NS6detail17trampoline_kernelINS0_14default_configENS1_22reduce_config_selectorIbEEZNS1_11reduce_implILb1ES3_N6hipcub16HIPCUB_304000_NS22TransformInputIteratorIb7NonZeroIiEPilEEPllNS8_6detail34convert_binary_result_type_wrapperINS8_3SumESD_lEEEE10hipError_tPvRmT1_T2_T3_mT4_P12ihipStream_tbEUlT_E0_NS1_11comp_targetILNS1_3genE9ELNS1_11target_archE1100ELNS1_3gpuE3ELNS1_3repE0EEENS1_30default_config_static_selectorELNS0_4arch9wavefront6targetE0EEEvSM_,"axG",@progbits,_ZN7rocprim17ROCPRIM_400000_NS6detail17trampoline_kernelINS0_14default_configENS1_22reduce_config_selectorIbEEZNS1_11reduce_implILb1ES3_N6hipcub16HIPCUB_304000_NS22TransformInputIteratorIb7NonZeroIiEPilEEPllNS8_6detail34convert_binary_result_type_wrapperINS8_3SumESD_lEEEE10hipError_tPvRmT1_T2_T3_mT4_P12ihipStream_tbEUlT_E0_NS1_11comp_targetILNS1_3genE9ELNS1_11target_archE1100ELNS1_3gpuE3ELNS1_3repE0EEENS1_30default_config_static_selectorELNS0_4arch9wavefront6targetE0EEEvSM_,comdat
.Lfunc_end174:
	.size	_ZN7rocprim17ROCPRIM_400000_NS6detail17trampoline_kernelINS0_14default_configENS1_22reduce_config_selectorIbEEZNS1_11reduce_implILb1ES3_N6hipcub16HIPCUB_304000_NS22TransformInputIteratorIb7NonZeroIiEPilEEPllNS8_6detail34convert_binary_result_type_wrapperINS8_3SumESD_lEEEE10hipError_tPvRmT1_T2_T3_mT4_P12ihipStream_tbEUlT_E0_NS1_11comp_targetILNS1_3genE9ELNS1_11target_archE1100ELNS1_3gpuE3ELNS1_3repE0EEENS1_30default_config_static_selectorELNS0_4arch9wavefront6targetE0EEEvSM_, .Lfunc_end174-_ZN7rocprim17ROCPRIM_400000_NS6detail17trampoline_kernelINS0_14default_configENS1_22reduce_config_selectorIbEEZNS1_11reduce_implILb1ES3_N6hipcub16HIPCUB_304000_NS22TransformInputIteratorIb7NonZeroIiEPilEEPllNS8_6detail34convert_binary_result_type_wrapperINS8_3SumESD_lEEEE10hipError_tPvRmT1_T2_T3_mT4_P12ihipStream_tbEUlT_E0_NS1_11comp_targetILNS1_3genE9ELNS1_11target_archE1100ELNS1_3gpuE3ELNS1_3repE0EEENS1_30default_config_static_selectorELNS0_4arch9wavefront6targetE0EEEvSM_
                                        ; -- End function
	.section	.AMDGPU.csdata,"",@progbits
; Kernel info:
; codeLenInByte = 3864
; NumSgprs: 32
; NumVgprs: 36
; ScratchSize: 0
; MemoryBound: 0
; FloatMode: 240
; IeeeMode: 1
; LDSByteSize: 64 bytes/workgroup (compile time only)
; SGPRBlocks: 3
; VGPRBlocks: 4
; NumSGPRsForWavesPerEU: 32
; NumVGPRsForWavesPerEU: 36
; Occupancy: 16
; WaveLimiterHint : 1
; COMPUTE_PGM_RSRC2:SCRATCH_EN: 0
; COMPUTE_PGM_RSRC2:USER_SGPR: 15
; COMPUTE_PGM_RSRC2:TRAP_HANDLER: 0
; COMPUTE_PGM_RSRC2:TGID_X_EN: 1
; COMPUTE_PGM_RSRC2:TGID_Y_EN: 0
; COMPUTE_PGM_RSRC2:TGID_Z_EN: 0
; COMPUTE_PGM_RSRC2:TIDIG_COMP_CNT: 0
	.section	.text._ZN7rocprim17ROCPRIM_400000_NS6detail17trampoline_kernelINS0_14default_configENS1_22reduce_config_selectorIbEEZNS1_11reduce_implILb1ES3_N6hipcub16HIPCUB_304000_NS22TransformInputIteratorIb7NonZeroIiEPilEEPllNS8_6detail34convert_binary_result_type_wrapperINS8_3SumESD_lEEEE10hipError_tPvRmT1_T2_T3_mT4_P12ihipStream_tbEUlT_E0_NS1_11comp_targetILNS1_3genE8ELNS1_11target_archE1030ELNS1_3gpuE2ELNS1_3repE0EEENS1_30default_config_static_selectorELNS0_4arch9wavefront6targetE0EEEvSM_,"axG",@progbits,_ZN7rocprim17ROCPRIM_400000_NS6detail17trampoline_kernelINS0_14default_configENS1_22reduce_config_selectorIbEEZNS1_11reduce_implILb1ES3_N6hipcub16HIPCUB_304000_NS22TransformInputIteratorIb7NonZeroIiEPilEEPllNS8_6detail34convert_binary_result_type_wrapperINS8_3SumESD_lEEEE10hipError_tPvRmT1_T2_T3_mT4_P12ihipStream_tbEUlT_E0_NS1_11comp_targetILNS1_3genE8ELNS1_11target_archE1030ELNS1_3gpuE2ELNS1_3repE0EEENS1_30default_config_static_selectorELNS0_4arch9wavefront6targetE0EEEvSM_,comdat
	.protected	_ZN7rocprim17ROCPRIM_400000_NS6detail17trampoline_kernelINS0_14default_configENS1_22reduce_config_selectorIbEEZNS1_11reduce_implILb1ES3_N6hipcub16HIPCUB_304000_NS22TransformInputIteratorIb7NonZeroIiEPilEEPllNS8_6detail34convert_binary_result_type_wrapperINS8_3SumESD_lEEEE10hipError_tPvRmT1_T2_T3_mT4_P12ihipStream_tbEUlT_E0_NS1_11comp_targetILNS1_3genE8ELNS1_11target_archE1030ELNS1_3gpuE2ELNS1_3repE0EEENS1_30default_config_static_selectorELNS0_4arch9wavefront6targetE0EEEvSM_ ; -- Begin function _ZN7rocprim17ROCPRIM_400000_NS6detail17trampoline_kernelINS0_14default_configENS1_22reduce_config_selectorIbEEZNS1_11reduce_implILb1ES3_N6hipcub16HIPCUB_304000_NS22TransformInputIteratorIb7NonZeroIiEPilEEPllNS8_6detail34convert_binary_result_type_wrapperINS8_3SumESD_lEEEE10hipError_tPvRmT1_T2_T3_mT4_P12ihipStream_tbEUlT_E0_NS1_11comp_targetILNS1_3genE8ELNS1_11target_archE1030ELNS1_3gpuE2ELNS1_3repE0EEENS1_30default_config_static_selectorELNS0_4arch9wavefront6targetE0EEEvSM_
	.globl	_ZN7rocprim17ROCPRIM_400000_NS6detail17trampoline_kernelINS0_14default_configENS1_22reduce_config_selectorIbEEZNS1_11reduce_implILb1ES3_N6hipcub16HIPCUB_304000_NS22TransformInputIteratorIb7NonZeroIiEPilEEPllNS8_6detail34convert_binary_result_type_wrapperINS8_3SumESD_lEEEE10hipError_tPvRmT1_T2_T3_mT4_P12ihipStream_tbEUlT_E0_NS1_11comp_targetILNS1_3genE8ELNS1_11target_archE1030ELNS1_3gpuE2ELNS1_3repE0EEENS1_30default_config_static_selectorELNS0_4arch9wavefront6targetE0EEEvSM_
	.p2align	8
	.type	_ZN7rocprim17ROCPRIM_400000_NS6detail17trampoline_kernelINS0_14default_configENS1_22reduce_config_selectorIbEEZNS1_11reduce_implILb1ES3_N6hipcub16HIPCUB_304000_NS22TransformInputIteratorIb7NonZeroIiEPilEEPllNS8_6detail34convert_binary_result_type_wrapperINS8_3SumESD_lEEEE10hipError_tPvRmT1_T2_T3_mT4_P12ihipStream_tbEUlT_E0_NS1_11comp_targetILNS1_3genE8ELNS1_11target_archE1030ELNS1_3gpuE2ELNS1_3repE0EEENS1_30default_config_static_selectorELNS0_4arch9wavefront6targetE0EEEvSM_,@function
_ZN7rocprim17ROCPRIM_400000_NS6detail17trampoline_kernelINS0_14default_configENS1_22reduce_config_selectorIbEEZNS1_11reduce_implILb1ES3_N6hipcub16HIPCUB_304000_NS22TransformInputIteratorIb7NonZeroIiEPilEEPllNS8_6detail34convert_binary_result_type_wrapperINS8_3SumESD_lEEEE10hipError_tPvRmT1_T2_T3_mT4_P12ihipStream_tbEUlT_E0_NS1_11comp_targetILNS1_3genE8ELNS1_11target_archE1030ELNS1_3gpuE2ELNS1_3repE0EEENS1_30default_config_static_selectorELNS0_4arch9wavefront6targetE0EEEvSM_: ; @_ZN7rocprim17ROCPRIM_400000_NS6detail17trampoline_kernelINS0_14default_configENS1_22reduce_config_selectorIbEEZNS1_11reduce_implILb1ES3_N6hipcub16HIPCUB_304000_NS22TransformInputIteratorIb7NonZeroIiEPilEEPllNS8_6detail34convert_binary_result_type_wrapperINS8_3SumESD_lEEEE10hipError_tPvRmT1_T2_T3_mT4_P12ihipStream_tbEUlT_E0_NS1_11comp_targetILNS1_3genE8ELNS1_11target_archE1030ELNS1_3gpuE2ELNS1_3repE0EEENS1_30default_config_static_selectorELNS0_4arch9wavefront6targetE0EEEvSM_
; %bb.0:
	.section	.rodata,"a",@progbits
	.p2align	6, 0x0
	.amdhsa_kernel _ZN7rocprim17ROCPRIM_400000_NS6detail17trampoline_kernelINS0_14default_configENS1_22reduce_config_selectorIbEEZNS1_11reduce_implILb1ES3_N6hipcub16HIPCUB_304000_NS22TransformInputIteratorIb7NonZeroIiEPilEEPllNS8_6detail34convert_binary_result_type_wrapperINS8_3SumESD_lEEEE10hipError_tPvRmT1_T2_T3_mT4_P12ihipStream_tbEUlT_E0_NS1_11comp_targetILNS1_3genE8ELNS1_11target_archE1030ELNS1_3gpuE2ELNS1_3repE0EEENS1_30default_config_static_selectorELNS0_4arch9wavefront6targetE0EEEvSM_
		.amdhsa_group_segment_fixed_size 0
		.amdhsa_private_segment_fixed_size 0
		.amdhsa_kernarg_size 72
		.amdhsa_user_sgpr_count 15
		.amdhsa_user_sgpr_dispatch_ptr 0
		.amdhsa_user_sgpr_queue_ptr 0
		.amdhsa_user_sgpr_kernarg_segment_ptr 1
		.amdhsa_user_sgpr_dispatch_id 0
		.amdhsa_user_sgpr_private_segment_size 0
		.amdhsa_wavefront_size32 1
		.amdhsa_uses_dynamic_stack 0
		.amdhsa_enable_private_segment 0
		.amdhsa_system_sgpr_workgroup_id_x 1
		.amdhsa_system_sgpr_workgroup_id_y 0
		.amdhsa_system_sgpr_workgroup_id_z 0
		.amdhsa_system_sgpr_workgroup_info 0
		.amdhsa_system_vgpr_workitem_id 0
		.amdhsa_next_free_vgpr 1
		.amdhsa_next_free_sgpr 1
		.amdhsa_reserve_vcc 0
		.amdhsa_float_round_mode_32 0
		.amdhsa_float_round_mode_16_64 0
		.amdhsa_float_denorm_mode_32 3
		.amdhsa_float_denorm_mode_16_64 3
		.amdhsa_dx10_clamp 1
		.amdhsa_ieee_mode 1
		.amdhsa_fp16_overflow 0
		.amdhsa_workgroup_processor_mode 1
		.amdhsa_memory_ordered 1
		.amdhsa_forward_progress 0
		.amdhsa_shared_vgpr_count 0
		.amdhsa_exception_fp_ieee_invalid_op 0
		.amdhsa_exception_fp_denorm_src 0
		.amdhsa_exception_fp_ieee_div_zero 0
		.amdhsa_exception_fp_ieee_overflow 0
		.amdhsa_exception_fp_ieee_underflow 0
		.amdhsa_exception_fp_ieee_inexact 0
		.amdhsa_exception_int_div_zero 0
	.end_amdhsa_kernel
	.section	.text._ZN7rocprim17ROCPRIM_400000_NS6detail17trampoline_kernelINS0_14default_configENS1_22reduce_config_selectorIbEEZNS1_11reduce_implILb1ES3_N6hipcub16HIPCUB_304000_NS22TransformInputIteratorIb7NonZeroIiEPilEEPllNS8_6detail34convert_binary_result_type_wrapperINS8_3SumESD_lEEEE10hipError_tPvRmT1_T2_T3_mT4_P12ihipStream_tbEUlT_E0_NS1_11comp_targetILNS1_3genE8ELNS1_11target_archE1030ELNS1_3gpuE2ELNS1_3repE0EEENS1_30default_config_static_selectorELNS0_4arch9wavefront6targetE0EEEvSM_,"axG",@progbits,_ZN7rocprim17ROCPRIM_400000_NS6detail17trampoline_kernelINS0_14default_configENS1_22reduce_config_selectorIbEEZNS1_11reduce_implILb1ES3_N6hipcub16HIPCUB_304000_NS22TransformInputIteratorIb7NonZeroIiEPilEEPllNS8_6detail34convert_binary_result_type_wrapperINS8_3SumESD_lEEEE10hipError_tPvRmT1_T2_T3_mT4_P12ihipStream_tbEUlT_E0_NS1_11comp_targetILNS1_3genE8ELNS1_11target_archE1030ELNS1_3gpuE2ELNS1_3repE0EEENS1_30default_config_static_selectorELNS0_4arch9wavefront6targetE0EEEvSM_,comdat
.Lfunc_end175:
	.size	_ZN7rocprim17ROCPRIM_400000_NS6detail17trampoline_kernelINS0_14default_configENS1_22reduce_config_selectorIbEEZNS1_11reduce_implILb1ES3_N6hipcub16HIPCUB_304000_NS22TransformInputIteratorIb7NonZeroIiEPilEEPllNS8_6detail34convert_binary_result_type_wrapperINS8_3SumESD_lEEEE10hipError_tPvRmT1_T2_T3_mT4_P12ihipStream_tbEUlT_E0_NS1_11comp_targetILNS1_3genE8ELNS1_11target_archE1030ELNS1_3gpuE2ELNS1_3repE0EEENS1_30default_config_static_selectorELNS0_4arch9wavefront6targetE0EEEvSM_, .Lfunc_end175-_ZN7rocprim17ROCPRIM_400000_NS6detail17trampoline_kernelINS0_14default_configENS1_22reduce_config_selectorIbEEZNS1_11reduce_implILb1ES3_N6hipcub16HIPCUB_304000_NS22TransformInputIteratorIb7NonZeroIiEPilEEPllNS8_6detail34convert_binary_result_type_wrapperINS8_3SumESD_lEEEE10hipError_tPvRmT1_T2_T3_mT4_P12ihipStream_tbEUlT_E0_NS1_11comp_targetILNS1_3genE8ELNS1_11target_archE1030ELNS1_3gpuE2ELNS1_3repE0EEENS1_30default_config_static_selectorELNS0_4arch9wavefront6targetE0EEEvSM_
                                        ; -- End function
	.section	.AMDGPU.csdata,"",@progbits
; Kernel info:
; codeLenInByte = 0
; NumSgprs: 0
; NumVgprs: 0
; ScratchSize: 0
; MemoryBound: 0
; FloatMode: 240
; IeeeMode: 1
; LDSByteSize: 0 bytes/workgroup (compile time only)
; SGPRBlocks: 0
; VGPRBlocks: 0
; NumSGPRsForWavesPerEU: 1
; NumVGPRsForWavesPerEU: 1
; Occupancy: 16
; WaveLimiterHint : 0
; COMPUTE_PGM_RSRC2:SCRATCH_EN: 0
; COMPUTE_PGM_RSRC2:USER_SGPR: 15
; COMPUTE_PGM_RSRC2:TRAP_HANDLER: 0
; COMPUTE_PGM_RSRC2:TGID_X_EN: 1
; COMPUTE_PGM_RSRC2:TGID_Y_EN: 0
; COMPUTE_PGM_RSRC2:TGID_Z_EN: 0
; COMPUTE_PGM_RSRC2:TIDIG_COMP_CNT: 0
	.section	.text._ZN7rocprim17ROCPRIM_400000_NS6detail17trampoline_kernelINS0_14default_configENS1_22reduce_config_selectorIbEEZNS1_11reduce_implILb1ES3_N6hipcub16HIPCUB_304000_NS22TransformInputIteratorIb7NonZeroIiEPilEEPllNS8_6detail34convert_binary_result_type_wrapperINS8_3SumESD_lEEEE10hipError_tPvRmT1_T2_T3_mT4_P12ihipStream_tbEUlT_E1_NS1_11comp_targetILNS1_3genE0ELNS1_11target_archE4294967295ELNS1_3gpuE0ELNS1_3repE0EEENS1_30default_config_static_selectorELNS0_4arch9wavefront6targetE0EEEvSM_,"axG",@progbits,_ZN7rocprim17ROCPRIM_400000_NS6detail17trampoline_kernelINS0_14default_configENS1_22reduce_config_selectorIbEEZNS1_11reduce_implILb1ES3_N6hipcub16HIPCUB_304000_NS22TransformInputIteratorIb7NonZeroIiEPilEEPllNS8_6detail34convert_binary_result_type_wrapperINS8_3SumESD_lEEEE10hipError_tPvRmT1_T2_T3_mT4_P12ihipStream_tbEUlT_E1_NS1_11comp_targetILNS1_3genE0ELNS1_11target_archE4294967295ELNS1_3gpuE0ELNS1_3repE0EEENS1_30default_config_static_selectorELNS0_4arch9wavefront6targetE0EEEvSM_,comdat
	.protected	_ZN7rocprim17ROCPRIM_400000_NS6detail17trampoline_kernelINS0_14default_configENS1_22reduce_config_selectorIbEEZNS1_11reduce_implILb1ES3_N6hipcub16HIPCUB_304000_NS22TransformInputIteratorIb7NonZeroIiEPilEEPllNS8_6detail34convert_binary_result_type_wrapperINS8_3SumESD_lEEEE10hipError_tPvRmT1_T2_T3_mT4_P12ihipStream_tbEUlT_E1_NS1_11comp_targetILNS1_3genE0ELNS1_11target_archE4294967295ELNS1_3gpuE0ELNS1_3repE0EEENS1_30default_config_static_selectorELNS0_4arch9wavefront6targetE0EEEvSM_ ; -- Begin function _ZN7rocprim17ROCPRIM_400000_NS6detail17trampoline_kernelINS0_14default_configENS1_22reduce_config_selectorIbEEZNS1_11reduce_implILb1ES3_N6hipcub16HIPCUB_304000_NS22TransformInputIteratorIb7NonZeroIiEPilEEPllNS8_6detail34convert_binary_result_type_wrapperINS8_3SumESD_lEEEE10hipError_tPvRmT1_T2_T3_mT4_P12ihipStream_tbEUlT_E1_NS1_11comp_targetILNS1_3genE0ELNS1_11target_archE4294967295ELNS1_3gpuE0ELNS1_3repE0EEENS1_30default_config_static_selectorELNS0_4arch9wavefront6targetE0EEEvSM_
	.globl	_ZN7rocprim17ROCPRIM_400000_NS6detail17trampoline_kernelINS0_14default_configENS1_22reduce_config_selectorIbEEZNS1_11reduce_implILb1ES3_N6hipcub16HIPCUB_304000_NS22TransformInputIteratorIb7NonZeroIiEPilEEPllNS8_6detail34convert_binary_result_type_wrapperINS8_3SumESD_lEEEE10hipError_tPvRmT1_T2_T3_mT4_P12ihipStream_tbEUlT_E1_NS1_11comp_targetILNS1_3genE0ELNS1_11target_archE4294967295ELNS1_3gpuE0ELNS1_3repE0EEENS1_30default_config_static_selectorELNS0_4arch9wavefront6targetE0EEEvSM_
	.p2align	8
	.type	_ZN7rocprim17ROCPRIM_400000_NS6detail17trampoline_kernelINS0_14default_configENS1_22reduce_config_selectorIbEEZNS1_11reduce_implILb1ES3_N6hipcub16HIPCUB_304000_NS22TransformInputIteratorIb7NonZeroIiEPilEEPllNS8_6detail34convert_binary_result_type_wrapperINS8_3SumESD_lEEEE10hipError_tPvRmT1_T2_T3_mT4_P12ihipStream_tbEUlT_E1_NS1_11comp_targetILNS1_3genE0ELNS1_11target_archE4294967295ELNS1_3gpuE0ELNS1_3repE0EEENS1_30default_config_static_selectorELNS0_4arch9wavefront6targetE0EEEvSM_,@function
_ZN7rocprim17ROCPRIM_400000_NS6detail17trampoline_kernelINS0_14default_configENS1_22reduce_config_selectorIbEEZNS1_11reduce_implILb1ES3_N6hipcub16HIPCUB_304000_NS22TransformInputIteratorIb7NonZeroIiEPilEEPllNS8_6detail34convert_binary_result_type_wrapperINS8_3SumESD_lEEEE10hipError_tPvRmT1_T2_T3_mT4_P12ihipStream_tbEUlT_E1_NS1_11comp_targetILNS1_3genE0ELNS1_11target_archE4294967295ELNS1_3gpuE0ELNS1_3repE0EEENS1_30default_config_static_selectorELNS0_4arch9wavefront6targetE0EEEvSM_: ; @_ZN7rocprim17ROCPRIM_400000_NS6detail17trampoline_kernelINS0_14default_configENS1_22reduce_config_selectorIbEEZNS1_11reduce_implILb1ES3_N6hipcub16HIPCUB_304000_NS22TransformInputIteratorIb7NonZeroIiEPilEEPllNS8_6detail34convert_binary_result_type_wrapperINS8_3SumESD_lEEEE10hipError_tPvRmT1_T2_T3_mT4_P12ihipStream_tbEUlT_E1_NS1_11comp_targetILNS1_3genE0ELNS1_11target_archE4294967295ELNS1_3gpuE0ELNS1_3repE0EEENS1_30default_config_static_selectorELNS0_4arch9wavefront6targetE0EEEvSM_
; %bb.0:
	.section	.rodata,"a",@progbits
	.p2align	6, 0x0
	.amdhsa_kernel _ZN7rocprim17ROCPRIM_400000_NS6detail17trampoline_kernelINS0_14default_configENS1_22reduce_config_selectorIbEEZNS1_11reduce_implILb1ES3_N6hipcub16HIPCUB_304000_NS22TransformInputIteratorIb7NonZeroIiEPilEEPllNS8_6detail34convert_binary_result_type_wrapperINS8_3SumESD_lEEEE10hipError_tPvRmT1_T2_T3_mT4_P12ihipStream_tbEUlT_E1_NS1_11comp_targetILNS1_3genE0ELNS1_11target_archE4294967295ELNS1_3gpuE0ELNS1_3repE0EEENS1_30default_config_static_selectorELNS0_4arch9wavefront6targetE0EEEvSM_
		.amdhsa_group_segment_fixed_size 0
		.amdhsa_private_segment_fixed_size 0
		.amdhsa_kernarg_size 56
		.amdhsa_user_sgpr_count 15
		.amdhsa_user_sgpr_dispatch_ptr 0
		.amdhsa_user_sgpr_queue_ptr 0
		.amdhsa_user_sgpr_kernarg_segment_ptr 1
		.amdhsa_user_sgpr_dispatch_id 0
		.amdhsa_user_sgpr_private_segment_size 0
		.amdhsa_wavefront_size32 1
		.amdhsa_uses_dynamic_stack 0
		.amdhsa_enable_private_segment 0
		.amdhsa_system_sgpr_workgroup_id_x 1
		.amdhsa_system_sgpr_workgroup_id_y 0
		.amdhsa_system_sgpr_workgroup_id_z 0
		.amdhsa_system_sgpr_workgroup_info 0
		.amdhsa_system_vgpr_workitem_id 0
		.amdhsa_next_free_vgpr 1
		.amdhsa_next_free_sgpr 1
		.amdhsa_reserve_vcc 0
		.amdhsa_float_round_mode_32 0
		.amdhsa_float_round_mode_16_64 0
		.amdhsa_float_denorm_mode_32 3
		.amdhsa_float_denorm_mode_16_64 3
		.amdhsa_dx10_clamp 1
		.amdhsa_ieee_mode 1
		.amdhsa_fp16_overflow 0
		.amdhsa_workgroup_processor_mode 1
		.amdhsa_memory_ordered 1
		.amdhsa_forward_progress 0
		.amdhsa_shared_vgpr_count 0
		.amdhsa_exception_fp_ieee_invalid_op 0
		.amdhsa_exception_fp_denorm_src 0
		.amdhsa_exception_fp_ieee_div_zero 0
		.amdhsa_exception_fp_ieee_overflow 0
		.amdhsa_exception_fp_ieee_underflow 0
		.amdhsa_exception_fp_ieee_inexact 0
		.amdhsa_exception_int_div_zero 0
	.end_amdhsa_kernel
	.section	.text._ZN7rocprim17ROCPRIM_400000_NS6detail17trampoline_kernelINS0_14default_configENS1_22reduce_config_selectorIbEEZNS1_11reduce_implILb1ES3_N6hipcub16HIPCUB_304000_NS22TransformInputIteratorIb7NonZeroIiEPilEEPllNS8_6detail34convert_binary_result_type_wrapperINS8_3SumESD_lEEEE10hipError_tPvRmT1_T2_T3_mT4_P12ihipStream_tbEUlT_E1_NS1_11comp_targetILNS1_3genE0ELNS1_11target_archE4294967295ELNS1_3gpuE0ELNS1_3repE0EEENS1_30default_config_static_selectorELNS0_4arch9wavefront6targetE0EEEvSM_,"axG",@progbits,_ZN7rocprim17ROCPRIM_400000_NS6detail17trampoline_kernelINS0_14default_configENS1_22reduce_config_selectorIbEEZNS1_11reduce_implILb1ES3_N6hipcub16HIPCUB_304000_NS22TransformInputIteratorIb7NonZeroIiEPilEEPllNS8_6detail34convert_binary_result_type_wrapperINS8_3SumESD_lEEEE10hipError_tPvRmT1_T2_T3_mT4_P12ihipStream_tbEUlT_E1_NS1_11comp_targetILNS1_3genE0ELNS1_11target_archE4294967295ELNS1_3gpuE0ELNS1_3repE0EEENS1_30default_config_static_selectorELNS0_4arch9wavefront6targetE0EEEvSM_,comdat
.Lfunc_end176:
	.size	_ZN7rocprim17ROCPRIM_400000_NS6detail17trampoline_kernelINS0_14default_configENS1_22reduce_config_selectorIbEEZNS1_11reduce_implILb1ES3_N6hipcub16HIPCUB_304000_NS22TransformInputIteratorIb7NonZeroIiEPilEEPllNS8_6detail34convert_binary_result_type_wrapperINS8_3SumESD_lEEEE10hipError_tPvRmT1_T2_T3_mT4_P12ihipStream_tbEUlT_E1_NS1_11comp_targetILNS1_3genE0ELNS1_11target_archE4294967295ELNS1_3gpuE0ELNS1_3repE0EEENS1_30default_config_static_selectorELNS0_4arch9wavefront6targetE0EEEvSM_, .Lfunc_end176-_ZN7rocprim17ROCPRIM_400000_NS6detail17trampoline_kernelINS0_14default_configENS1_22reduce_config_selectorIbEEZNS1_11reduce_implILb1ES3_N6hipcub16HIPCUB_304000_NS22TransformInputIteratorIb7NonZeroIiEPilEEPllNS8_6detail34convert_binary_result_type_wrapperINS8_3SumESD_lEEEE10hipError_tPvRmT1_T2_T3_mT4_P12ihipStream_tbEUlT_E1_NS1_11comp_targetILNS1_3genE0ELNS1_11target_archE4294967295ELNS1_3gpuE0ELNS1_3repE0EEENS1_30default_config_static_selectorELNS0_4arch9wavefront6targetE0EEEvSM_
                                        ; -- End function
	.section	.AMDGPU.csdata,"",@progbits
; Kernel info:
; codeLenInByte = 0
; NumSgprs: 0
; NumVgprs: 0
; ScratchSize: 0
; MemoryBound: 0
; FloatMode: 240
; IeeeMode: 1
; LDSByteSize: 0 bytes/workgroup (compile time only)
; SGPRBlocks: 0
; VGPRBlocks: 0
; NumSGPRsForWavesPerEU: 1
; NumVGPRsForWavesPerEU: 1
; Occupancy: 16
; WaveLimiterHint : 0
; COMPUTE_PGM_RSRC2:SCRATCH_EN: 0
; COMPUTE_PGM_RSRC2:USER_SGPR: 15
; COMPUTE_PGM_RSRC2:TRAP_HANDLER: 0
; COMPUTE_PGM_RSRC2:TGID_X_EN: 1
; COMPUTE_PGM_RSRC2:TGID_Y_EN: 0
; COMPUTE_PGM_RSRC2:TGID_Z_EN: 0
; COMPUTE_PGM_RSRC2:TIDIG_COMP_CNT: 0
	.section	.text._ZN7rocprim17ROCPRIM_400000_NS6detail17trampoline_kernelINS0_14default_configENS1_22reduce_config_selectorIbEEZNS1_11reduce_implILb1ES3_N6hipcub16HIPCUB_304000_NS22TransformInputIteratorIb7NonZeroIiEPilEEPllNS8_6detail34convert_binary_result_type_wrapperINS8_3SumESD_lEEEE10hipError_tPvRmT1_T2_T3_mT4_P12ihipStream_tbEUlT_E1_NS1_11comp_targetILNS1_3genE5ELNS1_11target_archE942ELNS1_3gpuE9ELNS1_3repE0EEENS1_30default_config_static_selectorELNS0_4arch9wavefront6targetE0EEEvSM_,"axG",@progbits,_ZN7rocprim17ROCPRIM_400000_NS6detail17trampoline_kernelINS0_14default_configENS1_22reduce_config_selectorIbEEZNS1_11reduce_implILb1ES3_N6hipcub16HIPCUB_304000_NS22TransformInputIteratorIb7NonZeroIiEPilEEPllNS8_6detail34convert_binary_result_type_wrapperINS8_3SumESD_lEEEE10hipError_tPvRmT1_T2_T3_mT4_P12ihipStream_tbEUlT_E1_NS1_11comp_targetILNS1_3genE5ELNS1_11target_archE942ELNS1_3gpuE9ELNS1_3repE0EEENS1_30default_config_static_selectorELNS0_4arch9wavefront6targetE0EEEvSM_,comdat
	.protected	_ZN7rocprim17ROCPRIM_400000_NS6detail17trampoline_kernelINS0_14default_configENS1_22reduce_config_selectorIbEEZNS1_11reduce_implILb1ES3_N6hipcub16HIPCUB_304000_NS22TransformInputIteratorIb7NonZeroIiEPilEEPllNS8_6detail34convert_binary_result_type_wrapperINS8_3SumESD_lEEEE10hipError_tPvRmT1_T2_T3_mT4_P12ihipStream_tbEUlT_E1_NS1_11comp_targetILNS1_3genE5ELNS1_11target_archE942ELNS1_3gpuE9ELNS1_3repE0EEENS1_30default_config_static_selectorELNS0_4arch9wavefront6targetE0EEEvSM_ ; -- Begin function _ZN7rocprim17ROCPRIM_400000_NS6detail17trampoline_kernelINS0_14default_configENS1_22reduce_config_selectorIbEEZNS1_11reduce_implILb1ES3_N6hipcub16HIPCUB_304000_NS22TransformInputIteratorIb7NonZeroIiEPilEEPllNS8_6detail34convert_binary_result_type_wrapperINS8_3SumESD_lEEEE10hipError_tPvRmT1_T2_T3_mT4_P12ihipStream_tbEUlT_E1_NS1_11comp_targetILNS1_3genE5ELNS1_11target_archE942ELNS1_3gpuE9ELNS1_3repE0EEENS1_30default_config_static_selectorELNS0_4arch9wavefront6targetE0EEEvSM_
	.globl	_ZN7rocprim17ROCPRIM_400000_NS6detail17trampoline_kernelINS0_14default_configENS1_22reduce_config_selectorIbEEZNS1_11reduce_implILb1ES3_N6hipcub16HIPCUB_304000_NS22TransformInputIteratorIb7NonZeroIiEPilEEPllNS8_6detail34convert_binary_result_type_wrapperINS8_3SumESD_lEEEE10hipError_tPvRmT1_T2_T3_mT4_P12ihipStream_tbEUlT_E1_NS1_11comp_targetILNS1_3genE5ELNS1_11target_archE942ELNS1_3gpuE9ELNS1_3repE0EEENS1_30default_config_static_selectorELNS0_4arch9wavefront6targetE0EEEvSM_
	.p2align	8
	.type	_ZN7rocprim17ROCPRIM_400000_NS6detail17trampoline_kernelINS0_14default_configENS1_22reduce_config_selectorIbEEZNS1_11reduce_implILb1ES3_N6hipcub16HIPCUB_304000_NS22TransformInputIteratorIb7NonZeroIiEPilEEPllNS8_6detail34convert_binary_result_type_wrapperINS8_3SumESD_lEEEE10hipError_tPvRmT1_T2_T3_mT4_P12ihipStream_tbEUlT_E1_NS1_11comp_targetILNS1_3genE5ELNS1_11target_archE942ELNS1_3gpuE9ELNS1_3repE0EEENS1_30default_config_static_selectorELNS0_4arch9wavefront6targetE0EEEvSM_,@function
_ZN7rocprim17ROCPRIM_400000_NS6detail17trampoline_kernelINS0_14default_configENS1_22reduce_config_selectorIbEEZNS1_11reduce_implILb1ES3_N6hipcub16HIPCUB_304000_NS22TransformInputIteratorIb7NonZeroIiEPilEEPllNS8_6detail34convert_binary_result_type_wrapperINS8_3SumESD_lEEEE10hipError_tPvRmT1_T2_T3_mT4_P12ihipStream_tbEUlT_E1_NS1_11comp_targetILNS1_3genE5ELNS1_11target_archE942ELNS1_3gpuE9ELNS1_3repE0EEENS1_30default_config_static_selectorELNS0_4arch9wavefront6targetE0EEEvSM_: ; @_ZN7rocprim17ROCPRIM_400000_NS6detail17trampoline_kernelINS0_14default_configENS1_22reduce_config_selectorIbEEZNS1_11reduce_implILb1ES3_N6hipcub16HIPCUB_304000_NS22TransformInputIteratorIb7NonZeroIiEPilEEPllNS8_6detail34convert_binary_result_type_wrapperINS8_3SumESD_lEEEE10hipError_tPvRmT1_T2_T3_mT4_P12ihipStream_tbEUlT_E1_NS1_11comp_targetILNS1_3genE5ELNS1_11target_archE942ELNS1_3gpuE9ELNS1_3repE0EEENS1_30default_config_static_selectorELNS0_4arch9wavefront6targetE0EEEvSM_
; %bb.0:
	.section	.rodata,"a",@progbits
	.p2align	6, 0x0
	.amdhsa_kernel _ZN7rocprim17ROCPRIM_400000_NS6detail17trampoline_kernelINS0_14default_configENS1_22reduce_config_selectorIbEEZNS1_11reduce_implILb1ES3_N6hipcub16HIPCUB_304000_NS22TransformInputIteratorIb7NonZeroIiEPilEEPllNS8_6detail34convert_binary_result_type_wrapperINS8_3SumESD_lEEEE10hipError_tPvRmT1_T2_T3_mT4_P12ihipStream_tbEUlT_E1_NS1_11comp_targetILNS1_3genE5ELNS1_11target_archE942ELNS1_3gpuE9ELNS1_3repE0EEENS1_30default_config_static_selectorELNS0_4arch9wavefront6targetE0EEEvSM_
		.amdhsa_group_segment_fixed_size 0
		.amdhsa_private_segment_fixed_size 0
		.amdhsa_kernarg_size 56
		.amdhsa_user_sgpr_count 15
		.amdhsa_user_sgpr_dispatch_ptr 0
		.amdhsa_user_sgpr_queue_ptr 0
		.amdhsa_user_sgpr_kernarg_segment_ptr 1
		.amdhsa_user_sgpr_dispatch_id 0
		.amdhsa_user_sgpr_private_segment_size 0
		.amdhsa_wavefront_size32 1
		.amdhsa_uses_dynamic_stack 0
		.amdhsa_enable_private_segment 0
		.amdhsa_system_sgpr_workgroup_id_x 1
		.amdhsa_system_sgpr_workgroup_id_y 0
		.amdhsa_system_sgpr_workgroup_id_z 0
		.amdhsa_system_sgpr_workgroup_info 0
		.amdhsa_system_vgpr_workitem_id 0
		.amdhsa_next_free_vgpr 1
		.amdhsa_next_free_sgpr 1
		.amdhsa_reserve_vcc 0
		.amdhsa_float_round_mode_32 0
		.amdhsa_float_round_mode_16_64 0
		.amdhsa_float_denorm_mode_32 3
		.amdhsa_float_denorm_mode_16_64 3
		.amdhsa_dx10_clamp 1
		.amdhsa_ieee_mode 1
		.amdhsa_fp16_overflow 0
		.amdhsa_workgroup_processor_mode 1
		.amdhsa_memory_ordered 1
		.amdhsa_forward_progress 0
		.amdhsa_shared_vgpr_count 0
		.amdhsa_exception_fp_ieee_invalid_op 0
		.amdhsa_exception_fp_denorm_src 0
		.amdhsa_exception_fp_ieee_div_zero 0
		.amdhsa_exception_fp_ieee_overflow 0
		.amdhsa_exception_fp_ieee_underflow 0
		.amdhsa_exception_fp_ieee_inexact 0
		.amdhsa_exception_int_div_zero 0
	.end_amdhsa_kernel
	.section	.text._ZN7rocprim17ROCPRIM_400000_NS6detail17trampoline_kernelINS0_14default_configENS1_22reduce_config_selectorIbEEZNS1_11reduce_implILb1ES3_N6hipcub16HIPCUB_304000_NS22TransformInputIteratorIb7NonZeroIiEPilEEPllNS8_6detail34convert_binary_result_type_wrapperINS8_3SumESD_lEEEE10hipError_tPvRmT1_T2_T3_mT4_P12ihipStream_tbEUlT_E1_NS1_11comp_targetILNS1_3genE5ELNS1_11target_archE942ELNS1_3gpuE9ELNS1_3repE0EEENS1_30default_config_static_selectorELNS0_4arch9wavefront6targetE0EEEvSM_,"axG",@progbits,_ZN7rocprim17ROCPRIM_400000_NS6detail17trampoline_kernelINS0_14default_configENS1_22reduce_config_selectorIbEEZNS1_11reduce_implILb1ES3_N6hipcub16HIPCUB_304000_NS22TransformInputIteratorIb7NonZeroIiEPilEEPllNS8_6detail34convert_binary_result_type_wrapperINS8_3SumESD_lEEEE10hipError_tPvRmT1_T2_T3_mT4_P12ihipStream_tbEUlT_E1_NS1_11comp_targetILNS1_3genE5ELNS1_11target_archE942ELNS1_3gpuE9ELNS1_3repE0EEENS1_30default_config_static_selectorELNS0_4arch9wavefront6targetE0EEEvSM_,comdat
.Lfunc_end177:
	.size	_ZN7rocprim17ROCPRIM_400000_NS6detail17trampoline_kernelINS0_14default_configENS1_22reduce_config_selectorIbEEZNS1_11reduce_implILb1ES3_N6hipcub16HIPCUB_304000_NS22TransformInputIteratorIb7NonZeroIiEPilEEPllNS8_6detail34convert_binary_result_type_wrapperINS8_3SumESD_lEEEE10hipError_tPvRmT1_T2_T3_mT4_P12ihipStream_tbEUlT_E1_NS1_11comp_targetILNS1_3genE5ELNS1_11target_archE942ELNS1_3gpuE9ELNS1_3repE0EEENS1_30default_config_static_selectorELNS0_4arch9wavefront6targetE0EEEvSM_, .Lfunc_end177-_ZN7rocprim17ROCPRIM_400000_NS6detail17trampoline_kernelINS0_14default_configENS1_22reduce_config_selectorIbEEZNS1_11reduce_implILb1ES3_N6hipcub16HIPCUB_304000_NS22TransformInputIteratorIb7NonZeroIiEPilEEPllNS8_6detail34convert_binary_result_type_wrapperINS8_3SumESD_lEEEE10hipError_tPvRmT1_T2_T3_mT4_P12ihipStream_tbEUlT_E1_NS1_11comp_targetILNS1_3genE5ELNS1_11target_archE942ELNS1_3gpuE9ELNS1_3repE0EEENS1_30default_config_static_selectorELNS0_4arch9wavefront6targetE0EEEvSM_
                                        ; -- End function
	.section	.AMDGPU.csdata,"",@progbits
; Kernel info:
; codeLenInByte = 0
; NumSgprs: 0
; NumVgprs: 0
; ScratchSize: 0
; MemoryBound: 0
; FloatMode: 240
; IeeeMode: 1
; LDSByteSize: 0 bytes/workgroup (compile time only)
; SGPRBlocks: 0
; VGPRBlocks: 0
; NumSGPRsForWavesPerEU: 1
; NumVGPRsForWavesPerEU: 1
; Occupancy: 16
; WaveLimiterHint : 0
; COMPUTE_PGM_RSRC2:SCRATCH_EN: 0
; COMPUTE_PGM_RSRC2:USER_SGPR: 15
; COMPUTE_PGM_RSRC2:TRAP_HANDLER: 0
; COMPUTE_PGM_RSRC2:TGID_X_EN: 1
; COMPUTE_PGM_RSRC2:TGID_Y_EN: 0
; COMPUTE_PGM_RSRC2:TGID_Z_EN: 0
; COMPUTE_PGM_RSRC2:TIDIG_COMP_CNT: 0
	.section	.text._ZN7rocprim17ROCPRIM_400000_NS6detail17trampoline_kernelINS0_14default_configENS1_22reduce_config_selectorIbEEZNS1_11reduce_implILb1ES3_N6hipcub16HIPCUB_304000_NS22TransformInputIteratorIb7NonZeroIiEPilEEPllNS8_6detail34convert_binary_result_type_wrapperINS8_3SumESD_lEEEE10hipError_tPvRmT1_T2_T3_mT4_P12ihipStream_tbEUlT_E1_NS1_11comp_targetILNS1_3genE4ELNS1_11target_archE910ELNS1_3gpuE8ELNS1_3repE0EEENS1_30default_config_static_selectorELNS0_4arch9wavefront6targetE0EEEvSM_,"axG",@progbits,_ZN7rocprim17ROCPRIM_400000_NS6detail17trampoline_kernelINS0_14default_configENS1_22reduce_config_selectorIbEEZNS1_11reduce_implILb1ES3_N6hipcub16HIPCUB_304000_NS22TransformInputIteratorIb7NonZeroIiEPilEEPllNS8_6detail34convert_binary_result_type_wrapperINS8_3SumESD_lEEEE10hipError_tPvRmT1_T2_T3_mT4_P12ihipStream_tbEUlT_E1_NS1_11comp_targetILNS1_3genE4ELNS1_11target_archE910ELNS1_3gpuE8ELNS1_3repE0EEENS1_30default_config_static_selectorELNS0_4arch9wavefront6targetE0EEEvSM_,comdat
	.protected	_ZN7rocprim17ROCPRIM_400000_NS6detail17trampoline_kernelINS0_14default_configENS1_22reduce_config_selectorIbEEZNS1_11reduce_implILb1ES3_N6hipcub16HIPCUB_304000_NS22TransformInputIteratorIb7NonZeroIiEPilEEPllNS8_6detail34convert_binary_result_type_wrapperINS8_3SumESD_lEEEE10hipError_tPvRmT1_T2_T3_mT4_P12ihipStream_tbEUlT_E1_NS1_11comp_targetILNS1_3genE4ELNS1_11target_archE910ELNS1_3gpuE8ELNS1_3repE0EEENS1_30default_config_static_selectorELNS0_4arch9wavefront6targetE0EEEvSM_ ; -- Begin function _ZN7rocprim17ROCPRIM_400000_NS6detail17trampoline_kernelINS0_14default_configENS1_22reduce_config_selectorIbEEZNS1_11reduce_implILb1ES3_N6hipcub16HIPCUB_304000_NS22TransformInputIteratorIb7NonZeroIiEPilEEPllNS8_6detail34convert_binary_result_type_wrapperINS8_3SumESD_lEEEE10hipError_tPvRmT1_T2_T3_mT4_P12ihipStream_tbEUlT_E1_NS1_11comp_targetILNS1_3genE4ELNS1_11target_archE910ELNS1_3gpuE8ELNS1_3repE0EEENS1_30default_config_static_selectorELNS0_4arch9wavefront6targetE0EEEvSM_
	.globl	_ZN7rocprim17ROCPRIM_400000_NS6detail17trampoline_kernelINS0_14default_configENS1_22reduce_config_selectorIbEEZNS1_11reduce_implILb1ES3_N6hipcub16HIPCUB_304000_NS22TransformInputIteratorIb7NonZeroIiEPilEEPllNS8_6detail34convert_binary_result_type_wrapperINS8_3SumESD_lEEEE10hipError_tPvRmT1_T2_T3_mT4_P12ihipStream_tbEUlT_E1_NS1_11comp_targetILNS1_3genE4ELNS1_11target_archE910ELNS1_3gpuE8ELNS1_3repE0EEENS1_30default_config_static_selectorELNS0_4arch9wavefront6targetE0EEEvSM_
	.p2align	8
	.type	_ZN7rocprim17ROCPRIM_400000_NS6detail17trampoline_kernelINS0_14default_configENS1_22reduce_config_selectorIbEEZNS1_11reduce_implILb1ES3_N6hipcub16HIPCUB_304000_NS22TransformInputIteratorIb7NonZeroIiEPilEEPllNS8_6detail34convert_binary_result_type_wrapperINS8_3SumESD_lEEEE10hipError_tPvRmT1_T2_T3_mT4_P12ihipStream_tbEUlT_E1_NS1_11comp_targetILNS1_3genE4ELNS1_11target_archE910ELNS1_3gpuE8ELNS1_3repE0EEENS1_30default_config_static_selectorELNS0_4arch9wavefront6targetE0EEEvSM_,@function
_ZN7rocprim17ROCPRIM_400000_NS6detail17trampoline_kernelINS0_14default_configENS1_22reduce_config_selectorIbEEZNS1_11reduce_implILb1ES3_N6hipcub16HIPCUB_304000_NS22TransformInputIteratorIb7NonZeroIiEPilEEPllNS8_6detail34convert_binary_result_type_wrapperINS8_3SumESD_lEEEE10hipError_tPvRmT1_T2_T3_mT4_P12ihipStream_tbEUlT_E1_NS1_11comp_targetILNS1_3genE4ELNS1_11target_archE910ELNS1_3gpuE8ELNS1_3repE0EEENS1_30default_config_static_selectorELNS0_4arch9wavefront6targetE0EEEvSM_: ; @_ZN7rocprim17ROCPRIM_400000_NS6detail17trampoline_kernelINS0_14default_configENS1_22reduce_config_selectorIbEEZNS1_11reduce_implILb1ES3_N6hipcub16HIPCUB_304000_NS22TransformInputIteratorIb7NonZeroIiEPilEEPllNS8_6detail34convert_binary_result_type_wrapperINS8_3SumESD_lEEEE10hipError_tPvRmT1_T2_T3_mT4_P12ihipStream_tbEUlT_E1_NS1_11comp_targetILNS1_3genE4ELNS1_11target_archE910ELNS1_3gpuE8ELNS1_3repE0EEENS1_30default_config_static_selectorELNS0_4arch9wavefront6targetE0EEEvSM_
; %bb.0:
	.section	.rodata,"a",@progbits
	.p2align	6, 0x0
	.amdhsa_kernel _ZN7rocprim17ROCPRIM_400000_NS6detail17trampoline_kernelINS0_14default_configENS1_22reduce_config_selectorIbEEZNS1_11reduce_implILb1ES3_N6hipcub16HIPCUB_304000_NS22TransformInputIteratorIb7NonZeroIiEPilEEPllNS8_6detail34convert_binary_result_type_wrapperINS8_3SumESD_lEEEE10hipError_tPvRmT1_T2_T3_mT4_P12ihipStream_tbEUlT_E1_NS1_11comp_targetILNS1_3genE4ELNS1_11target_archE910ELNS1_3gpuE8ELNS1_3repE0EEENS1_30default_config_static_selectorELNS0_4arch9wavefront6targetE0EEEvSM_
		.amdhsa_group_segment_fixed_size 0
		.amdhsa_private_segment_fixed_size 0
		.amdhsa_kernarg_size 56
		.amdhsa_user_sgpr_count 15
		.amdhsa_user_sgpr_dispatch_ptr 0
		.amdhsa_user_sgpr_queue_ptr 0
		.amdhsa_user_sgpr_kernarg_segment_ptr 1
		.amdhsa_user_sgpr_dispatch_id 0
		.amdhsa_user_sgpr_private_segment_size 0
		.amdhsa_wavefront_size32 1
		.amdhsa_uses_dynamic_stack 0
		.amdhsa_enable_private_segment 0
		.amdhsa_system_sgpr_workgroup_id_x 1
		.amdhsa_system_sgpr_workgroup_id_y 0
		.amdhsa_system_sgpr_workgroup_id_z 0
		.amdhsa_system_sgpr_workgroup_info 0
		.amdhsa_system_vgpr_workitem_id 0
		.amdhsa_next_free_vgpr 1
		.amdhsa_next_free_sgpr 1
		.amdhsa_reserve_vcc 0
		.amdhsa_float_round_mode_32 0
		.amdhsa_float_round_mode_16_64 0
		.amdhsa_float_denorm_mode_32 3
		.amdhsa_float_denorm_mode_16_64 3
		.amdhsa_dx10_clamp 1
		.amdhsa_ieee_mode 1
		.amdhsa_fp16_overflow 0
		.amdhsa_workgroup_processor_mode 1
		.amdhsa_memory_ordered 1
		.amdhsa_forward_progress 0
		.amdhsa_shared_vgpr_count 0
		.amdhsa_exception_fp_ieee_invalid_op 0
		.amdhsa_exception_fp_denorm_src 0
		.amdhsa_exception_fp_ieee_div_zero 0
		.amdhsa_exception_fp_ieee_overflow 0
		.amdhsa_exception_fp_ieee_underflow 0
		.amdhsa_exception_fp_ieee_inexact 0
		.amdhsa_exception_int_div_zero 0
	.end_amdhsa_kernel
	.section	.text._ZN7rocprim17ROCPRIM_400000_NS6detail17trampoline_kernelINS0_14default_configENS1_22reduce_config_selectorIbEEZNS1_11reduce_implILb1ES3_N6hipcub16HIPCUB_304000_NS22TransformInputIteratorIb7NonZeroIiEPilEEPllNS8_6detail34convert_binary_result_type_wrapperINS8_3SumESD_lEEEE10hipError_tPvRmT1_T2_T3_mT4_P12ihipStream_tbEUlT_E1_NS1_11comp_targetILNS1_3genE4ELNS1_11target_archE910ELNS1_3gpuE8ELNS1_3repE0EEENS1_30default_config_static_selectorELNS0_4arch9wavefront6targetE0EEEvSM_,"axG",@progbits,_ZN7rocprim17ROCPRIM_400000_NS6detail17trampoline_kernelINS0_14default_configENS1_22reduce_config_selectorIbEEZNS1_11reduce_implILb1ES3_N6hipcub16HIPCUB_304000_NS22TransformInputIteratorIb7NonZeroIiEPilEEPllNS8_6detail34convert_binary_result_type_wrapperINS8_3SumESD_lEEEE10hipError_tPvRmT1_T2_T3_mT4_P12ihipStream_tbEUlT_E1_NS1_11comp_targetILNS1_3genE4ELNS1_11target_archE910ELNS1_3gpuE8ELNS1_3repE0EEENS1_30default_config_static_selectorELNS0_4arch9wavefront6targetE0EEEvSM_,comdat
.Lfunc_end178:
	.size	_ZN7rocprim17ROCPRIM_400000_NS6detail17trampoline_kernelINS0_14default_configENS1_22reduce_config_selectorIbEEZNS1_11reduce_implILb1ES3_N6hipcub16HIPCUB_304000_NS22TransformInputIteratorIb7NonZeroIiEPilEEPllNS8_6detail34convert_binary_result_type_wrapperINS8_3SumESD_lEEEE10hipError_tPvRmT1_T2_T3_mT4_P12ihipStream_tbEUlT_E1_NS1_11comp_targetILNS1_3genE4ELNS1_11target_archE910ELNS1_3gpuE8ELNS1_3repE0EEENS1_30default_config_static_selectorELNS0_4arch9wavefront6targetE0EEEvSM_, .Lfunc_end178-_ZN7rocprim17ROCPRIM_400000_NS6detail17trampoline_kernelINS0_14default_configENS1_22reduce_config_selectorIbEEZNS1_11reduce_implILb1ES3_N6hipcub16HIPCUB_304000_NS22TransformInputIteratorIb7NonZeroIiEPilEEPllNS8_6detail34convert_binary_result_type_wrapperINS8_3SumESD_lEEEE10hipError_tPvRmT1_T2_T3_mT4_P12ihipStream_tbEUlT_E1_NS1_11comp_targetILNS1_3genE4ELNS1_11target_archE910ELNS1_3gpuE8ELNS1_3repE0EEENS1_30default_config_static_selectorELNS0_4arch9wavefront6targetE0EEEvSM_
                                        ; -- End function
	.section	.AMDGPU.csdata,"",@progbits
; Kernel info:
; codeLenInByte = 0
; NumSgprs: 0
; NumVgprs: 0
; ScratchSize: 0
; MemoryBound: 0
; FloatMode: 240
; IeeeMode: 1
; LDSByteSize: 0 bytes/workgroup (compile time only)
; SGPRBlocks: 0
; VGPRBlocks: 0
; NumSGPRsForWavesPerEU: 1
; NumVGPRsForWavesPerEU: 1
; Occupancy: 16
; WaveLimiterHint : 0
; COMPUTE_PGM_RSRC2:SCRATCH_EN: 0
; COMPUTE_PGM_RSRC2:USER_SGPR: 15
; COMPUTE_PGM_RSRC2:TRAP_HANDLER: 0
; COMPUTE_PGM_RSRC2:TGID_X_EN: 1
; COMPUTE_PGM_RSRC2:TGID_Y_EN: 0
; COMPUTE_PGM_RSRC2:TGID_Z_EN: 0
; COMPUTE_PGM_RSRC2:TIDIG_COMP_CNT: 0
	.section	.text._ZN7rocprim17ROCPRIM_400000_NS6detail17trampoline_kernelINS0_14default_configENS1_22reduce_config_selectorIbEEZNS1_11reduce_implILb1ES3_N6hipcub16HIPCUB_304000_NS22TransformInputIteratorIb7NonZeroIiEPilEEPllNS8_6detail34convert_binary_result_type_wrapperINS8_3SumESD_lEEEE10hipError_tPvRmT1_T2_T3_mT4_P12ihipStream_tbEUlT_E1_NS1_11comp_targetILNS1_3genE3ELNS1_11target_archE908ELNS1_3gpuE7ELNS1_3repE0EEENS1_30default_config_static_selectorELNS0_4arch9wavefront6targetE0EEEvSM_,"axG",@progbits,_ZN7rocprim17ROCPRIM_400000_NS6detail17trampoline_kernelINS0_14default_configENS1_22reduce_config_selectorIbEEZNS1_11reduce_implILb1ES3_N6hipcub16HIPCUB_304000_NS22TransformInputIteratorIb7NonZeroIiEPilEEPllNS8_6detail34convert_binary_result_type_wrapperINS8_3SumESD_lEEEE10hipError_tPvRmT1_T2_T3_mT4_P12ihipStream_tbEUlT_E1_NS1_11comp_targetILNS1_3genE3ELNS1_11target_archE908ELNS1_3gpuE7ELNS1_3repE0EEENS1_30default_config_static_selectorELNS0_4arch9wavefront6targetE0EEEvSM_,comdat
	.protected	_ZN7rocprim17ROCPRIM_400000_NS6detail17trampoline_kernelINS0_14default_configENS1_22reduce_config_selectorIbEEZNS1_11reduce_implILb1ES3_N6hipcub16HIPCUB_304000_NS22TransformInputIteratorIb7NonZeroIiEPilEEPllNS8_6detail34convert_binary_result_type_wrapperINS8_3SumESD_lEEEE10hipError_tPvRmT1_T2_T3_mT4_P12ihipStream_tbEUlT_E1_NS1_11comp_targetILNS1_3genE3ELNS1_11target_archE908ELNS1_3gpuE7ELNS1_3repE0EEENS1_30default_config_static_selectorELNS0_4arch9wavefront6targetE0EEEvSM_ ; -- Begin function _ZN7rocprim17ROCPRIM_400000_NS6detail17trampoline_kernelINS0_14default_configENS1_22reduce_config_selectorIbEEZNS1_11reduce_implILb1ES3_N6hipcub16HIPCUB_304000_NS22TransformInputIteratorIb7NonZeroIiEPilEEPllNS8_6detail34convert_binary_result_type_wrapperINS8_3SumESD_lEEEE10hipError_tPvRmT1_T2_T3_mT4_P12ihipStream_tbEUlT_E1_NS1_11comp_targetILNS1_3genE3ELNS1_11target_archE908ELNS1_3gpuE7ELNS1_3repE0EEENS1_30default_config_static_selectorELNS0_4arch9wavefront6targetE0EEEvSM_
	.globl	_ZN7rocprim17ROCPRIM_400000_NS6detail17trampoline_kernelINS0_14default_configENS1_22reduce_config_selectorIbEEZNS1_11reduce_implILb1ES3_N6hipcub16HIPCUB_304000_NS22TransformInputIteratorIb7NonZeroIiEPilEEPllNS8_6detail34convert_binary_result_type_wrapperINS8_3SumESD_lEEEE10hipError_tPvRmT1_T2_T3_mT4_P12ihipStream_tbEUlT_E1_NS1_11comp_targetILNS1_3genE3ELNS1_11target_archE908ELNS1_3gpuE7ELNS1_3repE0EEENS1_30default_config_static_selectorELNS0_4arch9wavefront6targetE0EEEvSM_
	.p2align	8
	.type	_ZN7rocprim17ROCPRIM_400000_NS6detail17trampoline_kernelINS0_14default_configENS1_22reduce_config_selectorIbEEZNS1_11reduce_implILb1ES3_N6hipcub16HIPCUB_304000_NS22TransformInputIteratorIb7NonZeroIiEPilEEPllNS8_6detail34convert_binary_result_type_wrapperINS8_3SumESD_lEEEE10hipError_tPvRmT1_T2_T3_mT4_P12ihipStream_tbEUlT_E1_NS1_11comp_targetILNS1_3genE3ELNS1_11target_archE908ELNS1_3gpuE7ELNS1_3repE0EEENS1_30default_config_static_selectorELNS0_4arch9wavefront6targetE0EEEvSM_,@function
_ZN7rocprim17ROCPRIM_400000_NS6detail17trampoline_kernelINS0_14default_configENS1_22reduce_config_selectorIbEEZNS1_11reduce_implILb1ES3_N6hipcub16HIPCUB_304000_NS22TransformInputIteratorIb7NonZeroIiEPilEEPllNS8_6detail34convert_binary_result_type_wrapperINS8_3SumESD_lEEEE10hipError_tPvRmT1_T2_T3_mT4_P12ihipStream_tbEUlT_E1_NS1_11comp_targetILNS1_3genE3ELNS1_11target_archE908ELNS1_3gpuE7ELNS1_3repE0EEENS1_30default_config_static_selectorELNS0_4arch9wavefront6targetE0EEEvSM_: ; @_ZN7rocprim17ROCPRIM_400000_NS6detail17trampoline_kernelINS0_14default_configENS1_22reduce_config_selectorIbEEZNS1_11reduce_implILb1ES3_N6hipcub16HIPCUB_304000_NS22TransformInputIteratorIb7NonZeroIiEPilEEPllNS8_6detail34convert_binary_result_type_wrapperINS8_3SumESD_lEEEE10hipError_tPvRmT1_T2_T3_mT4_P12ihipStream_tbEUlT_E1_NS1_11comp_targetILNS1_3genE3ELNS1_11target_archE908ELNS1_3gpuE7ELNS1_3repE0EEENS1_30default_config_static_selectorELNS0_4arch9wavefront6targetE0EEEvSM_
; %bb.0:
	.section	.rodata,"a",@progbits
	.p2align	6, 0x0
	.amdhsa_kernel _ZN7rocprim17ROCPRIM_400000_NS6detail17trampoline_kernelINS0_14default_configENS1_22reduce_config_selectorIbEEZNS1_11reduce_implILb1ES3_N6hipcub16HIPCUB_304000_NS22TransformInputIteratorIb7NonZeroIiEPilEEPllNS8_6detail34convert_binary_result_type_wrapperINS8_3SumESD_lEEEE10hipError_tPvRmT1_T2_T3_mT4_P12ihipStream_tbEUlT_E1_NS1_11comp_targetILNS1_3genE3ELNS1_11target_archE908ELNS1_3gpuE7ELNS1_3repE0EEENS1_30default_config_static_selectorELNS0_4arch9wavefront6targetE0EEEvSM_
		.amdhsa_group_segment_fixed_size 0
		.amdhsa_private_segment_fixed_size 0
		.amdhsa_kernarg_size 56
		.amdhsa_user_sgpr_count 15
		.amdhsa_user_sgpr_dispatch_ptr 0
		.amdhsa_user_sgpr_queue_ptr 0
		.amdhsa_user_sgpr_kernarg_segment_ptr 1
		.amdhsa_user_sgpr_dispatch_id 0
		.amdhsa_user_sgpr_private_segment_size 0
		.amdhsa_wavefront_size32 1
		.amdhsa_uses_dynamic_stack 0
		.amdhsa_enable_private_segment 0
		.amdhsa_system_sgpr_workgroup_id_x 1
		.amdhsa_system_sgpr_workgroup_id_y 0
		.amdhsa_system_sgpr_workgroup_id_z 0
		.amdhsa_system_sgpr_workgroup_info 0
		.amdhsa_system_vgpr_workitem_id 0
		.amdhsa_next_free_vgpr 1
		.amdhsa_next_free_sgpr 1
		.amdhsa_reserve_vcc 0
		.amdhsa_float_round_mode_32 0
		.amdhsa_float_round_mode_16_64 0
		.amdhsa_float_denorm_mode_32 3
		.amdhsa_float_denorm_mode_16_64 3
		.amdhsa_dx10_clamp 1
		.amdhsa_ieee_mode 1
		.amdhsa_fp16_overflow 0
		.amdhsa_workgroup_processor_mode 1
		.amdhsa_memory_ordered 1
		.amdhsa_forward_progress 0
		.amdhsa_shared_vgpr_count 0
		.amdhsa_exception_fp_ieee_invalid_op 0
		.amdhsa_exception_fp_denorm_src 0
		.amdhsa_exception_fp_ieee_div_zero 0
		.amdhsa_exception_fp_ieee_overflow 0
		.amdhsa_exception_fp_ieee_underflow 0
		.amdhsa_exception_fp_ieee_inexact 0
		.amdhsa_exception_int_div_zero 0
	.end_amdhsa_kernel
	.section	.text._ZN7rocprim17ROCPRIM_400000_NS6detail17trampoline_kernelINS0_14default_configENS1_22reduce_config_selectorIbEEZNS1_11reduce_implILb1ES3_N6hipcub16HIPCUB_304000_NS22TransformInputIteratorIb7NonZeroIiEPilEEPllNS8_6detail34convert_binary_result_type_wrapperINS8_3SumESD_lEEEE10hipError_tPvRmT1_T2_T3_mT4_P12ihipStream_tbEUlT_E1_NS1_11comp_targetILNS1_3genE3ELNS1_11target_archE908ELNS1_3gpuE7ELNS1_3repE0EEENS1_30default_config_static_selectorELNS0_4arch9wavefront6targetE0EEEvSM_,"axG",@progbits,_ZN7rocprim17ROCPRIM_400000_NS6detail17trampoline_kernelINS0_14default_configENS1_22reduce_config_selectorIbEEZNS1_11reduce_implILb1ES3_N6hipcub16HIPCUB_304000_NS22TransformInputIteratorIb7NonZeroIiEPilEEPllNS8_6detail34convert_binary_result_type_wrapperINS8_3SumESD_lEEEE10hipError_tPvRmT1_T2_T3_mT4_P12ihipStream_tbEUlT_E1_NS1_11comp_targetILNS1_3genE3ELNS1_11target_archE908ELNS1_3gpuE7ELNS1_3repE0EEENS1_30default_config_static_selectorELNS0_4arch9wavefront6targetE0EEEvSM_,comdat
.Lfunc_end179:
	.size	_ZN7rocprim17ROCPRIM_400000_NS6detail17trampoline_kernelINS0_14default_configENS1_22reduce_config_selectorIbEEZNS1_11reduce_implILb1ES3_N6hipcub16HIPCUB_304000_NS22TransformInputIteratorIb7NonZeroIiEPilEEPllNS8_6detail34convert_binary_result_type_wrapperINS8_3SumESD_lEEEE10hipError_tPvRmT1_T2_T3_mT4_P12ihipStream_tbEUlT_E1_NS1_11comp_targetILNS1_3genE3ELNS1_11target_archE908ELNS1_3gpuE7ELNS1_3repE0EEENS1_30default_config_static_selectorELNS0_4arch9wavefront6targetE0EEEvSM_, .Lfunc_end179-_ZN7rocprim17ROCPRIM_400000_NS6detail17trampoline_kernelINS0_14default_configENS1_22reduce_config_selectorIbEEZNS1_11reduce_implILb1ES3_N6hipcub16HIPCUB_304000_NS22TransformInputIteratorIb7NonZeroIiEPilEEPllNS8_6detail34convert_binary_result_type_wrapperINS8_3SumESD_lEEEE10hipError_tPvRmT1_T2_T3_mT4_P12ihipStream_tbEUlT_E1_NS1_11comp_targetILNS1_3genE3ELNS1_11target_archE908ELNS1_3gpuE7ELNS1_3repE0EEENS1_30default_config_static_selectorELNS0_4arch9wavefront6targetE0EEEvSM_
                                        ; -- End function
	.section	.AMDGPU.csdata,"",@progbits
; Kernel info:
; codeLenInByte = 0
; NumSgprs: 0
; NumVgprs: 0
; ScratchSize: 0
; MemoryBound: 0
; FloatMode: 240
; IeeeMode: 1
; LDSByteSize: 0 bytes/workgroup (compile time only)
; SGPRBlocks: 0
; VGPRBlocks: 0
; NumSGPRsForWavesPerEU: 1
; NumVGPRsForWavesPerEU: 1
; Occupancy: 16
; WaveLimiterHint : 0
; COMPUTE_PGM_RSRC2:SCRATCH_EN: 0
; COMPUTE_PGM_RSRC2:USER_SGPR: 15
; COMPUTE_PGM_RSRC2:TRAP_HANDLER: 0
; COMPUTE_PGM_RSRC2:TGID_X_EN: 1
; COMPUTE_PGM_RSRC2:TGID_Y_EN: 0
; COMPUTE_PGM_RSRC2:TGID_Z_EN: 0
; COMPUTE_PGM_RSRC2:TIDIG_COMP_CNT: 0
	.section	.text._ZN7rocprim17ROCPRIM_400000_NS6detail17trampoline_kernelINS0_14default_configENS1_22reduce_config_selectorIbEEZNS1_11reduce_implILb1ES3_N6hipcub16HIPCUB_304000_NS22TransformInputIteratorIb7NonZeroIiEPilEEPllNS8_6detail34convert_binary_result_type_wrapperINS8_3SumESD_lEEEE10hipError_tPvRmT1_T2_T3_mT4_P12ihipStream_tbEUlT_E1_NS1_11comp_targetILNS1_3genE2ELNS1_11target_archE906ELNS1_3gpuE6ELNS1_3repE0EEENS1_30default_config_static_selectorELNS0_4arch9wavefront6targetE0EEEvSM_,"axG",@progbits,_ZN7rocprim17ROCPRIM_400000_NS6detail17trampoline_kernelINS0_14default_configENS1_22reduce_config_selectorIbEEZNS1_11reduce_implILb1ES3_N6hipcub16HIPCUB_304000_NS22TransformInputIteratorIb7NonZeroIiEPilEEPllNS8_6detail34convert_binary_result_type_wrapperINS8_3SumESD_lEEEE10hipError_tPvRmT1_T2_T3_mT4_P12ihipStream_tbEUlT_E1_NS1_11comp_targetILNS1_3genE2ELNS1_11target_archE906ELNS1_3gpuE6ELNS1_3repE0EEENS1_30default_config_static_selectorELNS0_4arch9wavefront6targetE0EEEvSM_,comdat
	.protected	_ZN7rocprim17ROCPRIM_400000_NS6detail17trampoline_kernelINS0_14default_configENS1_22reduce_config_selectorIbEEZNS1_11reduce_implILb1ES3_N6hipcub16HIPCUB_304000_NS22TransformInputIteratorIb7NonZeroIiEPilEEPllNS8_6detail34convert_binary_result_type_wrapperINS8_3SumESD_lEEEE10hipError_tPvRmT1_T2_T3_mT4_P12ihipStream_tbEUlT_E1_NS1_11comp_targetILNS1_3genE2ELNS1_11target_archE906ELNS1_3gpuE6ELNS1_3repE0EEENS1_30default_config_static_selectorELNS0_4arch9wavefront6targetE0EEEvSM_ ; -- Begin function _ZN7rocprim17ROCPRIM_400000_NS6detail17trampoline_kernelINS0_14default_configENS1_22reduce_config_selectorIbEEZNS1_11reduce_implILb1ES3_N6hipcub16HIPCUB_304000_NS22TransformInputIteratorIb7NonZeroIiEPilEEPllNS8_6detail34convert_binary_result_type_wrapperINS8_3SumESD_lEEEE10hipError_tPvRmT1_T2_T3_mT4_P12ihipStream_tbEUlT_E1_NS1_11comp_targetILNS1_3genE2ELNS1_11target_archE906ELNS1_3gpuE6ELNS1_3repE0EEENS1_30default_config_static_selectorELNS0_4arch9wavefront6targetE0EEEvSM_
	.globl	_ZN7rocprim17ROCPRIM_400000_NS6detail17trampoline_kernelINS0_14default_configENS1_22reduce_config_selectorIbEEZNS1_11reduce_implILb1ES3_N6hipcub16HIPCUB_304000_NS22TransformInputIteratorIb7NonZeroIiEPilEEPllNS8_6detail34convert_binary_result_type_wrapperINS8_3SumESD_lEEEE10hipError_tPvRmT1_T2_T3_mT4_P12ihipStream_tbEUlT_E1_NS1_11comp_targetILNS1_3genE2ELNS1_11target_archE906ELNS1_3gpuE6ELNS1_3repE0EEENS1_30default_config_static_selectorELNS0_4arch9wavefront6targetE0EEEvSM_
	.p2align	8
	.type	_ZN7rocprim17ROCPRIM_400000_NS6detail17trampoline_kernelINS0_14default_configENS1_22reduce_config_selectorIbEEZNS1_11reduce_implILb1ES3_N6hipcub16HIPCUB_304000_NS22TransformInputIteratorIb7NonZeroIiEPilEEPllNS8_6detail34convert_binary_result_type_wrapperINS8_3SumESD_lEEEE10hipError_tPvRmT1_T2_T3_mT4_P12ihipStream_tbEUlT_E1_NS1_11comp_targetILNS1_3genE2ELNS1_11target_archE906ELNS1_3gpuE6ELNS1_3repE0EEENS1_30default_config_static_selectorELNS0_4arch9wavefront6targetE0EEEvSM_,@function
_ZN7rocprim17ROCPRIM_400000_NS6detail17trampoline_kernelINS0_14default_configENS1_22reduce_config_selectorIbEEZNS1_11reduce_implILb1ES3_N6hipcub16HIPCUB_304000_NS22TransformInputIteratorIb7NonZeroIiEPilEEPllNS8_6detail34convert_binary_result_type_wrapperINS8_3SumESD_lEEEE10hipError_tPvRmT1_T2_T3_mT4_P12ihipStream_tbEUlT_E1_NS1_11comp_targetILNS1_3genE2ELNS1_11target_archE906ELNS1_3gpuE6ELNS1_3repE0EEENS1_30default_config_static_selectorELNS0_4arch9wavefront6targetE0EEEvSM_: ; @_ZN7rocprim17ROCPRIM_400000_NS6detail17trampoline_kernelINS0_14default_configENS1_22reduce_config_selectorIbEEZNS1_11reduce_implILb1ES3_N6hipcub16HIPCUB_304000_NS22TransformInputIteratorIb7NonZeroIiEPilEEPllNS8_6detail34convert_binary_result_type_wrapperINS8_3SumESD_lEEEE10hipError_tPvRmT1_T2_T3_mT4_P12ihipStream_tbEUlT_E1_NS1_11comp_targetILNS1_3genE2ELNS1_11target_archE906ELNS1_3gpuE6ELNS1_3repE0EEENS1_30default_config_static_selectorELNS0_4arch9wavefront6targetE0EEEvSM_
; %bb.0:
	.section	.rodata,"a",@progbits
	.p2align	6, 0x0
	.amdhsa_kernel _ZN7rocprim17ROCPRIM_400000_NS6detail17trampoline_kernelINS0_14default_configENS1_22reduce_config_selectorIbEEZNS1_11reduce_implILb1ES3_N6hipcub16HIPCUB_304000_NS22TransformInputIteratorIb7NonZeroIiEPilEEPllNS8_6detail34convert_binary_result_type_wrapperINS8_3SumESD_lEEEE10hipError_tPvRmT1_T2_T3_mT4_P12ihipStream_tbEUlT_E1_NS1_11comp_targetILNS1_3genE2ELNS1_11target_archE906ELNS1_3gpuE6ELNS1_3repE0EEENS1_30default_config_static_selectorELNS0_4arch9wavefront6targetE0EEEvSM_
		.amdhsa_group_segment_fixed_size 0
		.amdhsa_private_segment_fixed_size 0
		.amdhsa_kernarg_size 56
		.amdhsa_user_sgpr_count 15
		.amdhsa_user_sgpr_dispatch_ptr 0
		.amdhsa_user_sgpr_queue_ptr 0
		.amdhsa_user_sgpr_kernarg_segment_ptr 1
		.amdhsa_user_sgpr_dispatch_id 0
		.amdhsa_user_sgpr_private_segment_size 0
		.amdhsa_wavefront_size32 1
		.amdhsa_uses_dynamic_stack 0
		.amdhsa_enable_private_segment 0
		.amdhsa_system_sgpr_workgroup_id_x 1
		.amdhsa_system_sgpr_workgroup_id_y 0
		.amdhsa_system_sgpr_workgroup_id_z 0
		.amdhsa_system_sgpr_workgroup_info 0
		.amdhsa_system_vgpr_workitem_id 0
		.amdhsa_next_free_vgpr 1
		.amdhsa_next_free_sgpr 1
		.amdhsa_reserve_vcc 0
		.amdhsa_float_round_mode_32 0
		.amdhsa_float_round_mode_16_64 0
		.amdhsa_float_denorm_mode_32 3
		.amdhsa_float_denorm_mode_16_64 3
		.amdhsa_dx10_clamp 1
		.amdhsa_ieee_mode 1
		.amdhsa_fp16_overflow 0
		.amdhsa_workgroup_processor_mode 1
		.amdhsa_memory_ordered 1
		.amdhsa_forward_progress 0
		.amdhsa_shared_vgpr_count 0
		.amdhsa_exception_fp_ieee_invalid_op 0
		.amdhsa_exception_fp_denorm_src 0
		.amdhsa_exception_fp_ieee_div_zero 0
		.amdhsa_exception_fp_ieee_overflow 0
		.amdhsa_exception_fp_ieee_underflow 0
		.amdhsa_exception_fp_ieee_inexact 0
		.amdhsa_exception_int_div_zero 0
	.end_amdhsa_kernel
	.section	.text._ZN7rocprim17ROCPRIM_400000_NS6detail17trampoline_kernelINS0_14default_configENS1_22reduce_config_selectorIbEEZNS1_11reduce_implILb1ES3_N6hipcub16HIPCUB_304000_NS22TransformInputIteratorIb7NonZeroIiEPilEEPllNS8_6detail34convert_binary_result_type_wrapperINS8_3SumESD_lEEEE10hipError_tPvRmT1_T2_T3_mT4_P12ihipStream_tbEUlT_E1_NS1_11comp_targetILNS1_3genE2ELNS1_11target_archE906ELNS1_3gpuE6ELNS1_3repE0EEENS1_30default_config_static_selectorELNS0_4arch9wavefront6targetE0EEEvSM_,"axG",@progbits,_ZN7rocprim17ROCPRIM_400000_NS6detail17trampoline_kernelINS0_14default_configENS1_22reduce_config_selectorIbEEZNS1_11reduce_implILb1ES3_N6hipcub16HIPCUB_304000_NS22TransformInputIteratorIb7NonZeroIiEPilEEPllNS8_6detail34convert_binary_result_type_wrapperINS8_3SumESD_lEEEE10hipError_tPvRmT1_T2_T3_mT4_P12ihipStream_tbEUlT_E1_NS1_11comp_targetILNS1_3genE2ELNS1_11target_archE906ELNS1_3gpuE6ELNS1_3repE0EEENS1_30default_config_static_selectorELNS0_4arch9wavefront6targetE0EEEvSM_,comdat
.Lfunc_end180:
	.size	_ZN7rocprim17ROCPRIM_400000_NS6detail17trampoline_kernelINS0_14default_configENS1_22reduce_config_selectorIbEEZNS1_11reduce_implILb1ES3_N6hipcub16HIPCUB_304000_NS22TransformInputIteratorIb7NonZeroIiEPilEEPllNS8_6detail34convert_binary_result_type_wrapperINS8_3SumESD_lEEEE10hipError_tPvRmT1_T2_T3_mT4_P12ihipStream_tbEUlT_E1_NS1_11comp_targetILNS1_3genE2ELNS1_11target_archE906ELNS1_3gpuE6ELNS1_3repE0EEENS1_30default_config_static_selectorELNS0_4arch9wavefront6targetE0EEEvSM_, .Lfunc_end180-_ZN7rocprim17ROCPRIM_400000_NS6detail17trampoline_kernelINS0_14default_configENS1_22reduce_config_selectorIbEEZNS1_11reduce_implILb1ES3_N6hipcub16HIPCUB_304000_NS22TransformInputIteratorIb7NonZeroIiEPilEEPllNS8_6detail34convert_binary_result_type_wrapperINS8_3SumESD_lEEEE10hipError_tPvRmT1_T2_T3_mT4_P12ihipStream_tbEUlT_E1_NS1_11comp_targetILNS1_3genE2ELNS1_11target_archE906ELNS1_3gpuE6ELNS1_3repE0EEENS1_30default_config_static_selectorELNS0_4arch9wavefront6targetE0EEEvSM_
                                        ; -- End function
	.section	.AMDGPU.csdata,"",@progbits
; Kernel info:
; codeLenInByte = 0
; NumSgprs: 0
; NumVgprs: 0
; ScratchSize: 0
; MemoryBound: 0
; FloatMode: 240
; IeeeMode: 1
; LDSByteSize: 0 bytes/workgroup (compile time only)
; SGPRBlocks: 0
; VGPRBlocks: 0
; NumSGPRsForWavesPerEU: 1
; NumVGPRsForWavesPerEU: 1
; Occupancy: 16
; WaveLimiterHint : 0
; COMPUTE_PGM_RSRC2:SCRATCH_EN: 0
; COMPUTE_PGM_RSRC2:USER_SGPR: 15
; COMPUTE_PGM_RSRC2:TRAP_HANDLER: 0
; COMPUTE_PGM_RSRC2:TGID_X_EN: 1
; COMPUTE_PGM_RSRC2:TGID_Y_EN: 0
; COMPUTE_PGM_RSRC2:TGID_Z_EN: 0
; COMPUTE_PGM_RSRC2:TIDIG_COMP_CNT: 0
	.section	.text._ZN7rocprim17ROCPRIM_400000_NS6detail17trampoline_kernelINS0_14default_configENS1_22reduce_config_selectorIbEEZNS1_11reduce_implILb1ES3_N6hipcub16HIPCUB_304000_NS22TransformInputIteratorIb7NonZeroIiEPilEEPllNS8_6detail34convert_binary_result_type_wrapperINS8_3SumESD_lEEEE10hipError_tPvRmT1_T2_T3_mT4_P12ihipStream_tbEUlT_E1_NS1_11comp_targetILNS1_3genE10ELNS1_11target_archE1201ELNS1_3gpuE5ELNS1_3repE0EEENS1_30default_config_static_selectorELNS0_4arch9wavefront6targetE0EEEvSM_,"axG",@progbits,_ZN7rocprim17ROCPRIM_400000_NS6detail17trampoline_kernelINS0_14default_configENS1_22reduce_config_selectorIbEEZNS1_11reduce_implILb1ES3_N6hipcub16HIPCUB_304000_NS22TransformInputIteratorIb7NonZeroIiEPilEEPllNS8_6detail34convert_binary_result_type_wrapperINS8_3SumESD_lEEEE10hipError_tPvRmT1_T2_T3_mT4_P12ihipStream_tbEUlT_E1_NS1_11comp_targetILNS1_3genE10ELNS1_11target_archE1201ELNS1_3gpuE5ELNS1_3repE0EEENS1_30default_config_static_selectorELNS0_4arch9wavefront6targetE0EEEvSM_,comdat
	.protected	_ZN7rocprim17ROCPRIM_400000_NS6detail17trampoline_kernelINS0_14default_configENS1_22reduce_config_selectorIbEEZNS1_11reduce_implILb1ES3_N6hipcub16HIPCUB_304000_NS22TransformInputIteratorIb7NonZeroIiEPilEEPllNS8_6detail34convert_binary_result_type_wrapperINS8_3SumESD_lEEEE10hipError_tPvRmT1_T2_T3_mT4_P12ihipStream_tbEUlT_E1_NS1_11comp_targetILNS1_3genE10ELNS1_11target_archE1201ELNS1_3gpuE5ELNS1_3repE0EEENS1_30default_config_static_selectorELNS0_4arch9wavefront6targetE0EEEvSM_ ; -- Begin function _ZN7rocprim17ROCPRIM_400000_NS6detail17trampoline_kernelINS0_14default_configENS1_22reduce_config_selectorIbEEZNS1_11reduce_implILb1ES3_N6hipcub16HIPCUB_304000_NS22TransformInputIteratorIb7NonZeroIiEPilEEPllNS8_6detail34convert_binary_result_type_wrapperINS8_3SumESD_lEEEE10hipError_tPvRmT1_T2_T3_mT4_P12ihipStream_tbEUlT_E1_NS1_11comp_targetILNS1_3genE10ELNS1_11target_archE1201ELNS1_3gpuE5ELNS1_3repE0EEENS1_30default_config_static_selectorELNS0_4arch9wavefront6targetE0EEEvSM_
	.globl	_ZN7rocprim17ROCPRIM_400000_NS6detail17trampoline_kernelINS0_14default_configENS1_22reduce_config_selectorIbEEZNS1_11reduce_implILb1ES3_N6hipcub16HIPCUB_304000_NS22TransformInputIteratorIb7NonZeroIiEPilEEPllNS8_6detail34convert_binary_result_type_wrapperINS8_3SumESD_lEEEE10hipError_tPvRmT1_T2_T3_mT4_P12ihipStream_tbEUlT_E1_NS1_11comp_targetILNS1_3genE10ELNS1_11target_archE1201ELNS1_3gpuE5ELNS1_3repE0EEENS1_30default_config_static_selectorELNS0_4arch9wavefront6targetE0EEEvSM_
	.p2align	8
	.type	_ZN7rocprim17ROCPRIM_400000_NS6detail17trampoline_kernelINS0_14default_configENS1_22reduce_config_selectorIbEEZNS1_11reduce_implILb1ES3_N6hipcub16HIPCUB_304000_NS22TransformInputIteratorIb7NonZeroIiEPilEEPllNS8_6detail34convert_binary_result_type_wrapperINS8_3SumESD_lEEEE10hipError_tPvRmT1_T2_T3_mT4_P12ihipStream_tbEUlT_E1_NS1_11comp_targetILNS1_3genE10ELNS1_11target_archE1201ELNS1_3gpuE5ELNS1_3repE0EEENS1_30default_config_static_selectorELNS0_4arch9wavefront6targetE0EEEvSM_,@function
_ZN7rocprim17ROCPRIM_400000_NS6detail17trampoline_kernelINS0_14default_configENS1_22reduce_config_selectorIbEEZNS1_11reduce_implILb1ES3_N6hipcub16HIPCUB_304000_NS22TransformInputIteratorIb7NonZeroIiEPilEEPllNS8_6detail34convert_binary_result_type_wrapperINS8_3SumESD_lEEEE10hipError_tPvRmT1_T2_T3_mT4_P12ihipStream_tbEUlT_E1_NS1_11comp_targetILNS1_3genE10ELNS1_11target_archE1201ELNS1_3gpuE5ELNS1_3repE0EEENS1_30default_config_static_selectorELNS0_4arch9wavefront6targetE0EEEvSM_: ; @_ZN7rocprim17ROCPRIM_400000_NS6detail17trampoline_kernelINS0_14default_configENS1_22reduce_config_selectorIbEEZNS1_11reduce_implILb1ES3_N6hipcub16HIPCUB_304000_NS22TransformInputIteratorIb7NonZeroIiEPilEEPllNS8_6detail34convert_binary_result_type_wrapperINS8_3SumESD_lEEEE10hipError_tPvRmT1_T2_T3_mT4_P12ihipStream_tbEUlT_E1_NS1_11comp_targetILNS1_3genE10ELNS1_11target_archE1201ELNS1_3gpuE5ELNS1_3repE0EEENS1_30default_config_static_selectorELNS0_4arch9wavefront6targetE0EEEvSM_
; %bb.0:
	.section	.rodata,"a",@progbits
	.p2align	6, 0x0
	.amdhsa_kernel _ZN7rocprim17ROCPRIM_400000_NS6detail17trampoline_kernelINS0_14default_configENS1_22reduce_config_selectorIbEEZNS1_11reduce_implILb1ES3_N6hipcub16HIPCUB_304000_NS22TransformInputIteratorIb7NonZeroIiEPilEEPllNS8_6detail34convert_binary_result_type_wrapperINS8_3SumESD_lEEEE10hipError_tPvRmT1_T2_T3_mT4_P12ihipStream_tbEUlT_E1_NS1_11comp_targetILNS1_3genE10ELNS1_11target_archE1201ELNS1_3gpuE5ELNS1_3repE0EEENS1_30default_config_static_selectorELNS0_4arch9wavefront6targetE0EEEvSM_
		.amdhsa_group_segment_fixed_size 0
		.amdhsa_private_segment_fixed_size 0
		.amdhsa_kernarg_size 56
		.amdhsa_user_sgpr_count 15
		.amdhsa_user_sgpr_dispatch_ptr 0
		.amdhsa_user_sgpr_queue_ptr 0
		.amdhsa_user_sgpr_kernarg_segment_ptr 1
		.amdhsa_user_sgpr_dispatch_id 0
		.amdhsa_user_sgpr_private_segment_size 0
		.amdhsa_wavefront_size32 1
		.amdhsa_uses_dynamic_stack 0
		.amdhsa_enable_private_segment 0
		.amdhsa_system_sgpr_workgroup_id_x 1
		.amdhsa_system_sgpr_workgroup_id_y 0
		.amdhsa_system_sgpr_workgroup_id_z 0
		.amdhsa_system_sgpr_workgroup_info 0
		.amdhsa_system_vgpr_workitem_id 0
		.amdhsa_next_free_vgpr 1
		.amdhsa_next_free_sgpr 1
		.amdhsa_reserve_vcc 0
		.amdhsa_float_round_mode_32 0
		.amdhsa_float_round_mode_16_64 0
		.amdhsa_float_denorm_mode_32 3
		.amdhsa_float_denorm_mode_16_64 3
		.amdhsa_dx10_clamp 1
		.amdhsa_ieee_mode 1
		.amdhsa_fp16_overflow 0
		.amdhsa_workgroup_processor_mode 1
		.amdhsa_memory_ordered 1
		.amdhsa_forward_progress 0
		.amdhsa_shared_vgpr_count 0
		.amdhsa_exception_fp_ieee_invalid_op 0
		.amdhsa_exception_fp_denorm_src 0
		.amdhsa_exception_fp_ieee_div_zero 0
		.amdhsa_exception_fp_ieee_overflow 0
		.amdhsa_exception_fp_ieee_underflow 0
		.amdhsa_exception_fp_ieee_inexact 0
		.amdhsa_exception_int_div_zero 0
	.end_amdhsa_kernel
	.section	.text._ZN7rocprim17ROCPRIM_400000_NS6detail17trampoline_kernelINS0_14default_configENS1_22reduce_config_selectorIbEEZNS1_11reduce_implILb1ES3_N6hipcub16HIPCUB_304000_NS22TransformInputIteratorIb7NonZeroIiEPilEEPllNS8_6detail34convert_binary_result_type_wrapperINS8_3SumESD_lEEEE10hipError_tPvRmT1_T2_T3_mT4_P12ihipStream_tbEUlT_E1_NS1_11comp_targetILNS1_3genE10ELNS1_11target_archE1201ELNS1_3gpuE5ELNS1_3repE0EEENS1_30default_config_static_selectorELNS0_4arch9wavefront6targetE0EEEvSM_,"axG",@progbits,_ZN7rocprim17ROCPRIM_400000_NS6detail17trampoline_kernelINS0_14default_configENS1_22reduce_config_selectorIbEEZNS1_11reduce_implILb1ES3_N6hipcub16HIPCUB_304000_NS22TransformInputIteratorIb7NonZeroIiEPilEEPllNS8_6detail34convert_binary_result_type_wrapperINS8_3SumESD_lEEEE10hipError_tPvRmT1_T2_T3_mT4_P12ihipStream_tbEUlT_E1_NS1_11comp_targetILNS1_3genE10ELNS1_11target_archE1201ELNS1_3gpuE5ELNS1_3repE0EEENS1_30default_config_static_selectorELNS0_4arch9wavefront6targetE0EEEvSM_,comdat
.Lfunc_end181:
	.size	_ZN7rocprim17ROCPRIM_400000_NS6detail17trampoline_kernelINS0_14default_configENS1_22reduce_config_selectorIbEEZNS1_11reduce_implILb1ES3_N6hipcub16HIPCUB_304000_NS22TransformInputIteratorIb7NonZeroIiEPilEEPllNS8_6detail34convert_binary_result_type_wrapperINS8_3SumESD_lEEEE10hipError_tPvRmT1_T2_T3_mT4_P12ihipStream_tbEUlT_E1_NS1_11comp_targetILNS1_3genE10ELNS1_11target_archE1201ELNS1_3gpuE5ELNS1_3repE0EEENS1_30default_config_static_selectorELNS0_4arch9wavefront6targetE0EEEvSM_, .Lfunc_end181-_ZN7rocprim17ROCPRIM_400000_NS6detail17trampoline_kernelINS0_14default_configENS1_22reduce_config_selectorIbEEZNS1_11reduce_implILb1ES3_N6hipcub16HIPCUB_304000_NS22TransformInputIteratorIb7NonZeroIiEPilEEPllNS8_6detail34convert_binary_result_type_wrapperINS8_3SumESD_lEEEE10hipError_tPvRmT1_T2_T3_mT4_P12ihipStream_tbEUlT_E1_NS1_11comp_targetILNS1_3genE10ELNS1_11target_archE1201ELNS1_3gpuE5ELNS1_3repE0EEENS1_30default_config_static_selectorELNS0_4arch9wavefront6targetE0EEEvSM_
                                        ; -- End function
	.section	.AMDGPU.csdata,"",@progbits
; Kernel info:
; codeLenInByte = 0
; NumSgprs: 0
; NumVgprs: 0
; ScratchSize: 0
; MemoryBound: 0
; FloatMode: 240
; IeeeMode: 1
; LDSByteSize: 0 bytes/workgroup (compile time only)
; SGPRBlocks: 0
; VGPRBlocks: 0
; NumSGPRsForWavesPerEU: 1
; NumVGPRsForWavesPerEU: 1
; Occupancy: 16
; WaveLimiterHint : 0
; COMPUTE_PGM_RSRC2:SCRATCH_EN: 0
; COMPUTE_PGM_RSRC2:USER_SGPR: 15
; COMPUTE_PGM_RSRC2:TRAP_HANDLER: 0
; COMPUTE_PGM_RSRC2:TGID_X_EN: 1
; COMPUTE_PGM_RSRC2:TGID_Y_EN: 0
; COMPUTE_PGM_RSRC2:TGID_Z_EN: 0
; COMPUTE_PGM_RSRC2:TIDIG_COMP_CNT: 0
	.section	.text._ZN7rocprim17ROCPRIM_400000_NS6detail17trampoline_kernelINS0_14default_configENS1_22reduce_config_selectorIbEEZNS1_11reduce_implILb1ES3_N6hipcub16HIPCUB_304000_NS22TransformInputIteratorIb7NonZeroIiEPilEEPllNS8_6detail34convert_binary_result_type_wrapperINS8_3SumESD_lEEEE10hipError_tPvRmT1_T2_T3_mT4_P12ihipStream_tbEUlT_E1_NS1_11comp_targetILNS1_3genE10ELNS1_11target_archE1200ELNS1_3gpuE4ELNS1_3repE0EEENS1_30default_config_static_selectorELNS0_4arch9wavefront6targetE0EEEvSM_,"axG",@progbits,_ZN7rocprim17ROCPRIM_400000_NS6detail17trampoline_kernelINS0_14default_configENS1_22reduce_config_selectorIbEEZNS1_11reduce_implILb1ES3_N6hipcub16HIPCUB_304000_NS22TransformInputIteratorIb7NonZeroIiEPilEEPllNS8_6detail34convert_binary_result_type_wrapperINS8_3SumESD_lEEEE10hipError_tPvRmT1_T2_T3_mT4_P12ihipStream_tbEUlT_E1_NS1_11comp_targetILNS1_3genE10ELNS1_11target_archE1200ELNS1_3gpuE4ELNS1_3repE0EEENS1_30default_config_static_selectorELNS0_4arch9wavefront6targetE0EEEvSM_,comdat
	.protected	_ZN7rocprim17ROCPRIM_400000_NS6detail17trampoline_kernelINS0_14default_configENS1_22reduce_config_selectorIbEEZNS1_11reduce_implILb1ES3_N6hipcub16HIPCUB_304000_NS22TransformInputIteratorIb7NonZeroIiEPilEEPllNS8_6detail34convert_binary_result_type_wrapperINS8_3SumESD_lEEEE10hipError_tPvRmT1_T2_T3_mT4_P12ihipStream_tbEUlT_E1_NS1_11comp_targetILNS1_3genE10ELNS1_11target_archE1200ELNS1_3gpuE4ELNS1_3repE0EEENS1_30default_config_static_selectorELNS0_4arch9wavefront6targetE0EEEvSM_ ; -- Begin function _ZN7rocprim17ROCPRIM_400000_NS6detail17trampoline_kernelINS0_14default_configENS1_22reduce_config_selectorIbEEZNS1_11reduce_implILb1ES3_N6hipcub16HIPCUB_304000_NS22TransformInputIteratorIb7NonZeroIiEPilEEPllNS8_6detail34convert_binary_result_type_wrapperINS8_3SumESD_lEEEE10hipError_tPvRmT1_T2_T3_mT4_P12ihipStream_tbEUlT_E1_NS1_11comp_targetILNS1_3genE10ELNS1_11target_archE1200ELNS1_3gpuE4ELNS1_3repE0EEENS1_30default_config_static_selectorELNS0_4arch9wavefront6targetE0EEEvSM_
	.globl	_ZN7rocprim17ROCPRIM_400000_NS6detail17trampoline_kernelINS0_14default_configENS1_22reduce_config_selectorIbEEZNS1_11reduce_implILb1ES3_N6hipcub16HIPCUB_304000_NS22TransformInputIteratorIb7NonZeroIiEPilEEPllNS8_6detail34convert_binary_result_type_wrapperINS8_3SumESD_lEEEE10hipError_tPvRmT1_T2_T3_mT4_P12ihipStream_tbEUlT_E1_NS1_11comp_targetILNS1_3genE10ELNS1_11target_archE1200ELNS1_3gpuE4ELNS1_3repE0EEENS1_30default_config_static_selectorELNS0_4arch9wavefront6targetE0EEEvSM_
	.p2align	8
	.type	_ZN7rocprim17ROCPRIM_400000_NS6detail17trampoline_kernelINS0_14default_configENS1_22reduce_config_selectorIbEEZNS1_11reduce_implILb1ES3_N6hipcub16HIPCUB_304000_NS22TransformInputIteratorIb7NonZeroIiEPilEEPllNS8_6detail34convert_binary_result_type_wrapperINS8_3SumESD_lEEEE10hipError_tPvRmT1_T2_T3_mT4_P12ihipStream_tbEUlT_E1_NS1_11comp_targetILNS1_3genE10ELNS1_11target_archE1200ELNS1_3gpuE4ELNS1_3repE0EEENS1_30default_config_static_selectorELNS0_4arch9wavefront6targetE0EEEvSM_,@function
_ZN7rocprim17ROCPRIM_400000_NS6detail17trampoline_kernelINS0_14default_configENS1_22reduce_config_selectorIbEEZNS1_11reduce_implILb1ES3_N6hipcub16HIPCUB_304000_NS22TransformInputIteratorIb7NonZeroIiEPilEEPllNS8_6detail34convert_binary_result_type_wrapperINS8_3SumESD_lEEEE10hipError_tPvRmT1_T2_T3_mT4_P12ihipStream_tbEUlT_E1_NS1_11comp_targetILNS1_3genE10ELNS1_11target_archE1200ELNS1_3gpuE4ELNS1_3repE0EEENS1_30default_config_static_selectorELNS0_4arch9wavefront6targetE0EEEvSM_: ; @_ZN7rocprim17ROCPRIM_400000_NS6detail17trampoline_kernelINS0_14default_configENS1_22reduce_config_selectorIbEEZNS1_11reduce_implILb1ES3_N6hipcub16HIPCUB_304000_NS22TransformInputIteratorIb7NonZeroIiEPilEEPllNS8_6detail34convert_binary_result_type_wrapperINS8_3SumESD_lEEEE10hipError_tPvRmT1_T2_T3_mT4_P12ihipStream_tbEUlT_E1_NS1_11comp_targetILNS1_3genE10ELNS1_11target_archE1200ELNS1_3gpuE4ELNS1_3repE0EEENS1_30default_config_static_selectorELNS0_4arch9wavefront6targetE0EEEvSM_
; %bb.0:
	.section	.rodata,"a",@progbits
	.p2align	6, 0x0
	.amdhsa_kernel _ZN7rocprim17ROCPRIM_400000_NS6detail17trampoline_kernelINS0_14default_configENS1_22reduce_config_selectorIbEEZNS1_11reduce_implILb1ES3_N6hipcub16HIPCUB_304000_NS22TransformInputIteratorIb7NonZeroIiEPilEEPllNS8_6detail34convert_binary_result_type_wrapperINS8_3SumESD_lEEEE10hipError_tPvRmT1_T2_T3_mT4_P12ihipStream_tbEUlT_E1_NS1_11comp_targetILNS1_3genE10ELNS1_11target_archE1200ELNS1_3gpuE4ELNS1_3repE0EEENS1_30default_config_static_selectorELNS0_4arch9wavefront6targetE0EEEvSM_
		.amdhsa_group_segment_fixed_size 0
		.amdhsa_private_segment_fixed_size 0
		.amdhsa_kernarg_size 56
		.amdhsa_user_sgpr_count 15
		.amdhsa_user_sgpr_dispatch_ptr 0
		.amdhsa_user_sgpr_queue_ptr 0
		.amdhsa_user_sgpr_kernarg_segment_ptr 1
		.amdhsa_user_sgpr_dispatch_id 0
		.amdhsa_user_sgpr_private_segment_size 0
		.amdhsa_wavefront_size32 1
		.amdhsa_uses_dynamic_stack 0
		.amdhsa_enable_private_segment 0
		.amdhsa_system_sgpr_workgroup_id_x 1
		.amdhsa_system_sgpr_workgroup_id_y 0
		.amdhsa_system_sgpr_workgroup_id_z 0
		.amdhsa_system_sgpr_workgroup_info 0
		.amdhsa_system_vgpr_workitem_id 0
		.amdhsa_next_free_vgpr 1
		.amdhsa_next_free_sgpr 1
		.amdhsa_reserve_vcc 0
		.amdhsa_float_round_mode_32 0
		.amdhsa_float_round_mode_16_64 0
		.amdhsa_float_denorm_mode_32 3
		.amdhsa_float_denorm_mode_16_64 3
		.amdhsa_dx10_clamp 1
		.amdhsa_ieee_mode 1
		.amdhsa_fp16_overflow 0
		.amdhsa_workgroup_processor_mode 1
		.amdhsa_memory_ordered 1
		.amdhsa_forward_progress 0
		.amdhsa_shared_vgpr_count 0
		.amdhsa_exception_fp_ieee_invalid_op 0
		.amdhsa_exception_fp_denorm_src 0
		.amdhsa_exception_fp_ieee_div_zero 0
		.amdhsa_exception_fp_ieee_overflow 0
		.amdhsa_exception_fp_ieee_underflow 0
		.amdhsa_exception_fp_ieee_inexact 0
		.amdhsa_exception_int_div_zero 0
	.end_amdhsa_kernel
	.section	.text._ZN7rocprim17ROCPRIM_400000_NS6detail17trampoline_kernelINS0_14default_configENS1_22reduce_config_selectorIbEEZNS1_11reduce_implILb1ES3_N6hipcub16HIPCUB_304000_NS22TransformInputIteratorIb7NonZeroIiEPilEEPllNS8_6detail34convert_binary_result_type_wrapperINS8_3SumESD_lEEEE10hipError_tPvRmT1_T2_T3_mT4_P12ihipStream_tbEUlT_E1_NS1_11comp_targetILNS1_3genE10ELNS1_11target_archE1200ELNS1_3gpuE4ELNS1_3repE0EEENS1_30default_config_static_selectorELNS0_4arch9wavefront6targetE0EEEvSM_,"axG",@progbits,_ZN7rocprim17ROCPRIM_400000_NS6detail17trampoline_kernelINS0_14default_configENS1_22reduce_config_selectorIbEEZNS1_11reduce_implILb1ES3_N6hipcub16HIPCUB_304000_NS22TransformInputIteratorIb7NonZeroIiEPilEEPllNS8_6detail34convert_binary_result_type_wrapperINS8_3SumESD_lEEEE10hipError_tPvRmT1_T2_T3_mT4_P12ihipStream_tbEUlT_E1_NS1_11comp_targetILNS1_3genE10ELNS1_11target_archE1200ELNS1_3gpuE4ELNS1_3repE0EEENS1_30default_config_static_selectorELNS0_4arch9wavefront6targetE0EEEvSM_,comdat
.Lfunc_end182:
	.size	_ZN7rocprim17ROCPRIM_400000_NS6detail17trampoline_kernelINS0_14default_configENS1_22reduce_config_selectorIbEEZNS1_11reduce_implILb1ES3_N6hipcub16HIPCUB_304000_NS22TransformInputIteratorIb7NonZeroIiEPilEEPllNS8_6detail34convert_binary_result_type_wrapperINS8_3SumESD_lEEEE10hipError_tPvRmT1_T2_T3_mT4_P12ihipStream_tbEUlT_E1_NS1_11comp_targetILNS1_3genE10ELNS1_11target_archE1200ELNS1_3gpuE4ELNS1_3repE0EEENS1_30default_config_static_selectorELNS0_4arch9wavefront6targetE0EEEvSM_, .Lfunc_end182-_ZN7rocprim17ROCPRIM_400000_NS6detail17trampoline_kernelINS0_14default_configENS1_22reduce_config_selectorIbEEZNS1_11reduce_implILb1ES3_N6hipcub16HIPCUB_304000_NS22TransformInputIteratorIb7NonZeroIiEPilEEPllNS8_6detail34convert_binary_result_type_wrapperINS8_3SumESD_lEEEE10hipError_tPvRmT1_T2_T3_mT4_P12ihipStream_tbEUlT_E1_NS1_11comp_targetILNS1_3genE10ELNS1_11target_archE1200ELNS1_3gpuE4ELNS1_3repE0EEENS1_30default_config_static_selectorELNS0_4arch9wavefront6targetE0EEEvSM_
                                        ; -- End function
	.section	.AMDGPU.csdata,"",@progbits
; Kernel info:
; codeLenInByte = 0
; NumSgprs: 0
; NumVgprs: 0
; ScratchSize: 0
; MemoryBound: 0
; FloatMode: 240
; IeeeMode: 1
; LDSByteSize: 0 bytes/workgroup (compile time only)
; SGPRBlocks: 0
; VGPRBlocks: 0
; NumSGPRsForWavesPerEU: 1
; NumVGPRsForWavesPerEU: 1
; Occupancy: 16
; WaveLimiterHint : 0
; COMPUTE_PGM_RSRC2:SCRATCH_EN: 0
; COMPUTE_PGM_RSRC2:USER_SGPR: 15
; COMPUTE_PGM_RSRC2:TRAP_HANDLER: 0
; COMPUTE_PGM_RSRC2:TGID_X_EN: 1
; COMPUTE_PGM_RSRC2:TGID_Y_EN: 0
; COMPUTE_PGM_RSRC2:TGID_Z_EN: 0
; COMPUTE_PGM_RSRC2:TIDIG_COMP_CNT: 0
	.section	.text._ZN7rocprim17ROCPRIM_400000_NS6detail17trampoline_kernelINS0_14default_configENS1_22reduce_config_selectorIbEEZNS1_11reduce_implILb1ES3_N6hipcub16HIPCUB_304000_NS22TransformInputIteratorIb7NonZeroIiEPilEEPllNS8_6detail34convert_binary_result_type_wrapperINS8_3SumESD_lEEEE10hipError_tPvRmT1_T2_T3_mT4_P12ihipStream_tbEUlT_E1_NS1_11comp_targetILNS1_3genE9ELNS1_11target_archE1100ELNS1_3gpuE3ELNS1_3repE0EEENS1_30default_config_static_selectorELNS0_4arch9wavefront6targetE0EEEvSM_,"axG",@progbits,_ZN7rocprim17ROCPRIM_400000_NS6detail17trampoline_kernelINS0_14default_configENS1_22reduce_config_selectorIbEEZNS1_11reduce_implILb1ES3_N6hipcub16HIPCUB_304000_NS22TransformInputIteratorIb7NonZeroIiEPilEEPllNS8_6detail34convert_binary_result_type_wrapperINS8_3SumESD_lEEEE10hipError_tPvRmT1_T2_T3_mT4_P12ihipStream_tbEUlT_E1_NS1_11comp_targetILNS1_3genE9ELNS1_11target_archE1100ELNS1_3gpuE3ELNS1_3repE0EEENS1_30default_config_static_selectorELNS0_4arch9wavefront6targetE0EEEvSM_,comdat
	.protected	_ZN7rocprim17ROCPRIM_400000_NS6detail17trampoline_kernelINS0_14default_configENS1_22reduce_config_selectorIbEEZNS1_11reduce_implILb1ES3_N6hipcub16HIPCUB_304000_NS22TransformInputIteratorIb7NonZeroIiEPilEEPllNS8_6detail34convert_binary_result_type_wrapperINS8_3SumESD_lEEEE10hipError_tPvRmT1_T2_T3_mT4_P12ihipStream_tbEUlT_E1_NS1_11comp_targetILNS1_3genE9ELNS1_11target_archE1100ELNS1_3gpuE3ELNS1_3repE0EEENS1_30default_config_static_selectorELNS0_4arch9wavefront6targetE0EEEvSM_ ; -- Begin function _ZN7rocprim17ROCPRIM_400000_NS6detail17trampoline_kernelINS0_14default_configENS1_22reduce_config_selectorIbEEZNS1_11reduce_implILb1ES3_N6hipcub16HIPCUB_304000_NS22TransformInputIteratorIb7NonZeroIiEPilEEPllNS8_6detail34convert_binary_result_type_wrapperINS8_3SumESD_lEEEE10hipError_tPvRmT1_T2_T3_mT4_P12ihipStream_tbEUlT_E1_NS1_11comp_targetILNS1_3genE9ELNS1_11target_archE1100ELNS1_3gpuE3ELNS1_3repE0EEENS1_30default_config_static_selectorELNS0_4arch9wavefront6targetE0EEEvSM_
	.globl	_ZN7rocprim17ROCPRIM_400000_NS6detail17trampoline_kernelINS0_14default_configENS1_22reduce_config_selectorIbEEZNS1_11reduce_implILb1ES3_N6hipcub16HIPCUB_304000_NS22TransformInputIteratorIb7NonZeroIiEPilEEPllNS8_6detail34convert_binary_result_type_wrapperINS8_3SumESD_lEEEE10hipError_tPvRmT1_T2_T3_mT4_P12ihipStream_tbEUlT_E1_NS1_11comp_targetILNS1_3genE9ELNS1_11target_archE1100ELNS1_3gpuE3ELNS1_3repE0EEENS1_30default_config_static_selectorELNS0_4arch9wavefront6targetE0EEEvSM_
	.p2align	8
	.type	_ZN7rocprim17ROCPRIM_400000_NS6detail17trampoline_kernelINS0_14default_configENS1_22reduce_config_selectorIbEEZNS1_11reduce_implILb1ES3_N6hipcub16HIPCUB_304000_NS22TransformInputIteratorIb7NonZeroIiEPilEEPllNS8_6detail34convert_binary_result_type_wrapperINS8_3SumESD_lEEEE10hipError_tPvRmT1_T2_T3_mT4_P12ihipStream_tbEUlT_E1_NS1_11comp_targetILNS1_3genE9ELNS1_11target_archE1100ELNS1_3gpuE3ELNS1_3repE0EEENS1_30default_config_static_selectorELNS0_4arch9wavefront6targetE0EEEvSM_,@function
_ZN7rocprim17ROCPRIM_400000_NS6detail17trampoline_kernelINS0_14default_configENS1_22reduce_config_selectorIbEEZNS1_11reduce_implILb1ES3_N6hipcub16HIPCUB_304000_NS22TransformInputIteratorIb7NonZeroIiEPilEEPllNS8_6detail34convert_binary_result_type_wrapperINS8_3SumESD_lEEEE10hipError_tPvRmT1_T2_T3_mT4_P12ihipStream_tbEUlT_E1_NS1_11comp_targetILNS1_3genE9ELNS1_11target_archE1100ELNS1_3gpuE3ELNS1_3repE0EEENS1_30default_config_static_selectorELNS0_4arch9wavefront6targetE0EEEvSM_: ; @_ZN7rocprim17ROCPRIM_400000_NS6detail17trampoline_kernelINS0_14default_configENS1_22reduce_config_selectorIbEEZNS1_11reduce_implILb1ES3_N6hipcub16HIPCUB_304000_NS22TransformInputIteratorIb7NonZeroIiEPilEEPllNS8_6detail34convert_binary_result_type_wrapperINS8_3SumESD_lEEEE10hipError_tPvRmT1_T2_T3_mT4_P12ihipStream_tbEUlT_E1_NS1_11comp_targetILNS1_3genE9ELNS1_11target_archE1100ELNS1_3gpuE3ELNS1_3repE0EEENS1_30default_config_static_selectorELNS0_4arch9wavefront6targetE0EEEvSM_
; %bb.0:
	s_clause 0x2
	s_load_b32 s26, s[0:1], 0x4
	s_load_b64 s[24:25], s[0:1], 0x8
	s_load_b128 s[20:23], s[0:1], 0x18
	s_mov_b32 s18, s15
	s_waitcnt lgkmcnt(0)
	s_cmp_lt_i32 s26, 16
	s_cbranch_scc1 .LBB183_11
; %bb.1:
	s_cmp_gt_i32 s26, 63
	s_cbranch_scc0 .LBB183_12
; %bb.2:
	s_cmpk_gt_i32 s26, 0x7f
	s_cbranch_scc0 .LBB183_13
; %bb.3:
	s_mov_b32 s3, 0
	s_cmpk_eq_i32 s26, 0x80
	s_mov_b32 s2, 0
                                        ; implicit-def: $vgpr1_vgpr2
	s_cbranch_scc0 .LBB183_14
; %bb.4:
	s_mov_b32 s19, 0
	s_lshl_b32 s6, s18, 14
	s_mov_b32 s7, s19
	s_lshr_b64 s[8:9], s[20:21], 14
	s_lshl_b64 s[4:5], s[6:7], 2
	s_delay_alu instid0(SALU_CYCLE_1)
	s_add_u32 s4, s24, s4
	s_addc_u32 s5, s25, s5
	s_cmp_lg_u64 s[8:9], s[18:19]
	s_cbranch_scc0 .LBB183_22
; %bb.5:
	v_lshlrev_b32_e32 v5, 2, v0
	s_clause 0x5
	global_load_b32 v8, v5, s[4:5]
	global_load_b32 v14, v5, s[4:5] offset:512
	global_load_b32 v9, v5, s[4:5] offset:1024
	;; [unrolled: 1-line block ×5, first 2 shown]
	v_add_co_u32 v61, s2, s4, v5
	s_delay_alu instid0(VALU_DEP_1)
	v_add_co_ci_u32_e64 v62, null, s5, 0, s2
	global_load_b32 v3, v5, s[4:5] offset:3072
	v_add_co_u32 v16, vcc_lo, v61, 0x2000
	v_add_co_ci_u32_e32 v17, vcc_lo, 0, v62, vcc_lo
	s_clause 0x1
	global_load_b32 v23, v5, s[4:5] offset:3584
	global_load_b32 v20, v[16:17], off offset:-4096
	v_add_co_u32 v5, vcc_lo, 0x1000, v61
	v_add_co_ci_u32_e32 v6, vcc_lo, 0, v62, vcc_lo
	v_add_co_u32 v25, vcc_lo, 0x2000, v61
	s_clause 0x7
	global_load_b32 v24, v[5:6], off offset:512
	global_load_b32 v21, v[5:6], off offset:1024
	;; [unrolled: 1-line block ×7, first 2 shown]
	global_load_b32 v16, v[16:17], off
	v_add_co_ci_u32_e32 v26, vcc_lo, 0, v62, vcc_lo
	s_clause 0x5
	global_load_b32 v19, v[25:26], off offset:512
	global_load_b32 v17, v[25:26], off offset:1024
	;; [unrolled: 1-line block ×6, first 2 shown]
	v_add_co_u32 v31, vcc_lo, v61, 0x4000
	v_add_co_ci_u32_e32 v32, vcc_lo, 0, v62, vcc_lo
	s_clause 0x1
	global_load_b32 v27, v[25:26], off offset:3584
	global_load_b32 v25, v[31:32], off offset:-4096
	v_add_co_u32 v33, vcc_lo, 0x3000, v61
	v_add_co_ci_u32_e32 v34, vcc_lo, 0, v62, vcc_lo
	s_clause 0x6
	global_load_b32 v28, v[33:34], off offset:512
	global_load_b32 v26, v[33:34], off offset:1024
	;; [unrolled: 1-line block ×7, first 2 shown]
	v_add_co_u32 v35, vcc_lo, 0x4000, v61
	v_add_co_ci_u32_e32 v36, vcc_lo, 0, v62, vcc_lo
	v_add_co_u32 v37, vcc_lo, 0x5000, v61
	v_add_co_ci_u32_e32 v38, vcc_lo, 0, v62, vcc_lo
	s_clause 0x7
	global_load_b32 v66, v[35:36], off offset:512
	global_load_b32 v67, v[35:36], off offset:1024
	;; [unrolled: 1-line block ×3, first 2 shown]
	global_load_b32 v65, v[31:32], off
	global_load_b32 v69, v[35:36], off offset:2048
	global_load_b32 v70, v[35:36], off offset:2560
	;; [unrolled: 1-line block ×4, first 2 shown]
	v_add_co_u32 v39, vcc_lo, v61, 0x6000
	v_add_co_ci_u32_e32 v40, vcc_lo, 0, v62, vcc_lo
	v_add_co_u32 v41, vcc_lo, 0x6000, v61
	v_add_co_ci_u32_e32 v42, vcc_lo, 0, v62, vcc_lo
	global_load_b32 v73, v[39:40], off offset:-4096
	v_add_co_u32 v43, vcc_lo, 0x7000, v61
	v_add_co_ci_u32_e32 v44, vcc_lo, 0, v62, vcc_lo
	v_add_co_u32 v33, vcc_lo, v61, 0x8000
	v_add_co_ci_u32_e32 v34, vcc_lo, 0, v62, vcc_lo
	;; [unrolled: 2-line block ×13, first 2 shown]
	s_clause 0x1f
	global_load_b32 v74, v[37:38], off offset:512
	global_load_b32 v75, v[37:38], off offset:1024
	;; [unrolled: 1-line block ×4, first 2 shown]
	global_load_b32 v39, v[39:40], off
	global_load_b32 v40, v[37:38], off offset:2560
	global_load_b32 v78, v[37:38], off offset:3072
	;; [unrolled: 1-line block ×27, first 2 shown]
	s_clause 0x1f
	global_load_b32 v96, v[45:46], off offset:2048
	global_load_b32 v97, v[45:46], off offset:2560
	;; [unrolled: 1-line block ×29, first 2 shown]
	global_load_b32 v117, v[33:34], off offset:-4096
	global_load_b32 v33, v[33:34], off
	global_load_b32 v34, v[47:48], off offset:-4096
	s_clause 0x16
	global_load_b32 v47, v[47:48], off
	global_load_b32 v48, v[53:54], off offset:-4096
	global_load_b32 v53, v[53:54], off
	global_load_b32 v54, v[59:60], off offset:-4096
	global_load_b32 v59, v[59:60], off
	global_load_b32 v60, v[57:58], off offset:2560
	global_load_b32 v118, v[57:58], off offset:3072
	;; [unrolled: 1-line block ×10, first 2 shown]
	global_load_b32 v36, v[61:62], off
	global_load_b32 v124, v[61:62], off offset:512
	global_load_b32 v125, v[61:62], off offset:1024
	;; [unrolled: 1-line block ×7, first 2 shown]
	s_waitcnt vmcnt(62)
	v_cmp_ne_u32_e32 vcc_lo, 0, v8
	v_cndmask_b32_e64 v8, 0, 1, vcc_lo
	v_cmp_ne_u32_e32 vcc_lo, 0, v14
	v_cndmask_b32_e64 v14, 0, 1, vcc_lo
	v_cmp_ne_u32_e32 vcc_lo, 0, v9
	s_delay_alu instid0(VALU_DEP_2)
	v_add_co_u32 v8, s2, v14, v8
	v_cndmask_b32_e64 v9, 0, 1, vcc_lo
	v_cmp_ne_u32_e32 vcc_lo, 0, v4
	v_add_co_ci_u32_e64 v14, null, 0, 0, s2
	v_cmp_ne_u32_e64 s2, 0, v2
	v_cndmask_b32_e64 v4, 0, 1, vcc_lo
	v_add_co_u32 v8, vcc_lo, v8, v9
	s_delay_alu instid0(VALU_DEP_4) | instskip(NEXT) | instid1(VALU_DEP_4)
	v_add_co_ci_u32_e32 v9, vcc_lo, 0, v14, vcc_lo
	v_cndmask_b32_e64 v2, 0, 1, s2
	s_delay_alu instid0(VALU_DEP_3) | instskip(SKIP_1) | instid1(VALU_DEP_4)
	v_add_co_u32 v4, vcc_lo, v8, v4
	v_cmp_ne_u32_e64 s2, 0, v1
	v_add_co_ci_u32_e32 v8, vcc_lo, 0, v9, vcc_lo
	s_delay_alu instid0(VALU_DEP_3) | instskip(NEXT) | instid1(VALU_DEP_3)
	v_add_co_u32 v2, vcc_lo, v4, v2
	v_cndmask_b32_e64 v1, 0, 1, s2
	v_cmp_ne_u32_e64 s2, 0, v3
	s_delay_alu instid0(VALU_DEP_4) | instskip(NEXT) | instid1(VALU_DEP_3)
	v_add_co_ci_u32_e32 v4, vcc_lo, 0, v8, vcc_lo
	v_add_co_u32 v1, vcc_lo, v2, v1
	s_delay_alu instid0(VALU_DEP_3) | instskip(SKIP_1) | instid1(VALU_DEP_4)
	v_cndmask_b32_e64 v3, 0, 1, s2
	v_cmp_ne_u32_e64 s2, 0, v23
	v_add_co_ci_u32_e32 v4, vcc_lo, 0, v4, vcc_lo
	s_delay_alu instid0(VALU_DEP_3) | instskip(NEXT) | instid1(VALU_DEP_3)
	v_add_co_u32 v1, vcc_lo, v1, v3
	v_cndmask_b32_e64 v2, 0, 1, s2
	v_cmp_ne_u32_e64 s2, 0, v20
	s_delay_alu instid0(VALU_DEP_4) | instskip(NEXT) | instid1(VALU_DEP_3)
	v_add_co_ci_u32_e32 v4, vcc_lo, 0, v4, vcc_lo
	v_add_co_u32 v1, vcc_lo, v1, v2
	s_delay_alu instid0(VALU_DEP_3) | instskip(SKIP_1) | instid1(VALU_DEP_4)
	v_cndmask_b32_e64 v3, 0, 1, s2
	;; [unrolled: 11-line block ×25, first 2 shown]
	v_cmp_ne_u32_e64 s2, 0, v41
	v_add_co_ci_u32_e32 v4, vcc_lo, 0, v4, vcc_lo
	s_delay_alu instid0(VALU_DEP_3) | instskip(NEXT) | instid1(VALU_DEP_3)
	v_add_co_u32 v1, vcc_lo, v1, v3
	v_cndmask_b32_e64 v2, 0, 1, s2
	s_waitcnt vmcnt(25)
	v_cmp_ne_u32_e64 s2, 0, v117
	v_add_co_ci_u32_e32 v4, vcc_lo, 0, v4, vcc_lo
	s_delay_alu instid0(VALU_DEP_3) | instskip(NEXT) | instid1(VALU_DEP_3)
	v_add_co_u32 v1, vcc_lo, v1, v2
	v_cndmask_b32_e64 v3, 0, 1, s2
	v_cmp_ne_u32_e64 s2, 0, v42
	s_delay_alu instid0(VALU_DEP_4) | instskip(NEXT) | instid1(VALU_DEP_3)
	v_add_co_ci_u32_e32 v4, vcc_lo, 0, v4, vcc_lo
	v_add_co_u32 v1, vcc_lo, v1, v3
	s_delay_alu instid0(VALU_DEP_3) | instskip(SKIP_1) | instid1(VALU_DEP_4)
	v_cndmask_b32_e64 v2, 0, 1, s2
	v_cmp_ne_u32_e64 s2, 0, v84
	v_add_co_ci_u32_e32 v4, vcc_lo, 0, v4, vcc_lo
	s_delay_alu instid0(VALU_DEP_3) | instskip(NEXT) | instid1(VALU_DEP_3)
	v_add_co_u32 v1, vcc_lo, v1, v2
	v_cndmask_b32_e64 v3, 0, 1, s2
	v_cmp_ne_u32_e64 s2, 0, v85
	s_delay_alu instid0(VALU_DEP_4) | instskip(NEXT) | instid1(VALU_DEP_3)
	v_add_co_ci_u32_e32 v4, vcc_lo, 0, v4, vcc_lo
	v_add_co_u32 v1, vcc_lo, v1, v3
	s_delay_alu instid0(VALU_DEP_3) | instskip(SKIP_1) | instid1(VALU_DEP_4)
	v_cndmask_b32_e64 v2, 0, 1, s2
	v_cmp_ne_u32_e64 s2, 0, v86
	v_add_co_ci_u32_e32 v4, vcc_lo, 0, v4, vcc_lo
	s_delay_alu instid0(VALU_DEP_3) | instskip(NEXT) | instid1(VALU_DEP_3)
	v_add_co_u32 v1, vcc_lo, v1, v2
	v_cndmask_b32_e64 v3, 0, 1, s2
	v_cmp_ne_u32_e64 s2, 0, v87
	s_delay_alu instid0(VALU_DEP_4) | instskip(NEXT) | instid1(VALU_DEP_3)
	v_add_co_ci_u32_e32 v4, vcc_lo, 0, v4, vcc_lo
	v_add_co_u32 v1, vcc_lo, v1, v3
	s_delay_alu instid0(VALU_DEP_3) | instskip(SKIP_1) | instid1(VALU_DEP_4)
	v_cndmask_b32_e64 v2, 0, 1, s2
	v_cmp_ne_u32_e64 s2, 0, v88
	v_add_co_ci_u32_e32 v4, vcc_lo, 0, v4, vcc_lo
	s_delay_alu instid0(VALU_DEP_3) | instskip(NEXT) | instid1(VALU_DEP_3)
	v_add_co_u32 v1, vcc_lo, v1, v2
	v_cndmask_b32_e64 v3, 0, 1, s2
	v_cmp_ne_u32_e64 s2, 0, v43
	s_delay_alu instid0(VALU_DEP_4) | instskip(NEXT) | instid1(VALU_DEP_3)
	v_add_co_ci_u32_e32 v4, vcc_lo, 0, v4, vcc_lo
	v_add_co_u32 v1, vcc_lo, v1, v3
	s_delay_alu instid0(VALU_DEP_3) | instskip(SKIP_3) | instid1(VALU_DEP_3)
	v_cndmask_b32_e64 v2, 0, 1, s2
	s_waitcnt vmcnt(24)
	v_cmp_ne_u32_e64 s2, 0, v33
	v_add_co_ci_u32_e32 v4, vcc_lo, 0, v4, vcc_lo
	v_add_co_u32 v1, vcc_lo, v1, v2
	s_delay_alu instid0(VALU_DEP_3) | instskip(SKIP_1) | instid1(VALU_DEP_4)
	v_cndmask_b32_e64 v3, 0, 1, s2
	v_cmp_ne_u32_e64 s2, 0, v44
	v_add_co_ci_u32_e32 v4, vcc_lo, 0, v4, vcc_lo
	s_delay_alu instid0(VALU_DEP_3) | instskip(NEXT) | instid1(VALU_DEP_3)
	v_add_co_u32 v1, vcc_lo, v1, v3
	v_cndmask_b32_e64 v2, 0, 1, s2
	v_cmp_ne_u32_e64 s2, 0, v89
	s_delay_alu instid0(VALU_DEP_4) | instskip(NEXT) | instid1(VALU_DEP_3)
	v_add_co_ci_u32_e32 v4, vcc_lo, 0, v4, vcc_lo
	v_add_co_u32 v1, vcc_lo, v1, v2
	s_delay_alu instid0(VALU_DEP_3) | instskip(SKIP_1) | instid1(VALU_DEP_4)
	v_cndmask_b32_e64 v3, 0, 1, s2
	v_cmp_ne_u32_e64 s2, 0, v90
	v_add_co_ci_u32_e32 v4, vcc_lo, 0, v4, vcc_lo
	s_delay_alu instid0(VALU_DEP_3) | instskip(NEXT) | instid1(VALU_DEP_3)
	v_add_co_u32 v1, vcc_lo, v1, v3
	v_cndmask_b32_e64 v2, 0, 1, s2
	v_cmp_ne_u32_e64 s2, 0, v91
	s_delay_alu instid0(VALU_DEP_4) | instskip(NEXT) | instid1(VALU_DEP_3)
	;; [unrolled: 11-line block ×3, first 2 shown]
	v_add_co_ci_u32_e32 v4, vcc_lo, 0, v4, vcc_lo
	v_add_co_u32 v1, vcc_lo, v1, v2
	s_delay_alu instid0(VALU_DEP_3) | instskip(SKIP_1) | instid1(VALU_DEP_4)
	v_cndmask_b32_e64 v3, 0, 1, s2
	v_cmp_ne_u32_e64 s2, 0, v31
	v_add_co_ci_u32_e32 v4, vcc_lo, 0, v4, vcc_lo
	s_delay_alu instid0(VALU_DEP_3) | instskip(NEXT) | instid1(VALU_DEP_3)
	v_add_co_u32 v1, vcc_lo, v1, v3
	v_cndmask_b32_e64 v2, 0, 1, s2
	s_waitcnt vmcnt(23)
	v_cmp_ne_u32_e64 s2, 0, v34
	v_add_co_ci_u32_e32 v4, vcc_lo, 0, v4, vcc_lo
	s_delay_alu instid0(VALU_DEP_3) | instskip(NEXT) | instid1(VALU_DEP_3)
	v_add_co_u32 v1, vcc_lo, v1, v2
	v_cndmask_b32_e64 v3, 0, 1, s2
	v_cmp_ne_u32_e64 s2, 0, v32
	s_delay_alu instid0(VALU_DEP_4) | instskip(NEXT) | instid1(VALU_DEP_3)
	v_add_co_ci_u32_e32 v4, vcc_lo, 0, v4, vcc_lo
	v_add_co_u32 v1, vcc_lo, v1, v3
	s_delay_alu instid0(VALU_DEP_3) | instskip(SKIP_1) | instid1(VALU_DEP_4)
	v_cndmask_b32_e64 v2, 0, 1, s2
	v_cmp_ne_u32_e64 s2, 0, v94
	v_add_co_ci_u32_e32 v4, vcc_lo, 0, v4, vcc_lo
	s_delay_alu instid0(VALU_DEP_3) | instskip(NEXT) | instid1(VALU_DEP_3)
	v_add_co_u32 v1, vcc_lo, v1, v2
	v_cndmask_b32_e64 v3, 0, 1, s2
	v_cmp_ne_u32_e64 s2, 0, v95
	s_delay_alu instid0(VALU_DEP_4) | instskip(NEXT) | instid1(VALU_DEP_3)
	v_add_co_ci_u32_e32 v4, vcc_lo, 0, v4, vcc_lo
	v_add_co_u32 v1, vcc_lo, v1, v3
	s_delay_alu instid0(VALU_DEP_3) | instskip(SKIP_1) | instid1(VALU_DEP_4)
	v_cndmask_b32_e64 v2, 0, 1, s2
	;; [unrolled: 11-line block ×3, first 2 shown]
	v_cmp_ne_u32_e64 s2, 0, v98
	v_add_co_ci_u32_e32 v4, vcc_lo, 0, v4, vcc_lo
	s_delay_alu instid0(VALU_DEP_3) | instskip(NEXT) | instid1(VALU_DEP_3)
	v_add_co_u32 v1, vcc_lo, v1, v2
	v_cndmask_b32_e64 v3, 0, 1, s2
	v_cmp_ne_u32_e64 s2, 0, v45
	s_delay_alu instid0(VALU_DEP_4) | instskip(NEXT) | instid1(VALU_DEP_3)
	v_add_co_ci_u32_e32 v4, vcc_lo, 0, v4, vcc_lo
	v_add_co_u32 v1, vcc_lo, v1, v3
	s_delay_alu instid0(VALU_DEP_3) | instskip(SKIP_3) | instid1(VALU_DEP_3)
	v_cndmask_b32_e64 v2, 0, 1, s2
	s_waitcnt vmcnt(22)
	v_cmp_ne_u32_e64 s2, 0, v47
	v_add_co_ci_u32_e32 v4, vcc_lo, 0, v4, vcc_lo
	v_add_co_u32 v1, vcc_lo, v1, v2
	s_delay_alu instid0(VALU_DEP_3) | instskip(SKIP_1) | instid1(VALU_DEP_4)
	v_cndmask_b32_e64 v3, 0, 1, s2
	v_cmp_ne_u32_e64 s2, 0, v46
	v_add_co_ci_u32_e32 v4, vcc_lo, 0, v4, vcc_lo
	s_delay_alu instid0(VALU_DEP_3) | instskip(NEXT) | instid1(VALU_DEP_3)
	v_add_co_u32 v1, vcc_lo, v1, v3
	v_cndmask_b32_e64 v2, 0, 1, s2
	v_cmp_ne_u32_e64 s2, 0, v99
	s_delay_alu instid0(VALU_DEP_4) | instskip(NEXT) | instid1(VALU_DEP_3)
	v_add_co_ci_u32_e32 v4, vcc_lo, 0, v4, vcc_lo
	v_add_co_u32 v1, vcc_lo, v1, v2
	s_delay_alu instid0(VALU_DEP_3) | instskip(SKIP_1) | instid1(VALU_DEP_4)
	v_cndmask_b32_e64 v3, 0, 1, s2
	v_cmp_ne_u32_e64 s2, 0, v100
	v_add_co_ci_u32_e32 v4, vcc_lo, 0, v4, vcc_lo
	s_delay_alu instid0(VALU_DEP_3) | instskip(NEXT) | instid1(VALU_DEP_3)
	v_add_co_u32 v1, vcc_lo, v1, v3
	v_cndmask_b32_e64 v2, 0, 1, s2
	v_cmp_ne_u32_e64 s2, 0, v101
	s_delay_alu instid0(VALU_DEP_4) | instskip(NEXT) | instid1(VALU_DEP_3)
	v_add_co_ci_u32_e32 v4, vcc_lo, 0, v4, vcc_lo
	v_add_co_u32 v1, vcc_lo, v1, v2
	s_delay_alu instid0(VALU_DEP_3) | instskip(SKIP_1) | instid1(VALU_DEP_4)
	v_cndmask_b32_e64 v3, 0, 1, s2
	v_cmp_ne_u32_e64 s2, 0, v102
	v_add_co_ci_u32_e32 v4, vcc_lo, 0, v4, vcc_lo
	s_delay_alu instid0(VALU_DEP_3) | instskip(NEXT) | instid1(VALU_DEP_3)
	v_add_co_u32 v1, vcc_lo, v1, v3
	v_cndmask_b32_e64 v2, 0, 1, s2
	v_cmp_ne_u32_e64 s2, 0, v103
	s_delay_alu instid0(VALU_DEP_4) | instskip(NEXT) | instid1(VALU_DEP_3)
	v_add_co_ci_u32_e32 v4, vcc_lo, 0, v4, vcc_lo
	v_add_co_u32 v1, vcc_lo, v1, v2
	s_delay_alu instid0(VALU_DEP_3) | instskip(SKIP_1) | instid1(VALU_DEP_4)
	v_cndmask_b32_e64 v3, 0, 1, s2
	v_cmp_ne_u32_e64 s2, 0, v49
	v_add_co_ci_u32_e32 v4, vcc_lo, 0, v4, vcc_lo
	s_delay_alu instid0(VALU_DEP_3) | instskip(NEXT) | instid1(VALU_DEP_3)
	v_add_co_u32 v1, vcc_lo, v1, v3
	v_cndmask_b32_e64 v2, 0, 1, s2
	s_waitcnt vmcnt(21)
	v_cmp_ne_u32_e64 s2, 0, v48
	v_add_co_ci_u32_e32 v4, vcc_lo, 0, v4, vcc_lo
	s_delay_alu instid0(VALU_DEP_3) | instskip(NEXT) | instid1(VALU_DEP_3)
	v_add_co_u32 v1, vcc_lo, v1, v2
	v_cndmask_b32_e64 v3, 0, 1, s2
	v_cmp_ne_u32_e64 s2, 0, v50
	s_delay_alu instid0(VALU_DEP_4) | instskip(NEXT) | instid1(VALU_DEP_3)
	v_add_co_ci_u32_e32 v4, vcc_lo, 0, v4, vcc_lo
	v_add_co_u32 v1, vcc_lo, v1, v3
	s_delay_alu instid0(VALU_DEP_3) | instskip(SKIP_1) | instid1(VALU_DEP_4)
	v_cndmask_b32_e64 v2, 0, 1, s2
	v_cmp_ne_u32_e64 s2, 0, v104
	v_add_co_ci_u32_e32 v4, vcc_lo, 0, v4, vcc_lo
	s_delay_alu instid0(VALU_DEP_3) | instskip(NEXT) | instid1(VALU_DEP_3)
	v_add_co_u32 v1, vcc_lo, v1, v2
	v_cndmask_b32_e64 v3, 0, 1, s2
	v_cmp_ne_u32_e64 s2, 0, v105
	s_delay_alu instid0(VALU_DEP_4) | instskip(NEXT) | instid1(VALU_DEP_3)
	v_add_co_ci_u32_e32 v4, vcc_lo, 0, v4, vcc_lo
	v_add_co_u32 v1, vcc_lo, v1, v3
	s_delay_alu instid0(VALU_DEP_3) | instskip(SKIP_1) | instid1(VALU_DEP_4)
	v_cndmask_b32_e64 v2, 0, 1, s2
	;; [unrolled: 11-line block ×3, first 2 shown]
	v_cmp_ne_u32_e64 s2, 0, v108
	v_add_co_ci_u32_e32 v4, vcc_lo, 0, v4, vcc_lo
	s_delay_alu instid0(VALU_DEP_3) | instskip(NEXT) | instid1(VALU_DEP_3)
	v_add_co_u32 v1, vcc_lo, v1, v2
	v_cndmask_b32_e64 v3, 0, 1, s2
	v_cmp_ne_u32_e64 s2, 0, v51
	s_delay_alu instid0(VALU_DEP_4) | instskip(NEXT) | instid1(VALU_DEP_3)
	v_add_co_ci_u32_e32 v4, vcc_lo, 0, v4, vcc_lo
	v_add_co_u32 v1, vcc_lo, v1, v3
	s_delay_alu instid0(VALU_DEP_3) | instskip(SKIP_3) | instid1(VALU_DEP_3)
	v_cndmask_b32_e64 v2, 0, 1, s2
	s_waitcnt vmcnt(20)
	v_cmp_ne_u32_e64 s2, 0, v53
	v_add_co_ci_u32_e32 v4, vcc_lo, 0, v4, vcc_lo
	v_add_co_u32 v1, vcc_lo, v1, v2
	s_delay_alu instid0(VALU_DEP_3) | instskip(SKIP_1) | instid1(VALU_DEP_4)
	v_cndmask_b32_e64 v3, 0, 1, s2
	v_cmp_ne_u32_e64 s2, 0, v52
	v_add_co_ci_u32_e32 v4, vcc_lo, 0, v4, vcc_lo
	s_delay_alu instid0(VALU_DEP_3) | instskip(NEXT) | instid1(VALU_DEP_3)
	v_add_co_u32 v1, vcc_lo, v1, v3
	v_cndmask_b32_e64 v2, 0, 1, s2
	v_cmp_ne_u32_e64 s2, 0, v109
	s_delay_alu instid0(VALU_DEP_4) | instskip(NEXT) | instid1(VALU_DEP_3)
	v_add_co_ci_u32_e32 v4, vcc_lo, 0, v4, vcc_lo
	v_add_co_u32 v1, vcc_lo, v1, v2
	s_delay_alu instid0(VALU_DEP_3) | instskip(SKIP_1) | instid1(VALU_DEP_4)
	v_cndmask_b32_e64 v3, 0, 1, s2
	v_cmp_ne_u32_e64 s2, 0, v110
	v_add_co_ci_u32_e32 v4, vcc_lo, 0, v4, vcc_lo
	s_delay_alu instid0(VALU_DEP_3) | instskip(NEXT) | instid1(VALU_DEP_3)
	v_add_co_u32 v1, vcc_lo, v1, v3
	v_cndmask_b32_e64 v2, 0, 1, s2
	v_cmp_ne_u32_e64 s2, 0, v111
	s_delay_alu instid0(VALU_DEP_4) | instskip(NEXT) | instid1(VALU_DEP_3)
	;; [unrolled: 11-line block ×3, first 2 shown]
	v_add_co_ci_u32_e32 v4, vcc_lo, 0, v4, vcc_lo
	v_add_co_u32 v1, vcc_lo, v1, v2
	s_delay_alu instid0(VALU_DEP_3) | instskip(SKIP_1) | instid1(VALU_DEP_4)
	v_cndmask_b32_e64 v3, 0, 1, s2
	v_cmp_ne_u32_e64 s2, 0, v55
	v_add_co_ci_u32_e32 v4, vcc_lo, 0, v4, vcc_lo
	s_delay_alu instid0(VALU_DEP_3) | instskip(NEXT) | instid1(VALU_DEP_3)
	v_add_co_u32 v1, vcc_lo, v1, v3
	v_cndmask_b32_e64 v2, 0, 1, s2
	s_waitcnt vmcnt(19)
	v_cmp_ne_u32_e64 s2, 0, v54
	v_add_co_ci_u32_e32 v4, vcc_lo, 0, v4, vcc_lo
	s_delay_alu instid0(VALU_DEP_3) | instskip(NEXT) | instid1(VALU_DEP_3)
	v_add_co_u32 v1, vcc_lo, v1, v2
	v_cndmask_b32_e64 v3, 0, 1, s2
	v_cmp_ne_u32_e64 s2, 0, v56
	s_delay_alu instid0(VALU_DEP_4) | instskip(NEXT) | instid1(VALU_DEP_3)
	v_add_co_ci_u32_e32 v4, vcc_lo, 0, v4, vcc_lo
	v_add_co_u32 v1, vcc_lo, v1, v3
	s_delay_alu instid0(VALU_DEP_3) | instskip(SKIP_1) | instid1(VALU_DEP_4)
	v_cndmask_b32_e64 v2, 0, 1, s2
	v_cmp_ne_u32_e64 s2, 0, v114
	v_add_co_ci_u32_e32 v4, vcc_lo, 0, v4, vcc_lo
	s_delay_alu instid0(VALU_DEP_3) | instskip(NEXT) | instid1(VALU_DEP_3)
	v_add_co_u32 v1, vcc_lo, v1, v2
	v_cndmask_b32_e64 v3, 0, 1, s2
	v_cmp_ne_u32_e64 s2, 0, v115
	s_delay_alu instid0(VALU_DEP_4) | instskip(NEXT) | instid1(VALU_DEP_3)
	v_add_co_ci_u32_e32 v4, vcc_lo, 0, v4, vcc_lo
	v_add_co_u32 v1, vcc_lo, v1, v3
	s_delay_alu instid0(VALU_DEP_3) | instskip(SKIP_1) | instid1(VALU_DEP_4)
	v_cndmask_b32_e64 v2, 0, 1, s2
	v_cmp_ne_u32_e64 s2, 0, v116
	v_add_co_ci_u32_e32 v4, vcc_lo, 0, v4, vcc_lo
	s_delay_alu instid0(VALU_DEP_3) | instskip(NEXT) | instid1(VALU_DEP_3)
	v_add_co_u32 v1, vcc_lo, v1, v2
	v_cndmask_b32_e64 v3, 0, 1, s2
	s_waitcnt vmcnt(17)
	v_cmp_ne_u32_e64 s2, 0, v60
	v_add_co_ci_u32_e32 v4, vcc_lo, 0, v4, vcc_lo
	s_delay_alu instid0(VALU_DEP_3) | instskip(NEXT) | instid1(VALU_DEP_3)
	v_add_co_u32 v1, vcc_lo, v1, v3
	v_cndmask_b32_e64 v2, 0, 1, s2
	s_waitcnt vmcnt(16)
	;; [unrolled: 6-line block ×3, first 2 shown]
	v_cmp_ne_u32_e64 s2, 0, v57
	v_add_co_ci_u32_e32 v4, vcc_lo, 0, v4, vcc_lo
	s_delay_alu instid0(VALU_DEP_3) | instskip(NEXT) | instid1(VALU_DEP_3)
	v_add_co_u32 v1, vcc_lo, v1, v3
	v_cndmask_b32_e64 v2, 0, 1, s2
	v_cmp_ne_u32_e64 s2, 0, v59
	s_delay_alu instid0(VALU_DEP_4) | instskip(NEXT) | instid1(VALU_DEP_3)
	v_add_co_ci_u32_e32 v4, vcc_lo, 0, v4, vcc_lo
	v_add_co_u32 v1, vcc_lo, v1, v2
	s_delay_alu instid0(VALU_DEP_3) | instskip(SKIP_3) | instid1(VALU_DEP_3)
	v_cndmask_b32_e64 v3, 0, 1, s2
	s_waitcnt vmcnt(14)
	v_cmp_ne_u32_e64 s2, 0, v58
	v_add_co_ci_u32_e32 v4, vcc_lo, 0, v4, vcc_lo
	v_add_co_u32 v1, vcc_lo, v1, v3
	s_delay_alu instid0(VALU_DEP_3) | instskip(SKIP_3) | instid1(VALU_DEP_3)
	v_cndmask_b32_e64 v2, 0, 1, s2
	s_waitcnt vmcnt(13)
	v_cmp_ne_u32_e64 s2, 0, v119
	;; [unrolled: 6-line block ×15, first 2 shown]
	v_add_co_ci_u32_e32 v4, vcc_lo, 0, v4, vcc_lo
	v_add_co_u32 v1, vcc_lo, v1, v3
	s_delay_alu instid0(VALU_DEP_3) | instskip(NEXT) | instid1(VALU_DEP_3)
	v_cndmask_b32_e64 v2, 0, 1, s2
	v_add_co_ci_u32_e32 v3, vcc_lo, 0, v4, vcc_lo
	v_mov_b32_e32 v4, 0
	s_mov_b32 s2, exec_lo
	s_delay_alu instid0(VALU_DEP_3) | instskip(NEXT) | instid1(VALU_DEP_3)
	v_add_co_u32 v1, vcc_lo, v1, v2
	v_add_co_ci_u32_e32 v2, vcc_lo, 0, v3, vcc_lo
	s_delay_alu instid0(VALU_DEP_2) | instskip(NEXT) | instid1(VALU_DEP_1)
	v_mov_b32_dpp v3, v1 quad_perm:[1,0,3,2] row_mask:0xf bank_mask:0xf
	v_add_co_u32 v1, vcc_lo, v1, v3
	v_mov_b32_dpp v3, v4 quad_perm:[1,0,3,2] row_mask:0xf bank_mask:0xf
	s_delay_alu instid0(VALU_DEP_4) | instskip(NEXT) | instid1(VALU_DEP_3)
	v_add_co_ci_u32_e32 v2, vcc_lo, 0, v2, vcc_lo
	v_mov_b32_dpp v5, v1 quad_perm:[2,3,0,1] row_mask:0xf bank_mask:0xf
	v_add_co_u32 v1, vcc_lo, 0, v1
	s_delay_alu instid0(VALU_DEP_3) | instskip(NEXT) | instid1(VALU_DEP_2)
	v_add_co_ci_u32_e32 v2, vcc_lo, v3, v2, vcc_lo
	v_add_co_u32 v1, vcc_lo, v1, v5
	s_delay_alu instid0(VALU_DEP_2) | instskip(SKIP_1) | instid1(VALU_DEP_3)
	v_mov_b32_dpp v3, v2 quad_perm:[2,3,0,1] row_mask:0xf bank_mask:0xf
	v_add_co_ci_u32_e32 v2, vcc_lo, 0, v2, vcc_lo
	v_mov_b32_dpp v5, v1 row_ror:4 row_mask:0xf bank_mask:0xf
	v_add_co_u32 v1, vcc_lo, v1, 0
	s_delay_alu instid0(VALU_DEP_3) | instskip(NEXT) | instid1(VALU_DEP_2)
	v_add_co_ci_u32_e32 v2, vcc_lo, v2, v3, vcc_lo
	v_add_co_u32 v1, vcc_lo, v1, v5
	s_delay_alu instid0(VALU_DEP_2) | instskip(SKIP_1) | instid1(VALU_DEP_3)
	v_mov_b32_dpp v3, v2 row_ror:4 row_mask:0xf bank_mask:0xf
	v_add_co_ci_u32_e32 v2, vcc_lo, 0, v2, vcc_lo
	v_mov_b32_dpp v5, v1 row_ror:8 row_mask:0xf bank_mask:0xf
	v_add_co_u32 v1, vcc_lo, v1, 0
	s_delay_alu instid0(VALU_DEP_3) | instskip(NEXT) | instid1(VALU_DEP_2)
	v_add_co_ci_u32_e32 v2, vcc_lo, v2, v3, vcc_lo
	v_add_co_u32 v1, vcc_lo, v1, v5
	s_delay_alu instid0(VALU_DEP_2)
	v_mov_b32_dpp v3, v2 row_ror:8 row_mask:0xf bank_mask:0xf
	v_add_co_ci_u32_e32 v2, vcc_lo, 0, v2, vcc_lo
	ds_swizzle_b32 v5, v1 offset:swizzle(BROADCAST,32,15)
	v_add_co_u32 v1, vcc_lo, v1, 0
	v_add_co_ci_u32_e32 v2, vcc_lo, v2, v3, vcc_lo
	ds_swizzle_b32 v3, v2 offset:swizzle(BROADCAST,32,15)
	s_waitcnt lgkmcnt(1)
	v_add_co_u32 v1, vcc_lo, v1, v5
	v_add_co_ci_u32_e32 v2, vcc_lo, 0, v2, vcc_lo
	ds_bpermute_b32 v1, v4, v1 offset:124
	s_waitcnt lgkmcnt(1)
	v_add_nc_u32_e32 v2, v3, v2
	v_mbcnt_lo_u32_b32 v3, -1, 0
	ds_bpermute_b32 v2, v4, v2 offset:124
	v_cmpx_eq_u32_e32 0, v3
	s_cbranch_execz .LBB183_7
; %bb.6:
	v_lshrrev_b32_e32 v4, 2, v0
	s_delay_alu instid0(VALU_DEP_1)
	v_and_b32_e32 v4, 24, v4
	s_waitcnt lgkmcnt(0)
	ds_store_b64 v4, v[1:2]
.LBB183_7:
	s_or_b32 exec_lo, exec_lo, s2
	s_delay_alu instid0(SALU_CYCLE_1)
	s_mov_b32 s2, exec_lo
	s_waitcnt lgkmcnt(0)
	s_barrier
	buffer_gl0_inv
	v_cmpx_gt_u32_e32 32, v0
	s_cbranch_execz .LBB183_9
; %bb.8:
	v_and_b32_e32 v4, 3, v3
	s_delay_alu instid0(VALU_DEP_1) | instskip(SKIP_4) | instid1(VALU_DEP_2)
	v_lshlrev_b32_e32 v1, 3, v4
	v_cmp_ne_u32_e32 vcc_lo, 3, v4
	ds_load_b64 v[1:2], v1
	v_add_co_ci_u32_e32 v5, vcc_lo, 0, v3, vcc_lo
	v_cmp_gt_u32_e32 vcc_lo, 2, v4
	v_lshlrev_b32_e32 v5, 2, v5
	v_cndmask_b32_e64 v4, 0, 1, vcc_lo
	s_delay_alu instid0(VALU_DEP_1) | instskip(NEXT) | instid1(VALU_DEP_1)
	v_lshlrev_b32_e32 v4, 1, v4
	v_add_lshl_u32 v3, v4, v3, 2
	s_waitcnt lgkmcnt(0)
	ds_bpermute_b32 v6, v5, v1
	ds_bpermute_b32 v5, v5, v2
	s_waitcnt lgkmcnt(1)
	v_add_co_u32 v1, vcc_lo, v1, v6
	v_add_co_ci_u32_e32 v2, vcc_lo, 0, v2, vcc_lo
	ds_bpermute_b32 v4, v3, v1
	v_add_co_u32 v1, vcc_lo, 0, v1
	s_waitcnt lgkmcnt(1)
	v_add_co_ci_u32_e32 v2, vcc_lo, v5, v2, vcc_lo
	ds_bpermute_b32 v3, v3, v2
	s_waitcnt lgkmcnt(1)
	v_add_co_u32 v1, vcc_lo, v1, v4
	v_add_co_ci_u32_e32 v2, vcc_lo, 0, v2, vcc_lo
	s_delay_alu instid0(VALU_DEP_2) | instskip(SKIP_1) | instid1(VALU_DEP_2)
	v_add_co_u32 v1, vcc_lo, v1, 0
	s_waitcnt lgkmcnt(0)
	v_add_co_ci_u32_e32 v2, vcc_lo, v2, v3, vcc_lo
.LBB183_9:
	s_or_b32 exec_lo, exec_lo, s2
.LBB183_10:
	v_cmp_eq_u32_e64 s2, 0, v0
	s_and_b32 vcc_lo, exec_lo, s3
	s_cbranch_vccnz .LBB183_15
	s_branch .LBB183_448
.LBB183_11:
	s_mov_b32 s2, 0
                                        ; implicit-def: $vgpr1_vgpr2
	s_cbranch_execnz .LBB183_606
	s_branch .LBB183_758
.LBB183_12:
	s_mov_b32 s2, 0
                                        ; implicit-def: $vgpr1_vgpr2
	s_cbranch_execnz .LBB183_449
	s_branch .LBB183_605
.LBB183_13:
	s_mov_b32 s3, -1
	s_mov_b32 s2, 0
                                        ; implicit-def: $vgpr1_vgpr2
.LBB183_14:
	s_and_b32 vcc_lo, exec_lo, s3
	s_cbranch_vccz .LBB183_448
.LBB183_15:
	s_cmp_eq_u32 s26, 64
                                        ; implicit-def: $vgpr1_vgpr2
	s_cbranch_scc0 .LBB183_448
; %bb.16:
	s_mov_b32 s19, 0
	s_lshl_b32 s6, s18, 13
	s_mov_b32 s7, s19
	s_lshr_b64 s[8:9], s[20:21], 13
	s_lshl_b64 s[2:3], s[6:7], 2
	s_delay_alu instid0(SALU_CYCLE_1)
	s_add_u32 s4, s24, s2
	s_addc_u32 s5, s25, s3
	s_cmp_lg_u64 s[8:9], s[18:19]
	s_cbranch_scc0 .LBB183_298
; %bb.17:
	s_waitcnt lgkmcnt(0)
	v_lshlrev_b32_e32 v3, 2, v0
	s_clause 0x5
	global_load_b32 v5, v3, s[4:5]
	global_load_b32 v6, v3, s[4:5] offset:512
	global_load_b32 v7, v3, s[4:5] offset:1024
	;; [unrolled: 1-line block ×5, first 2 shown]
	v_add_co_u32 v11, s2, s4, v3
	s_delay_alu instid0(VALU_DEP_1)
	v_add_co_ci_u32_e64 v12, null, s5, 0, s2
	global_load_b32 v13, v3, s[4:5] offset:3072
	v_add_co_u32 v1, vcc_lo, v11, 0x2000
	v_add_co_ci_u32_e32 v2, vcc_lo, 0, v12, vcc_lo
	s_clause 0x1
	global_load_b32 v14, v3, s[4:5] offset:3584
	global_load_b32 v15, v[1:2], off offset:-4096
	v_add_co_u32 v3, vcc_lo, 0x1000, v11
	v_add_co_ci_u32_e32 v4, vcc_lo, 0, v12, vcc_lo
	s_clause 0x7
	global_load_b32 v16, v[3:4], off offset:512
	global_load_b32 v17, v[3:4], off offset:1024
	;; [unrolled: 1-line block ×7, first 2 shown]
	global_load_b32 v23, v[1:2], off
	v_add_co_u32 v1, vcc_lo, 0x2000, v11
	v_add_co_ci_u32_e32 v2, vcc_lo, 0, v12, vcc_lo
	s_clause 0x5
	global_load_b32 v24, v[1:2], off offset:512
	global_load_b32 v25, v[1:2], off offset:1024
	;; [unrolled: 1-line block ×6, first 2 shown]
	v_add_co_u32 v3, vcc_lo, v11, 0x4000
	v_add_co_ci_u32_e32 v4, vcc_lo, 0, v12, vcc_lo
	s_clause 0x1
	global_load_b32 v30, v[1:2], off offset:3584
	global_load_b32 v31, v[3:4], off offset:-4096
	v_add_co_u32 v1, vcc_lo, 0x3000, v11
	v_add_co_ci_u32_e32 v2, vcc_lo, 0, v12, vcc_lo
	s_clause 0x7
	global_load_b32 v32, v[1:2], off offset:512
	global_load_b32 v33, v[1:2], off offset:1024
	;; [unrolled: 1-line block ×7, first 2 shown]
	global_load_b32 v39, v[3:4], off
	v_add_co_u32 v1, vcc_lo, 0x4000, v11
	v_add_co_ci_u32_e32 v2, vcc_lo, 0, v12, vcc_lo
	s_clause 0x5
	global_load_b32 v40, v[1:2], off offset:512
	global_load_b32 v41, v[1:2], off offset:1024
	;; [unrolled: 1-line block ×6, first 2 shown]
	v_add_co_u32 v3, vcc_lo, v11, 0x6000
	v_add_co_ci_u32_e32 v4, vcc_lo, 0, v12, vcc_lo
	s_clause 0x1
	global_load_b32 v46, v[1:2], off offset:3584
	global_load_b32 v47, v[3:4], off offset:-4096
	v_add_co_u32 v1, vcc_lo, 0x5000, v11
	v_add_co_ci_u32_e32 v2, vcc_lo, 0, v12, vcc_lo
	s_clause 0x7
	global_load_b32 v48, v[1:2], off offset:512
	global_load_b32 v49, v[1:2], off offset:1024
	;; [unrolled: 1-line block ×7, first 2 shown]
	global_load_b32 v55, v[3:4], off
	v_add_co_u32 v1, vcc_lo, 0x6000, v11
	v_add_co_ci_u32_e32 v2, vcc_lo, 0, v12, vcc_lo
	s_clause 0x3
	global_load_b32 v56, v[1:2], off offset:512
	global_load_b32 v57, v[1:2], off offset:1024
	;; [unrolled: 1-line block ×4, first 2 shown]
	v_add_co_u32 v3, vcc_lo, 0x7000, v11
	v_add_co_ci_u32_e32 v4, vcc_lo, 0, v12, vcc_lo
	s_clause 0xa
	global_load_b32 v11, v[1:2], off offset:2560
	global_load_b32 v12, v[1:2], off offset:3072
	;; [unrolled: 1-line block ×3, first 2 shown]
	global_load_b32 v2, v[3:4], off
	global_load_b32 v60, v[3:4], off offset:512
	global_load_b32 v61, v[3:4], off offset:1024
	;; [unrolled: 1-line block ×7, first 2 shown]
	s_waitcnt vmcnt(62)
	v_cmp_ne_u32_e32 vcc_lo, 0, v5
	v_cndmask_b32_e64 v5, 0, 1, vcc_lo
	v_cmp_ne_u32_e32 vcc_lo, 0, v6
	v_cndmask_b32_e64 v6, 0, 1, vcc_lo
	s_waitcnt vmcnt(61)
	v_cmp_ne_u32_e32 vcc_lo, 0, v7
	s_delay_alu instid0(VALU_DEP_2)
	v_add_co_u32 v5, s2, v6, v5
	v_cndmask_b32_e64 v4, 0, 1, vcc_lo
	s_waitcnt vmcnt(60)
	v_cmp_ne_u32_e32 vcc_lo, 0, v8
	v_add_co_ci_u32_e64 v7, null, 0, 0, s2
	s_waitcnt vmcnt(59)
	v_cmp_ne_u32_e64 s2, 0, v9
	v_cndmask_b32_e64 v6, 0, 1, vcc_lo
	v_add_co_u32 v4, vcc_lo, v5, v4
	v_add_co_ci_u32_e32 v7, vcc_lo, 0, v7, vcc_lo
	s_delay_alu instid0(VALU_DEP_4) | instskip(NEXT) | instid1(VALU_DEP_3)
	v_cndmask_b32_e64 v5, 0, 1, s2
	v_add_co_u32 v4, vcc_lo, v4, v6
	s_waitcnt vmcnt(58)
	v_cmp_ne_u32_e64 s2, 0, v10
	v_add_co_ci_u32_e32 v7, vcc_lo, 0, v7, vcc_lo
	s_delay_alu instid0(VALU_DEP_3) | instskip(NEXT) | instid1(VALU_DEP_3)
	v_add_co_u32 v4, vcc_lo, v4, v5
	v_cndmask_b32_e64 v6, 0, 1, s2
	s_waitcnt vmcnt(57)
	v_cmp_ne_u32_e64 s2, 0, v13
	v_add_co_ci_u32_e32 v7, vcc_lo, 0, v7, vcc_lo
	s_delay_alu instid0(VALU_DEP_3) | instskip(NEXT) | instid1(VALU_DEP_3)
	v_add_co_u32 v4, vcc_lo, v4, v6
	v_cndmask_b32_e64 v5, 0, 1, s2
	;; [unrolled: 6-line block ×59, first 2 shown]
	s_delay_alu instid0(VALU_DEP_3) | instskip(SKIP_2) | instid1(VALU_DEP_3)
	v_add_co_ci_u32_e32 v2, vcc_lo, 0, v4, vcc_lo
	v_mov_b32_e32 v4, 0
	s_mov_b32 s2, exec_lo
	v_add_co_u32 v1, vcc_lo, v1, v3
	s_delay_alu instid0(VALU_DEP_3) | instskip(NEXT) | instid1(VALU_DEP_2)
	v_add_co_ci_u32_e32 v2, vcc_lo, 0, v2, vcc_lo
	v_mov_b32_dpp v3, v1 quad_perm:[1,0,3,2] row_mask:0xf bank_mask:0xf
	s_delay_alu instid0(VALU_DEP_1) | instskip(SKIP_1) | instid1(VALU_DEP_4)
	v_add_co_u32 v1, vcc_lo, v1, v3
	v_mov_b32_dpp v3, v4 quad_perm:[1,0,3,2] row_mask:0xf bank_mask:0xf
	v_add_co_ci_u32_e32 v2, vcc_lo, 0, v2, vcc_lo
	s_delay_alu instid0(VALU_DEP_3) | instskip(SKIP_1) | instid1(VALU_DEP_3)
	v_mov_b32_dpp v5, v1 quad_perm:[2,3,0,1] row_mask:0xf bank_mask:0xf
	v_add_co_u32 v1, vcc_lo, 0, v1
	v_add_co_ci_u32_e32 v2, vcc_lo, v3, v2, vcc_lo
	s_delay_alu instid0(VALU_DEP_2) | instskip(NEXT) | instid1(VALU_DEP_2)
	v_add_co_u32 v1, vcc_lo, v1, v5
	v_mov_b32_dpp v3, v2 quad_perm:[2,3,0,1] row_mask:0xf bank_mask:0xf
	v_add_co_ci_u32_e32 v2, vcc_lo, 0, v2, vcc_lo
	s_delay_alu instid0(VALU_DEP_3) | instskip(SKIP_1) | instid1(VALU_DEP_3)
	v_mov_b32_dpp v5, v1 row_ror:4 row_mask:0xf bank_mask:0xf
	v_add_co_u32 v1, vcc_lo, v1, 0
	v_add_co_ci_u32_e32 v2, vcc_lo, v2, v3, vcc_lo
	s_delay_alu instid0(VALU_DEP_2) | instskip(NEXT) | instid1(VALU_DEP_2)
	v_add_co_u32 v1, vcc_lo, v1, v5
	v_mov_b32_dpp v3, v2 row_ror:4 row_mask:0xf bank_mask:0xf
	v_add_co_ci_u32_e32 v2, vcc_lo, 0, v2, vcc_lo
	s_delay_alu instid0(VALU_DEP_3) | instskip(SKIP_1) | instid1(VALU_DEP_3)
	v_mov_b32_dpp v5, v1 row_ror:8 row_mask:0xf bank_mask:0xf
	v_add_co_u32 v1, vcc_lo, v1, 0
	v_add_co_ci_u32_e32 v2, vcc_lo, v2, v3, vcc_lo
	s_delay_alu instid0(VALU_DEP_2) | instskip(NEXT) | instid1(VALU_DEP_2)
	v_add_co_u32 v1, vcc_lo, v1, v5
	v_mov_b32_dpp v3, v2 row_ror:8 row_mask:0xf bank_mask:0xf
	v_add_co_ci_u32_e32 v2, vcc_lo, 0, v2, vcc_lo
	ds_swizzle_b32 v5, v1 offset:swizzle(BROADCAST,32,15)
	v_add_co_u32 v1, vcc_lo, v1, 0
	v_add_co_ci_u32_e32 v2, vcc_lo, v2, v3, vcc_lo
	ds_swizzle_b32 v3, v2 offset:swizzle(BROADCAST,32,15)
	s_waitcnt lgkmcnt(1)
	v_add_co_u32 v1, vcc_lo, v1, v5
	v_add_co_ci_u32_e32 v2, vcc_lo, 0, v2, vcc_lo
	ds_bpermute_b32 v1, v4, v1 offset:124
	s_waitcnt lgkmcnt(1)
	v_add_nc_u32_e32 v2, v3, v2
	v_mbcnt_lo_u32_b32 v3, -1, 0
	ds_bpermute_b32 v2, v4, v2 offset:124
	v_cmpx_eq_u32_e32 0, v3
	s_cbranch_execz .LBB183_19
; %bb.18:
	v_lshrrev_b32_e32 v4, 2, v0
	s_delay_alu instid0(VALU_DEP_1)
	v_and_b32_e32 v4, 24, v4
	s_waitcnt lgkmcnt(0)
	ds_store_b64 v4, v[1:2] offset:192
.LBB183_19:
	s_or_b32 exec_lo, exec_lo, s2
	s_delay_alu instid0(SALU_CYCLE_1)
	s_mov_b32 s2, exec_lo
	s_waitcnt lgkmcnt(0)
	s_barrier
	buffer_gl0_inv
	v_cmpx_gt_u32_e32 32, v0
	s_cbranch_execz .LBB183_21
; %bb.20:
	v_and_b32_e32 v4, 3, v3
	s_delay_alu instid0(VALU_DEP_1) | instskip(SKIP_4) | instid1(VALU_DEP_2)
	v_lshlrev_b32_e32 v1, 3, v4
	v_cmp_ne_u32_e32 vcc_lo, 3, v4
	ds_load_b64 v[1:2], v1 offset:192
	v_add_co_ci_u32_e32 v5, vcc_lo, 0, v3, vcc_lo
	v_cmp_gt_u32_e32 vcc_lo, 2, v4
	v_lshlrev_b32_e32 v5, 2, v5
	v_cndmask_b32_e64 v4, 0, 1, vcc_lo
	s_delay_alu instid0(VALU_DEP_1) | instskip(NEXT) | instid1(VALU_DEP_1)
	v_lshlrev_b32_e32 v4, 1, v4
	v_add_lshl_u32 v3, v4, v3, 2
	s_waitcnt lgkmcnt(0)
	ds_bpermute_b32 v6, v5, v1
	ds_bpermute_b32 v5, v5, v2
	s_waitcnt lgkmcnt(1)
	v_add_co_u32 v1, vcc_lo, v1, v6
	v_add_co_ci_u32_e32 v2, vcc_lo, 0, v2, vcc_lo
	ds_bpermute_b32 v4, v3, v1
	v_add_co_u32 v1, vcc_lo, 0, v1
	s_waitcnt lgkmcnt(1)
	v_add_co_ci_u32_e32 v2, vcc_lo, v5, v2, vcc_lo
	ds_bpermute_b32 v3, v3, v2
	s_waitcnt lgkmcnt(1)
	v_add_co_u32 v1, vcc_lo, v1, v4
	v_add_co_ci_u32_e32 v2, vcc_lo, 0, v2, vcc_lo
	s_delay_alu instid0(VALU_DEP_2) | instskip(SKIP_1) | instid1(VALU_DEP_2)
	v_add_co_u32 v1, vcc_lo, v1, 0
	s_waitcnt lgkmcnt(0)
	v_add_co_ci_u32_e32 v2, vcc_lo, v2, v3, vcc_lo
.LBB183_21:
	s_or_b32 exec_lo, exec_lo, s2
	s_mov_b32 s2, 0
	s_branch .LBB183_299
.LBB183_22:
                                        ; implicit-def: $vgpr1_vgpr2
	s_cbranch_execz .LBB183_10
; %bb.23:
	s_sub_i32 s2, s20, s6
	s_mov_b32 s6, exec_lo
                                        ; implicit-def: $vgpr1_vgpr2
                                        ; kill: killed $vgpr1_vgpr2
	v_cmpx_gt_u32_e64 s2, v0
	s_cbranch_execz .LBB183_25
; %bb.24:
	s_mov_b32 s7, 0
	s_delay_alu instid0(SALU_CYCLE_1)
	v_dual_mov_b32 v2, s7 :: v_dual_lshlrev_b32 v1, 2, v0
	global_load_b32 v1, v1, s[4:5]
	s_waitcnt vmcnt(0)
	v_cmp_ne_u32_e32 vcc_lo, 0, v1
	v_cndmask_b32_e64 v1, 0, 1, vcc_lo
	scratch_store_b64 off, v[1:2], off offset:8 ; 8-byte Folded Spill
.LBB183_25:
	s_or_b32 exec_lo, exec_lo, s6
	v_mov_b32_e32 v3, 0
	v_or_b32_e32 v1, 0x80, v0
	v_mov_b32_e32 v4, 0
	s_delay_alu instid0(VALU_DEP_2) | instskip(NEXT) | instid1(VALU_DEP_2)
	v_cmp_gt_u32_e32 vcc_lo, s2, v1
	v_dual_mov_b32 v1, v3 :: v_dual_mov_b32 v2, v4
	s_and_saveexec_b32 s6, vcc_lo
	s_cbranch_execz .LBB183_27
; %bb.26:
	s_mov_b32 s7, 0
	s_delay_alu instid0(SALU_CYCLE_1)
	v_dual_mov_b32 v2, s7 :: v_dual_lshlrev_b32 v1, 2, v0
	global_load_b32 v1, v1, s[4:5] offset:512
	s_waitcnt vmcnt(0)
	v_cmp_ne_u32_e32 vcc_lo, 0, v1
	v_cndmask_b32_e64 v1, 0, 1, vcc_lo
.LBB183_27:
	s_or_b32 exec_lo, exec_lo, s6
	v_or_b32_e32 v5, 0x100, v0
	s_mov_b32 s6, exec_lo
	s_delay_alu instid0(VALU_DEP_1)
	v_cmpx_gt_u32_e64 s2, v5
	s_cbranch_execz .LBB183_29
; %bb.28:
	s_mov_b32 s7, 0
	s_delay_alu instid0(SALU_CYCLE_1)
	v_dual_mov_b32 v4, s7 :: v_dual_lshlrev_b32 v3, 2, v0
	global_load_b32 v3, v3, s[4:5] offset:1024
	s_waitcnt vmcnt(0)
	v_cmp_ne_u32_e32 vcc_lo, 0, v3
	v_cndmask_b32_e64 v3, 0, 1, vcc_lo
.LBB183_29:
	s_or_b32 exec_lo, exec_lo, s6
	v_mov_b32_e32 v7, 0
	v_mov_b32_e32 v8, 0
	v_or_b32_e32 v5, 0x180, v0
	s_mov_b32 s6, exec_lo
	s_delay_alu instid0(VALU_DEP_2) | instskip(NEXT) | instid1(VALU_DEP_2)
	v_dual_mov_b32 v14, v8 :: v_dual_mov_b32 v13, v7
	v_cmpx_gt_u32_e64 s2, v5
	s_cbranch_execz .LBB183_31
; %bb.30:
	s_mov_b32 s7, 0
	s_delay_alu instid0(SALU_CYCLE_1)
	v_dual_mov_b32 v14, s7 :: v_dual_lshlrev_b32 v5, 2, v0
	global_load_b32 v5, v5, s[4:5] offset:1536
	s_waitcnt vmcnt(0)
	v_cmp_ne_u32_e32 vcc_lo, 0, v5
	v_cndmask_b32_e64 v13, 0, 1, vcc_lo
.LBB183_31:
	s_or_b32 exec_lo, exec_lo, s6
	v_or_b32_e32 v5, 0x200, v0
	s_mov_b32 s6, exec_lo
	s_delay_alu instid0(VALU_DEP_1)
	v_cmpx_gt_u32_e64 s2, v5
	s_cbranch_execz .LBB183_33
; %bb.32:
	s_mov_b32 s7, 0
	s_delay_alu instid0(SALU_CYCLE_1)
	v_dual_mov_b32 v8, s7 :: v_dual_lshlrev_b32 v5, 2, v0
	global_load_b32 v5, v5, s[4:5] offset:2048
	s_waitcnt vmcnt(0)
	v_cmp_ne_u32_e32 vcc_lo, 0, v5
	v_cndmask_b32_e64 v7, 0, 1, vcc_lo
.LBB183_33:
	s_or_b32 exec_lo, exec_lo, s6
	v_mov_b32_e32 v11, 0
	v_or_b32_e32 v5, 0x280, v0
	v_mov_b32_e32 v12, 0
	s_mov_b32 s6, exec_lo
	scratch_store_b64 off, v[11:12], off    ; 8-byte Folded Spill
	v_cmpx_gt_u32_e64 s2, v5
	s_cbranch_execz .LBB183_35
; %bb.34:
	s_mov_b32 s7, 0
	s_delay_alu instid0(SALU_CYCLE_1)
	v_dual_mov_b32 v6, s7 :: v_dual_lshlrev_b32 v5, 2, v0
	global_load_b32 v5, v5, s[4:5] offset:2560
	s_waitcnt vmcnt(0)
	v_cmp_ne_u32_e32 vcc_lo, 0, v5
	v_cndmask_b32_e64 v5, 0, 1, vcc_lo
	scratch_store_b64 off, v[5:6], off      ; 8-byte Folded Spill
.LBB183_35:
	s_or_b32 exec_lo, exec_lo, s6
	v_or_b32_e32 v5, 0x300, v0
	s_mov_b32 s6, exec_lo
	s_delay_alu instid0(VALU_DEP_1)
	v_cmpx_gt_u32_e64 s2, v5
	s_cbranch_execz .LBB183_37
; %bb.36:
	s_mov_b32 s7, 0
	s_delay_alu instid0(SALU_CYCLE_1)
	v_dual_mov_b32 v12, s7 :: v_dual_lshlrev_b32 v5, 2, v0
	global_load_b32 v5, v5, s[4:5] offset:3072
	s_waitcnt vmcnt(0)
	v_cmp_ne_u32_e32 vcc_lo, 0, v5
	v_cndmask_b32_e64 v11, 0, 1, vcc_lo
.LBB183_37:
	s_or_b32 exec_lo, exec_lo, s6
	v_mov_b32_e32 v15, 0
	v_mov_b32_e32 v16, 0
	v_or_b32_e32 v5, 0x380, v0
	s_mov_b32 s6, exec_lo
	s_delay_alu instid0(VALU_DEP_2) | instskip(NEXT) | instid1(VALU_DEP_2)
	v_dual_mov_b32 v18, v16 :: v_dual_mov_b32 v17, v15
	v_cmpx_gt_u32_e64 s2, v5
	s_cbranch_execz .LBB183_39
; %bb.38:
	s_mov_b32 s7, 0
	s_delay_alu instid0(SALU_CYCLE_1)
	v_dual_mov_b32 v18, s7 :: v_dual_lshlrev_b32 v5, 2, v0
	global_load_b32 v5, v5, s[4:5] offset:3584
	s_waitcnt vmcnt(0)
	v_cmp_ne_u32_e32 vcc_lo, 0, v5
	v_cndmask_b32_e64 v17, 0, 1, vcc_lo
.LBB183_39:
	s_or_b32 exec_lo, exec_lo, s6
	v_or_b32_e32 v5, 0x400, v0
	s_mov_b32 s6, exec_lo
	s_delay_alu instid0(VALU_DEP_1)
	v_cmpx_gt_u32_e64 s2, v5
	s_cbranch_execz .LBB183_41
; %bb.40:
	s_mov_b32 s7, 0
	s_delay_alu instid0(SALU_CYCLE_1)
	v_dual_mov_b32 v16, s7 :: v_dual_lshlrev_b32 v5, 2, v5
	global_load_b32 v5, v5, s[4:5]
	s_waitcnt vmcnt(0)
	v_cmp_ne_u32_e32 vcc_lo, 0, v5
	v_cndmask_b32_e64 v15, 0, 1, vcc_lo
.LBB183_41:
	s_or_b32 exec_lo, exec_lo, s6
	v_mov_b32_e32 v19, 0
	v_mov_b32_e32 v20, 0
	v_or_b32_e32 v5, 0x480, v0
	s_mov_b32 s6, exec_lo
	s_delay_alu instid0(VALU_DEP_2) | instskip(NEXT) | instid1(VALU_DEP_2)
	v_dual_mov_b32 v22, v20 :: v_dual_mov_b32 v21, v19
	v_cmpx_gt_u32_e64 s2, v5
	s_cbranch_execz .LBB183_43
; %bb.42:
	s_mov_b32 s7, 0
	s_delay_alu instid0(SALU_CYCLE_1)
	v_dual_mov_b32 v22, s7 :: v_dual_lshlrev_b32 v5, 2, v5
	global_load_b32 v5, v5, s[4:5]
	s_waitcnt vmcnt(0)
	v_cmp_ne_u32_e32 vcc_lo, 0, v5
	v_cndmask_b32_e64 v21, 0, 1, vcc_lo
.LBB183_43:
	s_or_b32 exec_lo, exec_lo, s6
	v_or_b32_e32 v5, 0x500, v0
	s_mov_b32 s6, exec_lo
	s_delay_alu instid0(VALU_DEP_1)
	v_cmpx_gt_u32_e64 s2, v5
	s_cbranch_execz .LBB183_45
; %bb.44:
	s_mov_b32 s7, 0
	s_delay_alu instid0(SALU_CYCLE_1)
	v_dual_mov_b32 v20, s7 :: v_dual_lshlrev_b32 v5, 2, v5
	global_load_b32 v5, v5, s[4:5]
	s_waitcnt vmcnt(0)
	v_cmp_ne_u32_e32 vcc_lo, 0, v5
	v_cndmask_b32_e64 v19, 0, 1, vcc_lo
.LBB183_45:
	s_or_b32 exec_lo, exec_lo, s6
	v_mov_b32_e32 v23, 0
	v_mov_b32_e32 v24, 0
	v_or_b32_e32 v5, 0x580, v0
	s_mov_b32 s6, exec_lo
	s_delay_alu instid0(VALU_DEP_2) | instskip(NEXT) | instid1(VALU_DEP_2)
	v_dual_mov_b32 v26, v24 :: v_dual_mov_b32 v25, v23
	v_cmpx_gt_u32_e64 s2, v5
	s_cbranch_execz .LBB183_47
; %bb.46:
	s_mov_b32 s7, 0
	s_delay_alu instid0(SALU_CYCLE_1)
	v_dual_mov_b32 v26, s7 :: v_dual_lshlrev_b32 v5, 2, v5
	global_load_b32 v5, v5, s[4:5]
	s_waitcnt vmcnt(0)
	v_cmp_ne_u32_e32 vcc_lo, 0, v5
	v_cndmask_b32_e64 v25, 0, 1, vcc_lo
.LBB183_47:
	;; [unrolled: 33-line block ×59, first 2 shown]
	s_or_b32 exec_lo, exec_lo, s6
	v_or_b32_e32 v5, 0x3f00, v0
	s_mov_b32 s6, exec_lo
	s_delay_alu instid0(VALU_DEP_1)
	v_cmpx_gt_u32_e64 s2, v5
	s_cbranch_execz .LBB183_277
; %bb.276:
	s_mov_b32 s7, 0
	s_delay_alu instid0(SALU_CYCLE_1)
	v_dual_mov_b32 v252, s7 :: v_dual_lshlrev_b32 v5, 2, v5
	global_load_b32 v5, v5, s[4:5]
	s_waitcnt vmcnt(0)
	v_cmp_ne_u32_e32 vcc_lo, 0, v5
	v_cndmask_b32_e64 v251, 0, 1, vcc_lo
.LBB183_277:
	s_or_b32 exec_lo, exec_lo, s6
	v_mov_b32_e32 v5, 0
	v_or_b32_e32 v255, 0x3f80, v0
	v_mov_b32_e32 v6, 0
	s_mov_b32 s6, exec_lo
	s_delay_alu instid0(VALU_DEP_2)
	v_cmpx_gt_u32_e64 s2, v255
	s_cbranch_execz .LBB183_279
; %bb.278:
	v_lshlrev_b32_e32 v5, 2, v255
	global_load_b32 v5, v5, s[4:5]
	s_mov_b32 s4, 0
	s_delay_alu instid0(SALU_CYCLE_1)
	v_mov_b32_e32 v6, s4
	s_waitcnt vmcnt(0)
	v_cmp_ne_u32_e32 vcc_lo, 0, v5
	v_cndmask_b32_e64 v5, 0, 1, vcc_lo
.LBB183_279:
	s_or_b32 exec_lo, exec_lo, s6
	scratch_load_b64 v[9:10], off, off offset:8 ; 8-byte Folded Reload
	s_min_u32 s2, s2, 0x80
	s_waitcnt vmcnt(0)
	v_add_co_u32 v1, vcc_lo, v1, v9
	v_add_co_ci_u32_e32 v2, vcc_lo, v2, v10, vcc_lo
	s_delay_alu instid0(VALU_DEP_2) | instskip(NEXT) | instid1(VALU_DEP_2)
	v_add_co_u32 v1, vcc_lo, v1, v3
	v_add_co_ci_u32_e32 v2, vcc_lo, v2, v4, vcc_lo
	scratch_load_b64 v[3:4], off, off       ; 8-byte Folded Reload
	v_add_co_u32 v1, vcc_lo, v1, v13
	v_add_co_ci_u32_e32 v2, vcc_lo, v2, v14, vcc_lo
	s_delay_alu instid0(VALU_DEP_2) | instskip(NEXT) | instid1(VALU_DEP_2)
	v_add_co_u32 v1, vcc_lo, v1, v7
	v_add_co_ci_u32_e32 v2, vcc_lo, v2, v8, vcc_lo
	s_waitcnt vmcnt(0)
	s_delay_alu instid0(VALU_DEP_2) | instskip(NEXT) | instid1(VALU_DEP_2)
	v_add_co_u32 v1, vcc_lo, v1, v3
	v_add_co_ci_u32_e32 v2, vcc_lo, v2, v4, vcc_lo
	v_mbcnt_lo_u32_b32 v3, -1, 0
	s_delay_alu instid0(VALU_DEP_3) | instskip(NEXT) | instid1(VALU_DEP_3)
	v_add_co_u32 v1, vcc_lo, v1, v11
	v_add_co_ci_u32_e32 v2, vcc_lo, v2, v12, vcc_lo
	s_delay_alu instid0(VALU_DEP_2) | instskip(NEXT) | instid1(VALU_DEP_2)
	v_add_co_u32 v1, vcc_lo, v1, v17
	v_add_co_ci_u32_e32 v2, vcc_lo, v2, v18, vcc_lo
	s_delay_alu instid0(VALU_DEP_2) | instskip(NEXT) | instid1(VALU_DEP_2)
	;; [unrolled: 3-line block ×119, first 2 shown]
	v_add_co_u32 v1, vcc_lo, v1, v253
	v_add_co_ci_u32_e32 v2, vcc_lo, v2, v254, vcc_lo
	v_cmp_ne_u32_e32 vcc_lo, 31, v3
	v_add_co_ci_u32_e32 v4, vcc_lo, 0, v3, vcc_lo
	s_delay_alu instid0(VALU_DEP_4) | instskip(NEXT) | instid1(VALU_DEP_4)
	v_add_co_u32 v1, vcc_lo, v1, v251
	v_add_co_ci_u32_e32 v2, vcc_lo, v2, v252, vcc_lo
	s_delay_alu instid0(VALU_DEP_2) | instskip(NEXT) | instid1(VALU_DEP_4)
	v_add_co_u32 v1, vcc_lo, v1, v5
	v_lshlrev_b32_e32 v4, 2, v4
	s_delay_alu instid0(VALU_DEP_3) | instskip(SKIP_4) | instid1(VALU_DEP_1)
	v_add_co_ci_u32_e32 v2, vcc_lo, v2, v6, vcc_lo
	v_add_nc_u32_e32 v5, 1, v3
	ds_bpermute_b32 v7, v4, v1
	ds_bpermute_b32 v6, v4, v2
	v_and_b32_e32 v4, 0x60, v0
	v_sub_nc_u32_e64 v4, s2, v4 clamp
	s_delay_alu instid0(VALU_DEP_1)
	v_cmp_lt_u32_e32 vcc_lo, v5, v4
	v_mov_b32_e32 v5, v1
	s_and_saveexec_b32 s4, vcc_lo
	s_cbranch_execz .LBB183_281
; %bb.280:
	s_waitcnt lgkmcnt(1)
	v_add_co_u32 v5, vcc_lo, v1, v7
	v_add_co_ci_u32_e32 v2, vcc_lo, 0, v2, vcc_lo
	s_delay_alu instid0(VALU_DEP_2) | instskip(SKIP_1) | instid1(VALU_DEP_2)
	v_add_co_u32 v1, vcc_lo, 0, v5
	s_waitcnt lgkmcnt(0)
	v_add_co_ci_u32_e32 v2, vcc_lo, v6, v2, vcc_lo
.LBB183_281:
	s_or_b32 exec_lo, exec_lo, s4
	v_cmp_gt_u32_e32 vcc_lo, 30, v3
	v_add_nc_u32_e32 v8, 2, v3
	s_mov_b32 s4, exec_lo
	s_waitcnt lgkmcnt(0)
	v_cndmask_b32_e64 v6, 0, 1, vcc_lo
	s_delay_alu instid0(VALU_DEP_1) | instskip(NEXT) | instid1(VALU_DEP_1)
	v_lshlrev_b32_e32 v6, 1, v6
	v_add_lshl_u32 v6, v6, v3, 2
	ds_bpermute_b32 v7, v6, v5
	ds_bpermute_b32 v6, v6, v2
	v_cmpx_lt_u32_e64 v8, v4
	s_cbranch_execz .LBB183_283
; %bb.282:
	s_waitcnt lgkmcnt(1)
	v_add_co_u32 v5, vcc_lo, v1, v7
	v_add_co_ci_u32_e32 v2, vcc_lo, 0, v2, vcc_lo
	s_delay_alu instid0(VALU_DEP_2) | instskip(SKIP_1) | instid1(VALU_DEP_2)
	v_add_co_u32 v1, vcc_lo, 0, v5
	s_waitcnt lgkmcnt(0)
	v_add_co_ci_u32_e32 v2, vcc_lo, v6, v2, vcc_lo
.LBB183_283:
	s_or_b32 exec_lo, exec_lo, s4
	v_cmp_gt_u32_e32 vcc_lo, 28, v3
	v_add_nc_u32_e32 v8, 4, v3
	s_mov_b32 s4, exec_lo
	s_waitcnt lgkmcnt(0)
	v_cndmask_b32_e64 v6, 0, 1, vcc_lo
	s_delay_alu instid0(VALU_DEP_1) | instskip(NEXT) | instid1(VALU_DEP_1)
	v_lshlrev_b32_e32 v6, 2, v6
	v_add_lshl_u32 v6, v6, v3, 2
	ds_bpermute_b32 v7, v6, v5
	ds_bpermute_b32 v6, v6, v2
	v_cmpx_lt_u32_e64 v8, v4
	;; [unrolled: 22-line block ×3, first 2 shown]
	s_cbranch_execz .LBB183_287
; %bb.286:
	s_waitcnt lgkmcnt(1)
	v_add_co_u32 v5, vcc_lo, v1, v7
	v_add_co_ci_u32_e32 v2, vcc_lo, 0, v2, vcc_lo
	s_delay_alu instid0(VALU_DEP_2) | instskip(SKIP_1) | instid1(VALU_DEP_2)
	v_add_co_u32 v1, vcc_lo, 0, v5
	s_waitcnt lgkmcnt(0)
	v_add_co_ci_u32_e32 v2, vcc_lo, v6, v2, vcc_lo
.LBB183_287:
	s_or_b32 exec_lo, exec_lo, s4
	v_cmp_gt_u32_e32 vcc_lo, 16, v3
	s_mov_b32 s4, exec_lo
	s_waitcnt lgkmcnt(0)
	v_cndmask_b32_e64 v6, 0, 1, vcc_lo
	s_delay_alu instid0(VALU_DEP_1) | instskip(NEXT) | instid1(VALU_DEP_1)
	v_lshlrev_b32_e32 v6, 4, v6
	v_add_lshl_u32 v7, v6, v3, 2
	ds_bpermute_b32 v6, v7, v5
	ds_bpermute_b32 v5, v7, v2
	v_add_nc_u32_e32 v7, 16, v3
	s_delay_alu instid0(VALU_DEP_1)
	v_cmpx_lt_u32_e64 v7, v4
	s_cbranch_execz .LBB183_289
; %bb.288:
	s_waitcnt lgkmcnt(1)
	v_add_co_u32 v1, vcc_lo, v1, v6
	v_add_co_ci_u32_e32 v2, vcc_lo, 0, v2, vcc_lo
	s_delay_alu instid0(VALU_DEP_2) | instskip(SKIP_1) | instid1(VALU_DEP_2)
	v_add_co_u32 v1, vcc_lo, v1, 0
	s_waitcnt lgkmcnt(0)
	v_add_co_ci_u32_e32 v2, vcc_lo, v2, v5, vcc_lo
.LBB183_289:
	s_or_b32 exec_lo, exec_lo, s4
	s_delay_alu instid0(SALU_CYCLE_1)
	s_mov_b32 s4, exec_lo
	v_cmpx_eq_u32_e32 0, v3
	s_cbranch_execz .LBB183_291
; %bb.290:
	v_lshrrev_b32_e32 v4, 2, v0
	s_delay_alu instid0(VALU_DEP_1)
	v_and_b32_e32 v4, 24, v4
	ds_store_b64 v4, v[1:2] offset:256
.LBB183_291:
	s_or_b32 exec_lo, exec_lo, s4
	s_delay_alu instid0(SALU_CYCLE_1)
	s_mov_b32 s4, exec_lo
	s_waitcnt lgkmcnt(0)
	s_waitcnt_vscnt null, 0x0
	s_barrier
	buffer_gl0_inv
	v_cmpx_gt_u32_e32 4, v0
	s_cbranch_execz .LBB183_297
; %bb.292:
	v_lshlrev_b32_e32 v1, 3, v3
	s_add_i32 s2, s2, 31
	s_delay_alu instid0(SALU_CYCLE_1) | instskip(SKIP_2) | instid1(VALU_DEP_1)
	s_lshr_b32 s2, s2, 5
	ds_load_b64 v[1:2], v1 offset:256
	v_and_b32_e32 v4, 3, v3
	v_cmp_ne_u32_e32 vcc_lo, 3, v4
	v_add_co_ci_u32_e32 v5, vcc_lo, 0, v3, vcc_lo
	s_delay_alu instid0(VALU_DEP_1) | instskip(SKIP_4) | instid1(VALU_DEP_1)
	v_lshlrev_b32_e32 v5, 2, v5
	s_waitcnt lgkmcnt(0)
	ds_bpermute_b32 v7, v5, v1
	ds_bpermute_b32 v6, v5, v2
	v_add_nc_u32_e32 v5, 1, v4
	v_cmp_gt_u32_e32 vcc_lo, s2, v5
	v_mov_b32_e32 v5, v1
	s_and_saveexec_b32 s5, vcc_lo
	s_cbranch_execz .LBB183_294
; %bb.293:
	s_waitcnt lgkmcnt(1)
	v_add_co_u32 v5, vcc_lo, v1, v7
	v_add_co_ci_u32_e32 v2, vcc_lo, 0, v2, vcc_lo
	s_delay_alu instid0(VALU_DEP_2) | instskip(SKIP_1) | instid1(VALU_DEP_2)
	v_add_co_u32 v1, vcc_lo, 0, v5
	s_waitcnt lgkmcnt(0)
	v_add_co_ci_u32_e32 v2, vcc_lo, v6, v2, vcc_lo
.LBB183_294:
	s_or_b32 exec_lo, exec_lo, s5
	v_cmp_gt_u32_e32 vcc_lo, 2, v4
	v_add_nc_u32_e32 v4, 2, v4
	s_waitcnt lgkmcnt(0)
	v_cndmask_b32_e64 v6, 0, 1, vcc_lo
	s_delay_alu instid0(VALU_DEP_2) | instskip(NEXT) | instid1(VALU_DEP_2)
	v_cmp_gt_u32_e32 vcc_lo, s2, v4
	v_lshlrev_b32_e32 v6, 1, v6
	s_delay_alu instid0(VALU_DEP_1)
	v_add_lshl_u32 v3, v6, v3, 2
	ds_bpermute_b32 v5, v3, v5
	ds_bpermute_b32 v3, v3, v2
	s_and_saveexec_b32 s2, vcc_lo
	s_cbranch_execz .LBB183_296
; %bb.295:
	s_waitcnt lgkmcnt(1)
	v_add_co_u32 v1, vcc_lo, v1, v5
	v_add_co_ci_u32_e32 v2, vcc_lo, 0, v2, vcc_lo
	s_delay_alu instid0(VALU_DEP_2) | instskip(SKIP_1) | instid1(VALU_DEP_2)
	v_add_co_u32 v1, vcc_lo, v1, 0
	s_waitcnt lgkmcnt(0)
	v_add_co_ci_u32_e32 v2, vcc_lo, v2, v3, vcc_lo
.LBB183_296:
	s_or_b32 exec_lo, exec_lo, s2
.LBB183_297:
	s_delay_alu instid0(SALU_CYCLE_1)
	s_or_b32 exec_lo, exec_lo, s4
	v_cmp_eq_u32_e64 s2, 0, v0
	s_and_b32 vcc_lo, exec_lo, s3
	s_cbranch_vccnz .LBB183_15
	s_branch .LBB183_448
.LBB183_298:
	s_mov_b32 s2, -1
                                        ; implicit-def: $vgpr1_vgpr2
.LBB183_299:
	s_delay_alu instid0(SALU_CYCLE_1)
	s_and_b32 vcc_lo, exec_lo, s2
	s_cbranch_vccz .LBB183_447
; %bb.300:
	s_sub_i32 s2, s20, s6
	s_mov_b32 s3, exec_lo
                                        ; implicit-def: $vgpr1_vgpr2
	v_cmpx_gt_u32_e64 s2, v0
	s_cbranch_execz .LBB183_302
; %bb.301:
	s_mov_b32 s6, 0
	s_delay_alu instid0(SALU_CYCLE_1)
	v_dual_mov_b32 v2, s6 :: v_dual_lshlrev_b32 v1, 2, v0
	global_load_b32 v1, v1, s[4:5]
	s_waitcnt vmcnt(0)
	v_cmp_ne_u32_e32 vcc_lo, 0, v1
	v_cndmask_b32_e64 v1, 0, 1, vcc_lo
.LBB183_302:
	s_or_b32 exec_lo, exec_lo, s3
	s_waitcnt lgkmcnt(0)
	v_mov_b32_e32 v3, 0
	v_or_b32_e32 v5, 0x80, v0
	v_mov_b32_e32 v4, 0
	s_delay_alu instid0(VALU_DEP_2) | instskip(NEXT) | instid1(VALU_DEP_2)
	v_cmp_gt_u32_e32 vcc_lo, s2, v5
	v_dual_mov_b32 v6, v4 :: v_dual_mov_b32 v5, v3
	s_and_saveexec_b32 s3, vcc_lo
	s_cbranch_execz .LBB183_304
; %bb.303:
	s_mov_b32 s6, 0
	s_delay_alu instid0(SALU_CYCLE_1)
	v_dual_mov_b32 v6, s6 :: v_dual_lshlrev_b32 v5, 2, v0
	global_load_b32 v5, v5, s[4:5] offset:512
	s_waitcnt vmcnt(0)
	v_cmp_ne_u32_e32 vcc_lo, 0, v5
	v_cndmask_b32_e64 v5, 0, 1, vcc_lo
.LBB183_304:
	s_or_b32 exec_lo, exec_lo, s3
	v_or_b32_e32 v7, 0x100, v0
	s_mov_b32 s3, exec_lo
	s_delay_alu instid0(VALU_DEP_1)
	v_cmpx_gt_u32_e64 s2, v7
	s_cbranch_execz .LBB183_306
; %bb.305:
	s_mov_b32 s6, 0
	s_delay_alu instid0(SALU_CYCLE_1)
	v_dual_mov_b32 v4, s6 :: v_dual_lshlrev_b32 v3, 2, v0
	global_load_b32 v3, v3, s[4:5] offset:1024
	s_waitcnt vmcnt(0)
	v_cmp_ne_u32_e32 vcc_lo, 0, v3
	v_cndmask_b32_e64 v3, 0, 1, vcc_lo
.LBB183_306:
	s_or_b32 exec_lo, exec_lo, s3
	v_mov_b32_e32 v7, 0
	v_or_b32_e32 v9, 0x180, v0
	v_mov_b32_e32 v8, 0
	s_delay_alu instid0(VALU_DEP_2) | instskip(NEXT) | instid1(VALU_DEP_2)
	v_cmp_gt_u32_e32 vcc_lo, s2, v9
	v_dual_mov_b32 v10, v8 :: v_dual_mov_b32 v9, v7
	s_and_saveexec_b32 s3, vcc_lo
	s_cbranch_execz .LBB183_308
; %bb.307:
	s_mov_b32 s6, 0
	s_delay_alu instid0(SALU_CYCLE_1)
	v_dual_mov_b32 v10, s6 :: v_dual_lshlrev_b32 v9, 2, v0
	global_load_b32 v9, v9, s[4:5] offset:1536
	s_waitcnt vmcnt(0)
	v_cmp_ne_u32_e32 vcc_lo, 0, v9
	v_cndmask_b32_e64 v9, 0, 1, vcc_lo
.LBB183_308:
	s_or_b32 exec_lo, exec_lo, s3
	v_or_b32_e32 v11, 0x200, v0
	s_mov_b32 s3, exec_lo
	s_delay_alu instid0(VALU_DEP_1)
	v_cmpx_gt_u32_e64 s2, v11
	s_cbranch_execz .LBB183_310
; %bb.309:
	s_mov_b32 s6, 0
	s_delay_alu instid0(SALU_CYCLE_1)
	v_dual_mov_b32 v8, s6 :: v_dual_lshlrev_b32 v7, 2, v0
	global_load_b32 v7, v7, s[4:5] offset:2048
	s_waitcnt vmcnt(0)
	v_cmp_ne_u32_e32 vcc_lo, 0, v7
	v_cndmask_b32_e64 v7, 0, 1, vcc_lo
.LBB183_310:
	s_or_b32 exec_lo, exec_lo, s3
	;; [unrolled: 33-line block ×3, first 2 shown]
	v_mov_b32_e32 v15, 0
	v_or_b32_e32 v17, 0x380, v0
	v_mov_b32_e32 v16, 0
	s_delay_alu instid0(VALU_DEP_2) | instskip(NEXT) | instid1(VALU_DEP_2)
	v_cmp_gt_u32_e32 vcc_lo, s2, v17
	v_dual_mov_b32 v18, v16 :: v_dual_mov_b32 v17, v15
	s_and_saveexec_b32 s3, vcc_lo
	s_cbranch_execz .LBB183_316
; %bb.315:
	s_mov_b32 s6, 0
	s_delay_alu instid0(SALU_CYCLE_1)
	v_dual_mov_b32 v18, s6 :: v_dual_lshlrev_b32 v17, 2, v0
	global_load_b32 v17, v17, s[4:5] offset:3584
	s_waitcnt vmcnt(0)
	v_cmp_ne_u32_e32 vcc_lo, 0, v17
	v_cndmask_b32_e64 v17, 0, 1, vcc_lo
.LBB183_316:
	s_or_b32 exec_lo, exec_lo, s3
	v_or_b32_e32 v19, 0x400, v0
	s_mov_b32 s3, exec_lo
	s_delay_alu instid0(VALU_DEP_1)
	v_cmpx_gt_u32_e64 s2, v19
	s_cbranch_execz .LBB183_318
; %bb.317:
	s_mov_b32 s6, 0
	s_delay_alu instid0(SALU_CYCLE_1)
	v_dual_mov_b32 v16, s6 :: v_dual_lshlrev_b32 v15, 2, v19
	global_load_b32 v15, v15, s[4:5]
	s_waitcnt vmcnt(0)
	v_cmp_ne_u32_e32 vcc_lo, 0, v15
	v_cndmask_b32_e64 v15, 0, 1, vcc_lo
.LBB183_318:
	s_or_b32 exec_lo, exec_lo, s3
	v_mov_b32_e32 v19, 0
	v_mov_b32_e32 v20, 0
	v_or_b32_e32 v23, 0x480, v0
	s_mov_b32 s3, exec_lo
	s_delay_alu instid0(VALU_DEP_2) | instskip(NEXT) | instid1(VALU_DEP_2)
	v_dual_mov_b32 v22, v20 :: v_dual_mov_b32 v21, v19
	v_cmpx_gt_u32_e64 s2, v23
	s_cbranch_execz .LBB183_320
; %bb.319:
	s_mov_b32 s6, 0
	s_delay_alu instid0(SALU_CYCLE_1)
	v_dual_mov_b32 v22, s6 :: v_dual_lshlrev_b32 v21, 2, v23
	global_load_b32 v21, v21, s[4:5]
	s_waitcnt vmcnt(0)
	v_cmp_ne_u32_e32 vcc_lo, 0, v21
	v_cndmask_b32_e64 v21, 0, 1, vcc_lo
.LBB183_320:
	s_or_b32 exec_lo, exec_lo, s3
	v_or_b32_e32 v23, 0x500, v0
	s_mov_b32 s3, exec_lo
	s_delay_alu instid0(VALU_DEP_1)
	v_cmpx_gt_u32_e64 s2, v23
	s_cbranch_execz .LBB183_322
; %bb.321:
	s_mov_b32 s6, 0
	s_delay_alu instid0(SALU_CYCLE_1)
	v_dual_mov_b32 v20, s6 :: v_dual_lshlrev_b32 v19, 2, v23
	global_load_b32 v19, v19, s[4:5]
	s_waitcnt vmcnt(0)
	v_cmp_ne_u32_e32 vcc_lo, 0, v19
	v_cndmask_b32_e64 v19, 0, 1, vcc_lo
.LBB183_322:
	s_or_b32 exec_lo, exec_lo, s3
	v_mov_b32_e32 v23, 0
	v_mov_b32_e32 v24, 0
	v_or_b32_e32 v27, 0x580, v0
	s_mov_b32 s3, exec_lo
	s_delay_alu instid0(VALU_DEP_2) | instskip(NEXT) | instid1(VALU_DEP_2)
	v_dual_mov_b32 v26, v24 :: v_dual_mov_b32 v25, v23
	v_cmpx_gt_u32_e64 s2, v27
	s_cbranch_execz .LBB183_324
; %bb.323:
	s_mov_b32 s6, 0
	s_delay_alu instid0(SALU_CYCLE_1)
	v_dual_mov_b32 v26, s6 :: v_dual_lshlrev_b32 v25, 2, v27
	global_load_b32 v25, v25, s[4:5]
	s_waitcnt vmcnt(0)
	v_cmp_ne_u32_e32 vcc_lo, 0, v25
	v_cndmask_b32_e64 v25, 0, 1, vcc_lo
.LBB183_324:
	;; [unrolled: 33-line block ×27, first 2 shown]
	s_or_b32 exec_lo, exec_lo, s3
	v_or_b32_e32 v127, 0x1f00, v0
	s_mov_b32 s3, exec_lo
	s_delay_alu instid0(VALU_DEP_1)
	v_cmpx_gt_u32_e64 s2, v127
	s_cbranch_execz .LBB183_426
; %bb.425:
	s_mov_b32 s6, 0
	s_delay_alu instid0(SALU_CYCLE_1)
	v_dual_mov_b32 v124, s6 :: v_dual_lshlrev_b32 v123, 2, v127
	global_load_b32 v123, v123, s[4:5]
	s_waitcnt vmcnt(0)
	v_cmp_ne_u32_e32 vcc_lo, 0, v123
	v_cndmask_b32_e64 v123, 0, 1, vcc_lo
.LBB183_426:
	s_or_b32 exec_lo, exec_lo, s3
	v_mov_b32_e32 v127, 0
	v_or_b32_e32 v129, 0x1f80, v0
	v_mov_b32_e32 v128, 0
	s_mov_b32 s3, exec_lo
	s_delay_alu instid0(VALU_DEP_2)
	v_cmpx_gt_u32_e64 s2, v129
	s_cbranch_execz .LBB183_428
; %bb.427:
	v_lshlrev_b32_e32 v127, 2, v129
	global_load_b32 v127, v127, s[4:5]
	s_mov_b32 s4, 0
	s_delay_alu instid0(SALU_CYCLE_1)
	v_mov_b32_e32 v128, s4
	s_waitcnt vmcnt(0)
	v_cmp_ne_u32_e32 vcc_lo, 0, v127
	v_cndmask_b32_e64 v127, 0, 1, vcc_lo
.LBB183_428:
	s_or_b32 exec_lo, exec_lo, s3
	v_add_co_u32 v1, vcc_lo, v5, v1
	v_add_co_ci_u32_e32 v2, vcc_lo, v6, v2, vcc_lo
	s_min_u32 s2, s2, 0x80
	s_delay_alu instid0(VALU_DEP_2) | instskip(NEXT) | instid1(VALU_DEP_2)
	v_add_co_u32 v1, vcc_lo, v1, v3
	v_add_co_ci_u32_e32 v2, vcc_lo, v2, v4, vcc_lo
	v_mbcnt_lo_u32_b32 v3, -1, 0
	s_delay_alu instid0(VALU_DEP_3) | instskip(NEXT) | instid1(VALU_DEP_3)
	v_add_co_u32 v1, vcc_lo, v1, v9
	v_add_co_ci_u32_e32 v2, vcc_lo, v2, v10, vcc_lo
	s_delay_alu instid0(VALU_DEP_3) | instskip(NEXT) | instid1(VALU_DEP_3)
	v_add_nc_u32_e32 v5, 1, v3
	v_add_co_u32 v1, vcc_lo, v1, v7
	s_delay_alu instid0(VALU_DEP_3) | instskip(NEXT) | instid1(VALU_DEP_2)
	v_add_co_ci_u32_e32 v2, vcc_lo, v2, v8, vcc_lo
	v_add_co_u32 v1, vcc_lo, v1, v13
	s_delay_alu instid0(VALU_DEP_2) | instskip(NEXT) | instid1(VALU_DEP_2)
	v_add_co_ci_u32_e32 v2, vcc_lo, v2, v14, vcc_lo
	v_add_co_u32 v1, vcc_lo, v1, v11
	s_delay_alu instid0(VALU_DEP_2) | instskip(NEXT) | instid1(VALU_DEP_2)
	;; [unrolled: 3-line block ×56, first 2 shown]
	v_add_co_ci_u32_e32 v2, vcc_lo, v2, v120, vcc_lo
	v_add_co_u32 v1, vcc_lo, v1, v125
	s_delay_alu instid0(VALU_DEP_2) | instskip(SKIP_2) | instid1(VALU_DEP_4)
	v_add_co_ci_u32_e32 v2, vcc_lo, v2, v126, vcc_lo
	v_cmp_ne_u32_e32 vcc_lo, 31, v3
	v_add_co_ci_u32_e32 v4, vcc_lo, 0, v3, vcc_lo
	v_add_co_u32 v1, vcc_lo, v1, v123
	s_delay_alu instid0(VALU_DEP_4) | instskip(NEXT) | instid1(VALU_DEP_2)
	v_add_co_ci_u32_e32 v2, vcc_lo, v2, v124, vcc_lo
	v_add_co_u32 v1, vcc_lo, v1, v127
	s_delay_alu instid0(VALU_DEP_4) | instskip(NEXT) | instid1(VALU_DEP_3)
	v_lshlrev_b32_e32 v4, 2, v4
	v_add_co_ci_u32_e32 v2, vcc_lo, v2, v128, vcc_lo
	ds_bpermute_b32 v7, v4, v1
	ds_bpermute_b32 v6, v4, v2
	v_and_b32_e32 v4, 0x60, v0
	s_delay_alu instid0(VALU_DEP_1) | instskip(NEXT) | instid1(VALU_DEP_1)
	v_sub_nc_u32_e64 v4, s2, v4 clamp
	v_cmp_lt_u32_e32 vcc_lo, v5, v4
	v_mov_b32_e32 v5, v1
	s_and_saveexec_b32 s3, vcc_lo
	s_cbranch_execz .LBB183_430
; %bb.429:
	s_waitcnt lgkmcnt(1)
	v_add_co_u32 v5, vcc_lo, v1, v7
	v_add_co_ci_u32_e32 v2, vcc_lo, 0, v2, vcc_lo
	s_delay_alu instid0(VALU_DEP_2) | instskip(SKIP_1) | instid1(VALU_DEP_2)
	v_add_co_u32 v1, vcc_lo, 0, v5
	s_waitcnt lgkmcnt(0)
	v_add_co_ci_u32_e32 v2, vcc_lo, v6, v2, vcc_lo
.LBB183_430:
	s_or_b32 exec_lo, exec_lo, s3
	v_cmp_gt_u32_e32 vcc_lo, 30, v3
	v_add_nc_u32_e32 v8, 2, v3
	s_mov_b32 s3, exec_lo
	s_waitcnt lgkmcnt(0)
	v_cndmask_b32_e64 v6, 0, 1, vcc_lo
	s_delay_alu instid0(VALU_DEP_1) | instskip(NEXT) | instid1(VALU_DEP_1)
	v_lshlrev_b32_e32 v6, 1, v6
	v_add_lshl_u32 v6, v6, v3, 2
	ds_bpermute_b32 v7, v6, v5
	ds_bpermute_b32 v6, v6, v2
	v_cmpx_lt_u32_e64 v8, v4
	s_cbranch_execz .LBB183_432
; %bb.431:
	s_waitcnt lgkmcnt(1)
	v_add_co_u32 v5, vcc_lo, v1, v7
	v_add_co_ci_u32_e32 v2, vcc_lo, 0, v2, vcc_lo
	s_delay_alu instid0(VALU_DEP_2) | instskip(SKIP_1) | instid1(VALU_DEP_2)
	v_add_co_u32 v1, vcc_lo, 0, v5
	s_waitcnt lgkmcnt(0)
	v_add_co_ci_u32_e32 v2, vcc_lo, v6, v2, vcc_lo
.LBB183_432:
	s_or_b32 exec_lo, exec_lo, s3
	v_cmp_gt_u32_e32 vcc_lo, 28, v3
	v_add_nc_u32_e32 v8, 4, v3
	s_mov_b32 s3, exec_lo
	s_waitcnt lgkmcnt(0)
	v_cndmask_b32_e64 v6, 0, 1, vcc_lo
	s_delay_alu instid0(VALU_DEP_1) | instskip(NEXT) | instid1(VALU_DEP_1)
	v_lshlrev_b32_e32 v6, 2, v6
	v_add_lshl_u32 v6, v6, v3, 2
	ds_bpermute_b32 v7, v6, v5
	ds_bpermute_b32 v6, v6, v2
	v_cmpx_lt_u32_e64 v8, v4
	;; [unrolled: 22-line block ×3, first 2 shown]
	s_cbranch_execz .LBB183_436
; %bb.435:
	s_waitcnt lgkmcnt(1)
	v_add_co_u32 v5, vcc_lo, v1, v7
	v_add_co_ci_u32_e32 v2, vcc_lo, 0, v2, vcc_lo
	s_delay_alu instid0(VALU_DEP_2) | instskip(SKIP_1) | instid1(VALU_DEP_2)
	v_add_co_u32 v1, vcc_lo, 0, v5
	s_waitcnt lgkmcnt(0)
	v_add_co_ci_u32_e32 v2, vcc_lo, v6, v2, vcc_lo
.LBB183_436:
	s_or_b32 exec_lo, exec_lo, s3
	v_cmp_gt_u32_e32 vcc_lo, 16, v3
	s_mov_b32 s3, exec_lo
	s_waitcnt lgkmcnt(0)
	v_cndmask_b32_e64 v6, 0, 1, vcc_lo
	s_delay_alu instid0(VALU_DEP_1) | instskip(NEXT) | instid1(VALU_DEP_1)
	v_lshlrev_b32_e32 v6, 4, v6
	v_add_lshl_u32 v7, v6, v3, 2
	ds_bpermute_b32 v6, v7, v5
	ds_bpermute_b32 v5, v7, v2
	v_add_nc_u32_e32 v7, 16, v3
	s_delay_alu instid0(VALU_DEP_1)
	v_cmpx_lt_u32_e64 v7, v4
	s_cbranch_execz .LBB183_438
; %bb.437:
	s_waitcnt lgkmcnt(1)
	v_add_co_u32 v1, vcc_lo, v1, v6
	v_add_co_ci_u32_e32 v2, vcc_lo, 0, v2, vcc_lo
	s_delay_alu instid0(VALU_DEP_2) | instskip(SKIP_1) | instid1(VALU_DEP_2)
	v_add_co_u32 v1, vcc_lo, v1, 0
	s_waitcnt lgkmcnt(0)
	v_add_co_ci_u32_e32 v2, vcc_lo, v2, v5, vcc_lo
.LBB183_438:
	s_or_b32 exec_lo, exec_lo, s3
	s_delay_alu instid0(SALU_CYCLE_1)
	s_mov_b32 s3, exec_lo
	v_cmpx_eq_u32_e32 0, v3
	s_cbranch_execz .LBB183_440
; %bb.439:
	v_lshrrev_b32_e32 v4, 2, v0
	s_delay_alu instid0(VALU_DEP_1)
	v_and_b32_e32 v4, 24, v4
	ds_store_b64 v4, v[1:2] offset:256
.LBB183_440:
	s_or_b32 exec_lo, exec_lo, s3
	s_delay_alu instid0(SALU_CYCLE_1)
	s_mov_b32 s3, exec_lo
	s_waitcnt lgkmcnt(0)
	s_barrier
	buffer_gl0_inv
	v_cmpx_gt_u32_e32 4, v0
	s_cbranch_execz .LBB183_446
; %bb.441:
	v_lshlrev_b32_e32 v1, 3, v3
	s_add_i32 s2, s2, 31
	s_delay_alu instid0(SALU_CYCLE_1) | instskip(SKIP_2) | instid1(VALU_DEP_1)
	s_lshr_b32 s2, s2, 5
	ds_load_b64 v[1:2], v1 offset:256
	v_and_b32_e32 v4, 3, v3
	v_cmp_ne_u32_e32 vcc_lo, 3, v4
	v_add_co_ci_u32_e32 v5, vcc_lo, 0, v3, vcc_lo
	s_delay_alu instid0(VALU_DEP_1) | instskip(SKIP_4) | instid1(VALU_DEP_1)
	v_lshlrev_b32_e32 v5, 2, v5
	s_waitcnt lgkmcnt(0)
	ds_bpermute_b32 v7, v5, v1
	ds_bpermute_b32 v6, v5, v2
	v_add_nc_u32_e32 v5, 1, v4
	v_cmp_gt_u32_e32 vcc_lo, s2, v5
	v_mov_b32_e32 v5, v1
	s_and_saveexec_b32 s4, vcc_lo
	s_cbranch_execz .LBB183_443
; %bb.442:
	s_waitcnt lgkmcnt(1)
	v_add_co_u32 v5, vcc_lo, v1, v7
	v_add_co_ci_u32_e32 v2, vcc_lo, 0, v2, vcc_lo
	s_delay_alu instid0(VALU_DEP_2) | instskip(SKIP_1) | instid1(VALU_DEP_2)
	v_add_co_u32 v1, vcc_lo, 0, v5
	s_waitcnt lgkmcnt(0)
	v_add_co_ci_u32_e32 v2, vcc_lo, v6, v2, vcc_lo
.LBB183_443:
	s_or_b32 exec_lo, exec_lo, s4
	v_cmp_gt_u32_e32 vcc_lo, 2, v4
	v_add_nc_u32_e32 v4, 2, v4
	s_waitcnt lgkmcnt(0)
	v_cndmask_b32_e64 v6, 0, 1, vcc_lo
	s_delay_alu instid0(VALU_DEP_2) | instskip(NEXT) | instid1(VALU_DEP_2)
	v_cmp_gt_u32_e32 vcc_lo, s2, v4
	v_lshlrev_b32_e32 v6, 1, v6
	s_delay_alu instid0(VALU_DEP_1)
	v_add_lshl_u32 v3, v6, v3, 2
	ds_bpermute_b32 v5, v3, v5
	ds_bpermute_b32 v3, v3, v2
	s_and_saveexec_b32 s2, vcc_lo
	s_cbranch_execz .LBB183_445
; %bb.444:
	s_waitcnt lgkmcnt(1)
	v_add_co_u32 v1, vcc_lo, v1, v5
	v_add_co_ci_u32_e32 v2, vcc_lo, 0, v2, vcc_lo
	s_delay_alu instid0(VALU_DEP_2) | instskip(SKIP_1) | instid1(VALU_DEP_2)
	v_add_co_u32 v1, vcc_lo, v1, 0
	s_waitcnt lgkmcnt(0)
	v_add_co_ci_u32_e32 v2, vcc_lo, v2, v3, vcc_lo
.LBB183_445:
	s_or_b32 exec_lo, exec_lo, s2
.LBB183_446:
	s_delay_alu instid0(SALU_CYCLE_1)
	s_or_b32 exec_lo, exec_lo, s3
.LBB183_447:
	v_cmp_eq_u32_e64 s2, 0, v0
.LBB183_448:
	s_branch .LBB183_605
.LBB183_449:
	s_cmp_gt_i32 s26, 31
	s_cbranch_scc0 .LBB183_458
; %bb.450:
	s_cmp_eq_u32 s26, 32
                                        ; implicit-def: $vgpr1_vgpr2
	s_cbranch_scc0 .LBB183_459
; %bb.451:
	s_mov_b32 s19, 0
	s_lshl_b32 s6, s18, 12
	s_mov_b32 s7, s19
	s_lshr_b64 s[8:9], s[20:21], 12
	s_lshl_b64 s[2:3], s[6:7], 2
	s_delay_alu instid0(SALU_CYCLE_1)
	s_add_u32 s4, s24, s2
	s_addc_u32 s5, s25, s3
	s_cmp_lg_u64 s[8:9], s[18:19]
	s_cbranch_scc0 .LBB183_460
; %bb.452:
	s_waitcnt lgkmcnt(0)
	v_lshlrev_b32_e32 v3, 2, v0
	s_clause 0x5
	global_load_b32 v5, v3, s[4:5]
	global_load_b32 v6, v3, s[4:5] offset:512
	global_load_b32 v7, v3, s[4:5] offset:1024
	;; [unrolled: 1-line block ×5, first 2 shown]
	v_add_co_u32 v11, s2, s4, v3
	s_delay_alu instid0(VALU_DEP_1)
	v_add_co_ci_u32_e64 v12, null, s5, 0, s2
	global_load_b32 v13, v3, s[4:5] offset:3072
	v_add_co_u32 v1, vcc_lo, v11, 0x2000
	v_add_co_ci_u32_e32 v2, vcc_lo, 0, v12, vcc_lo
	s_clause 0x1
	global_load_b32 v14, v3, s[4:5] offset:3584
	global_load_b32 v15, v[1:2], off offset:-4096
	v_add_co_u32 v3, vcc_lo, 0x1000, v11
	v_add_co_ci_u32_e32 v4, vcc_lo, 0, v12, vcc_lo
	s_clause 0x7
	global_load_b32 v16, v[3:4], off offset:512
	global_load_b32 v17, v[3:4], off offset:1024
	;; [unrolled: 1-line block ×7, first 2 shown]
	global_load_b32 v4, v[1:2], off
	v_add_co_u32 v1, vcc_lo, 0x2000, v11
	v_add_co_ci_u32_e32 v2, vcc_lo, 0, v12, vcc_lo
	s_clause 0x6
	global_load_b32 v22, v[1:2], off offset:512
	global_load_b32 v23, v[1:2], off offset:1024
	;; [unrolled: 1-line block ×7, first 2 shown]
	v_add_co_u32 v1, vcc_lo, 0x3000, v11
	v_add_co_ci_u32_e32 v2, vcc_lo, 0, v12, vcc_lo
	s_clause 0x7
	global_load_b32 v11, v[1:2], off
	global_load_b32 v12, v[1:2], off offset:512
	global_load_b32 v29, v[1:2], off offset:1024
	global_load_b32 v30, v[1:2], off offset:1536
	global_load_b32 v31, v[1:2], off offset:2048
	global_load_b32 v32, v[1:2], off offset:2560
	global_load_b32 v33, v[1:2], off offset:3072
	global_load_b32 v1, v[1:2], off offset:3584
	s_waitcnt vmcnt(31)
	v_cmp_ne_u32_e32 vcc_lo, 0, v5
	v_cndmask_b32_e64 v2, 0, 1, vcc_lo
	s_waitcnt vmcnt(30)
	v_cmp_ne_u32_e32 vcc_lo, 0, v6
	v_cndmask_b32_e64 v5, 0, 1, vcc_lo
	s_waitcnt vmcnt(29)
	v_cmp_ne_u32_e32 vcc_lo, 0, v7
	s_delay_alu instid0(VALU_DEP_2)
	v_add_co_u32 v2, s2, v5, v2
	v_cndmask_b32_e64 v6, 0, 1, vcc_lo
	s_waitcnt vmcnt(28)
	v_cmp_ne_u32_e32 vcc_lo, 0, v8
	v_add_co_ci_u32_e64 v7, null, 0, 0, s2
	s_waitcnt vmcnt(27)
	v_cmp_ne_u32_e64 s2, 0, v9
	v_cndmask_b32_e64 v5, 0, 1, vcc_lo
	v_add_co_u32 v2, vcc_lo, v2, v6
	v_add_co_ci_u32_e32 v7, vcc_lo, 0, v7, vcc_lo
	s_delay_alu instid0(VALU_DEP_4) | instskip(NEXT) | instid1(VALU_DEP_3)
	v_cndmask_b32_e64 v6, 0, 1, s2
	v_add_co_u32 v2, vcc_lo, v2, v5
	s_waitcnt vmcnt(26)
	v_cmp_ne_u32_e64 s2, 0, v10
	v_add_co_ci_u32_e32 v7, vcc_lo, 0, v7, vcc_lo
	s_delay_alu instid0(VALU_DEP_3) | instskip(NEXT) | instid1(VALU_DEP_3)
	v_add_co_u32 v2, vcc_lo, v2, v6
	v_cndmask_b32_e64 v5, 0, 1, s2
	s_waitcnt vmcnt(25)
	v_cmp_ne_u32_e64 s2, 0, v13
	v_add_co_ci_u32_e32 v7, vcc_lo, 0, v7, vcc_lo
	s_delay_alu instid0(VALU_DEP_3) | instskip(NEXT) | instid1(VALU_DEP_3)
	v_add_co_u32 v2, vcc_lo, v2, v5
	v_cndmask_b32_e64 v6, 0, 1, s2
	;; [unrolled: 6-line block ×26, first 2 shown]
	s_waitcnt vmcnt(0)
	v_cmp_ne_u32_e64 s2, 0, v1
	v_add_co_ci_u32_e32 v3, vcc_lo, 0, v5, vcc_lo
	s_delay_alu instid0(VALU_DEP_3) | instskip(SKIP_1) | instid1(VALU_DEP_4)
	v_add_co_u32 v2, vcc_lo, v2, v4
	v_mov_b32_e32 v4, 0
	v_cndmask_b32_e64 v1, 0, 1, s2
	s_delay_alu instid0(VALU_DEP_4) | instskip(SKIP_1) | instid1(VALU_DEP_2)
	v_add_co_ci_u32_e32 v3, vcc_lo, 0, v3, vcc_lo
	s_mov_b32 s2, exec_lo
	v_add_co_u32 v1, vcc_lo, v2, v1
	s_delay_alu instid0(VALU_DEP_2) | instskip(NEXT) | instid1(VALU_DEP_2)
	v_add_co_ci_u32_e32 v2, vcc_lo, 0, v3, vcc_lo
	v_mov_b32_dpp v3, v1 quad_perm:[1,0,3,2] row_mask:0xf bank_mask:0xf
	s_delay_alu instid0(VALU_DEP_1) | instskip(SKIP_1) | instid1(VALU_DEP_4)
	v_add_co_u32 v1, vcc_lo, v1, v3
	v_mov_b32_dpp v3, v4 quad_perm:[1,0,3,2] row_mask:0xf bank_mask:0xf
	v_add_co_ci_u32_e32 v2, vcc_lo, 0, v2, vcc_lo
	s_delay_alu instid0(VALU_DEP_3) | instskip(SKIP_1) | instid1(VALU_DEP_3)
	v_mov_b32_dpp v5, v1 quad_perm:[2,3,0,1] row_mask:0xf bank_mask:0xf
	v_add_co_u32 v1, vcc_lo, 0, v1
	v_add_co_ci_u32_e32 v2, vcc_lo, v3, v2, vcc_lo
	s_delay_alu instid0(VALU_DEP_2) | instskip(NEXT) | instid1(VALU_DEP_2)
	v_add_co_u32 v1, vcc_lo, v1, v5
	v_mov_b32_dpp v3, v2 quad_perm:[2,3,0,1] row_mask:0xf bank_mask:0xf
	v_add_co_ci_u32_e32 v2, vcc_lo, 0, v2, vcc_lo
	s_delay_alu instid0(VALU_DEP_3) | instskip(SKIP_1) | instid1(VALU_DEP_3)
	v_mov_b32_dpp v5, v1 row_ror:4 row_mask:0xf bank_mask:0xf
	v_add_co_u32 v1, vcc_lo, v1, 0
	v_add_co_ci_u32_e32 v2, vcc_lo, v2, v3, vcc_lo
	s_delay_alu instid0(VALU_DEP_2) | instskip(NEXT) | instid1(VALU_DEP_2)
	v_add_co_u32 v1, vcc_lo, v1, v5
	v_mov_b32_dpp v3, v2 row_ror:4 row_mask:0xf bank_mask:0xf
	v_add_co_ci_u32_e32 v2, vcc_lo, 0, v2, vcc_lo
	s_delay_alu instid0(VALU_DEP_3) | instskip(SKIP_1) | instid1(VALU_DEP_3)
	v_mov_b32_dpp v5, v1 row_ror:8 row_mask:0xf bank_mask:0xf
	v_add_co_u32 v1, vcc_lo, v1, 0
	v_add_co_ci_u32_e32 v2, vcc_lo, v2, v3, vcc_lo
	s_delay_alu instid0(VALU_DEP_2) | instskip(NEXT) | instid1(VALU_DEP_2)
	v_add_co_u32 v1, vcc_lo, v1, v5
	v_mov_b32_dpp v3, v2 row_ror:8 row_mask:0xf bank_mask:0xf
	v_add_co_ci_u32_e32 v2, vcc_lo, 0, v2, vcc_lo
	ds_swizzle_b32 v5, v1 offset:swizzle(BROADCAST,32,15)
	v_add_co_u32 v1, vcc_lo, v1, 0
	v_add_co_ci_u32_e32 v2, vcc_lo, v2, v3, vcc_lo
	ds_swizzle_b32 v3, v2 offset:swizzle(BROADCAST,32,15)
	s_waitcnt lgkmcnt(1)
	v_add_co_u32 v1, vcc_lo, v1, v5
	v_add_co_ci_u32_e32 v2, vcc_lo, 0, v2, vcc_lo
	ds_bpermute_b32 v1, v4, v1 offset:124
	s_waitcnt lgkmcnt(1)
	v_add_nc_u32_e32 v2, v3, v2
	v_mbcnt_lo_u32_b32 v3, -1, 0
	ds_bpermute_b32 v2, v4, v2 offset:124
	v_cmpx_eq_u32_e32 0, v3
	s_cbranch_execz .LBB183_454
; %bb.453:
	v_lshrrev_b32_e32 v4, 2, v0
	s_delay_alu instid0(VALU_DEP_1)
	v_and_b32_e32 v4, 24, v4
	s_waitcnt lgkmcnt(0)
	ds_store_b64 v4, v[1:2] offset:128
.LBB183_454:
	s_or_b32 exec_lo, exec_lo, s2
	s_delay_alu instid0(SALU_CYCLE_1)
	s_mov_b32 s2, exec_lo
	s_waitcnt lgkmcnt(0)
	s_barrier
	buffer_gl0_inv
	v_cmpx_gt_u32_e32 32, v0
	s_cbranch_execz .LBB183_456
; %bb.455:
	v_and_b32_e32 v4, 3, v3
	s_delay_alu instid0(VALU_DEP_1) | instskip(SKIP_4) | instid1(VALU_DEP_2)
	v_lshlrev_b32_e32 v1, 3, v4
	v_cmp_ne_u32_e32 vcc_lo, 3, v4
	ds_load_b64 v[1:2], v1 offset:128
	v_add_co_ci_u32_e32 v5, vcc_lo, 0, v3, vcc_lo
	v_cmp_gt_u32_e32 vcc_lo, 2, v4
	v_lshlrev_b32_e32 v5, 2, v5
	v_cndmask_b32_e64 v4, 0, 1, vcc_lo
	s_delay_alu instid0(VALU_DEP_1) | instskip(NEXT) | instid1(VALU_DEP_1)
	v_lshlrev_b32_e32 v4, 1, v4
	v_add_lshl_u32 v3, v4, v3, 2
	s_waitcnt lgkmcnt(0)
	ds_bpermute_b32 v6, v5, v1
	ds_bpermute_b32 v5, v5, v2
	s_waitcnt lgkmcnt(1)
	v_add_co_u32 v1, vcc_lo, v1, v6
	v_add_co_ci_u32_e32 v2, vcc_lo, 0, v2, vcc_lo
	ds_bpermute_b32 v4, v3, v1
	v_add_co_u32 v1, vcc_lo, 0, v1
	s_waitcnt lgkmcnt(1)
	v_add_co_ci_u32_e32 v2, vcc_lo, v5, v2, vcc_lo
	ds_bpermute_b32 v3, v3, v2
	s_waitcnt lgkmcnt(1)
	v_add_co_u32 v1, vcc_lo, v1, v4
	v_add_co_ci_u32_e32 v2, vcc_lo, 0, v2, vcc_lo
	s_delay_alu instid0(VALU_DEP_2) | instskip(SKIP_1) | instid1(VALU_DEP_2)
	v_add_co_u32 v1, vcc_lo, v1, 0
	s_waitcnt lgkmcnt(0)
	v_add_co_ci_u32_e32 v2, vcc_lo, v2, v3, vcc_lo
.LBB183_456:
	s_or_b32 exec_lo, exec_lo, s2
.LBB183_457:
	v_cmp_eq_u32_e64 s2, 0, v0
	s_branch .LBB183_605
.LBB183_458:
                                        ; implicit-def: $vgpr1_vgpr2
	s_cbranch_execnz .LBB183_544
	s_branch .LBB183_605
.LBB183_459:
	s_branch .LBB183_605
.LBB183_460:
                                        ; implicit-def: $vgpr1_vgpr2
	s_cbranch_execz .LBB183_457
; %bb.461:
	s_sub_i32 s2, s20, s6
	s_mov_b32 s3, exec_lo
                                        ; implicit-def: $vgpr1_vgpr2
	v_cmpx_gt_u32_e64 s2, v0
	s_cbranch_execz .LBB183_463
; %bb.462:
	s_mov_b32 s6, 0
	s_delay_alu instid0(SALU_CYCLE_1)
	v_dual_mov_b32 v2, s6 :: v_dual_lshlrev_b32 v1, 2, v0
	global_load_b32 v1, v1, s[4:5]
	s_waitcnt vmcnt(0)
	v_cmp_ne_u32_e32 vcc_lo, 0, v1
	v_cndmask_b32_e64 v1, 0, 1, vcc_lo
.LBB183_463:
	s_or_b32 exec_lo, exec_lo, s3
	s_waitcnt lgkmcnt(0)
	v_mov_b32_e32 v3, 0
	v_or_b32_e32 v5, 0x80, v0
	v_mov_b32_e32 v4, 0
	s_delay_alu instid0(VALU_DEP_2) | instskip(NEXT) | instid1(VALU_DEP_2)
	v_cmp_gt_u32_e32 vcc_lo, s2, v5
	v_dual_mov_b32 v6, v4 :: v_dual_mov_b32 v5, v3
	s_and_saveexec_b32 s3, vcc_lo
	s_cbranch_execz .LBB183_465
; %bb.464:
	s_mov_b32 s6, 0
	s_delay_alu instid0(SALU_CYCLE_1)
	v_dual_mov_b32 v6, s6 :: v_dual_lshlrev_b32 v5, 2, v0
	global_load_b32 v5, v5, s[4:5] offset:512
	s_waitcnt vmcnt(0)
	v_cmp_ne_u32_e32 vcc_lo, 0, v5
	v_cndmask_b32_e64 v5, 0, 1, vcc_lo
.LBB183_465:
	s_or_b32 exec_lo, exec_lo, s3
	v_or_b32_e32 v7, 0x100, v0
	s_mov_b32 s3, exec_lo
	s_delay_alu instid0(VALU_DEP_1)
	v_cmpx_gt_u32_e64 s2, v7
	s_cbranch_execz .LBB183_467
; %bb.466:
	s_mov_b32 s6, 0
	s_delay_alu instid0(SALU_CYCLE_1)
	v_dual_mov_b32 v4, s6 :: v_dual_lshlrev_b32 v3, 2, v0
	global_load_b32 v3, v3, s[4:5] offset:1024
	s_waitcnt vmcnt(0)
	v_cmp_ne_u32_e32 vcc_lo, 0, v3
	v_cndmask_b32_e64 v3, 0, 1, vcc_lo
.LBB183_467:
	s_or_b32 exec_lo, exec_lo, s3
	v_mov_b32_e32 v7, 0
	v_or_b32_e32 v9, 0x180, v0
	v_mov_b32_e32 v8, 0
	s_delay_alu instid0(VALU_DEP_2) | instskip(NEXT) | instid1(VALU_DEP_2)
	v_cmp_gt_u32_e32 vcc_lo, s2, v9
	v_dual_mov_b32 v10, v8 :: v_dual_mov_b32 v9, v7
	s_and_saveexec_b32 s3, vcc_lo
	s_cbranch_execz .LBB183_469
; %bb.468:
	s_mov_b32 s6, 0
	s_delay_alu instid0(SALU_CYCLE_1)
	v_dual_mov_b32 v10, s6 :: v_dual_lshlrev_b32 v9, 2, v0
	global_load_b32 v9, v9, s[4:5] offset:1536
	s_waitcnt vmcnt(0)
	v_cmp_ne_u32_e32 vcc_lo, 0, v9
	v_cndmask_b32_e64 v9, 0, 1, vcc_lo
.LBB183_469:
	s_or_b32 exec_lo, exec_lo, s3
	v_or_b32_e32 v11, 0x200, v0
	s_mov_b32 s3, exec_lo
	s_delay_alu instid0(VALU_DEP_1)
	v_cmpx_gt_u32_e64 s2, v11
	s_cbranch_execz .LBB183_471
; %bb.470:
	s_mov_b32 s6, 0
	s_delay_alu instid0(SALU_CYCLE_1)
	v_dual_mov_b32 v8, s6 :: v_dual_lshlrev_b32 v7, 2, v0
	global_load_b32 v7, v7, s[4:5] offset:2048
	s_waitcnt vmcnt(0)
	v_cmp_ne_u32_e32 vcc_lo, 0, v7
	v_cndmask_b32_e64 v7, 0, 1, vcc_lo
.LBB183_471:
	s_or_b32 exec_lo, exec_lo, s3
	;; [unrolled: 33-line block ×3, first 2 shown]
	v_mov_b32_e32 v15, 0
	v_or_b32_e32 v17, 0x380, v0
	v_mov_b32_e32 v16, 0
	s_delay_alu instid0(VALU_DEP_2) | instskip(NEXT) | instid1(VALU_DEP_2)
	v_cmp_gt_u32_e32 vcc_lo, s2, v17
	v_dual_mov_b32 v18, v16 :: v_dual_mov_b32 v17, v15
	s_and_saveexec_b32 s3, vcc_lo
	s_cbranch_execz .LBB183_477
; %bb.476:
	s_mov_b32 s6, 0
	s_delay_alu instid0(SALU_CYCLE_1)
	v_dual_mov_b32 v18, s6 :: v_dual_lshlrev_b32 v17, 2, v0
	global_load_b32 v17, v17, s[4:5] offset:3584
	s_waitcnt vmcnt(0)
	v_cmp_ne_u32_e32 vcc_lo, 0, v17
	v_cndmask_b32_e64 v17, 0, 1, vcc_lo
.LBB183_477:
	s_or_b32 exec_lo, exec_lo, s3
	v_or_b32_e32 v19, 0x400, v0
	s_mov_b32 s3, exec_lo
	s_delay_alu instid0(VALU_DEP_1)
	v_cmpx_gt_u32_e64 s2, v19
	s_cbranch_execz .LBB183_479
; %bb.478:
	s_mov_b32 s6, 0
	s_delay_alu instid0(SALU_CYCLE_1)
	v_dual_mov_b32 v16, s6 :: v_dual_lshlrev_b32 v15, 2, v19
	global_load_b32 v15, v15, s[4:5]
	s_waitcnt vmcnt(0)
	v_cmp_ne_u32_e32 vcc_lo, 0, v15
	v_cndmask_b32_e64 v15, 0, 1, vcc_lo
.LBB183_479:
	s_or_b32 exec_lo, exec_lo, s3
	v_mov_b32_e32 v19, 0
	v_mov_b32_e32 v20, 0
	v_or_b32_e32 v23, 0x480, v0
	s_mov_b32 s3, exec_lo
	s_delay_alu instid0(VALU_DEP_2) | instskip(NEXT) | instid1(VALU_DEP_2)
	v_dual_mov_b32 v22, v20 :: v_dual_mov_b32 v21, v19
	v_cmpx_gt_u32_e64 s2, v23
	s_cbranch_execz .LBB183_481
; %bb.480:
	s_mov_b32 s6, 0
	s_delay_alu instid0(SALU_CYCLE_1)
	v_dual_mov_b32 v22, s6 :: v_dual_lshlrev_b32 v21, 2, v23
	global_load_b32 v21, v21, s[4:5]
	s_waitcnt vmcnt(0)
	v_cmp_ne_u32_e32 vcc_lo, 0, v21
	v_cndmask_b32_e64 v21, 0, 1, vcc_lo
.LBB183_481:
	s_or_b32 exec_lo, exec_lo, s3
	v_or_b32_e32 v23, 0x500, v0
	s_mov_b32 s3, exec_lo
	s_delay_alu instid0(VALU_DEP_1)
	v_cmpx_gt_u32_e64 s2, v23
	s_cbranch_execz .LBB183_483
; %bb.482:
	s_mov_b32 s6, 0
	s_delay_alu instid0(SALU_CYCLE_1)
	v_dual_mov_b32 v20, s6 :: v_dual_lshlrev_b32 v19, 2, v23
	global_load_b32 v19, v19, s[4:5]
	s_waitcnt vmcnt(0)
	v_cmp_ne_u32_e32 vcc_lo, 0, v19
	v_cndmask_b32_e64 v19, 0, 1, vcc_lo
.LBB183_483:
	s_or_b32 exec_lo, exec_lo, s3
	v_mov_b32_e32 v23, 0
	v_mov_b32_e32 v24, 0
	v_or_b32_e32 v27, 0x580, v0
	s_mov_b32 s3, exec_lo
	s_delay_alu instid0(VALU_DEP_2) | instskip(NEXT) | instid1(VALU_DEP_2)
	v_dual_mov_b32 v26, v24 :: v_dual_mov_b32 v25, v23
	v_cmpx_gt_u32_e64 s2, v27
	s_cbranch_execz .LBB183_485
; %bb.484:
	s_mov_b32 s6, 0
	s_delay_alu instid0(SALU_CYCLE_1)
	v_dual_mov_b32 v26, s6 :: v_dual_lshlrev_b32 v25, 2, v27
	global_load_b32 v25, v25, s[4:5]
	s_waitcnt vmcnt(0)
	v_cmp_ne_u32_e32 vcc_lo, 0, v25
	v_cndmask_b32_e64 v25, 0, 1, vcc_lo
.LBB183_485:
	;; [unrolled: 33-line block ×11, first 2 shown]
	s_or_b32 exec_lo, exec_lo, s3
	v_or_b32_e32 v63, 0xf00, v0
	s_mov_b32 s3, exec_lo
	s_delay_alu instid0(VALU_DEP_1)
	v_cmpx_gt_u32_e64 s2, v63
	s_cbranch_execz .LBB183_523
; %bb.522:
	s_mov_b32 s6, 0
	s_delay_alu instid0(SALU_CYCLE_1)
	v_dual_mov_b32 v60, s6 :: v_dual_lshlrev_b32 v59, 2, v63
	global_load_b32 v59, v59, s[4:5]
	s_waitcnt vmcnt(0)
	v_cmp_ne_u32_e32 vcc_lo, 0, v59
	v_cndmask_b32_e64 v59, 0, 1, vcc_lo
.LBB183_523:
	s_or_b32 exec_lo, exec_lo, s3
	v_mov_b32_e32 v63, 0
	v_or_b32_e32 v65, 0xf80, v0
	v_mov_b32_e32 v64, 0
	s_mov_b32 s3, exec_lo
	s_delay_alu instid0(VALU_DEP_2)
	v_cmpx_gt_u32_e64 s2, v65
	s_cbranch_execz .LBB183_525
; %bb.524:
	v_lshlrev_b32_e32 v63, 2, v65
	global_load_b32 v63, v63, s[4:5]
	s_mov_b32 s4, 0
	s_delay_alu instid0(SALU_CYCLE_1)
	v_mov_b32_e32 v64, s4
	s_waitcnt vmcnt(0)
	v_cmp_ne_u32_e32 vcc_lo, 0, v63
	v_cndmask_b32_e64 v63, 0, 1, vcc_lo
.LBB183_525:
	s_or_b32 exec_lo, exec_lo, s3
	v_add_co_u32 v1, vcc_lo, v5, v1
	v_add_co_ci_u32_e32 v2, vcc_lo, v6, v2, vcc_lo
	s_min_u32 s2, s2, 0x80
	s_delay_alu instid0(VALU_DEP_2) | instskip(NEXT) | instid1(VALU_DEP_2)
	v_add_co_u32 v1, vcc_lo, v1, v3
	v_add_co_ci_u32_e32 v2, vcc_lo, v2, v4, vcc_lo
	v_mbcnt_lo_u32_b32 v3, -1, 0
	s_delay_alu instid0(VALU_DEP_3) | instskip(NEXT) | instid1(VALU_DEP_3)
	v_add_co_u32 v1, vcc_lo, v1, v9
	v_add_co_ci_u32_e32 v2, vcc_lo, v2, v10, vcc_lo
	s_delay_alu instid0(VALU_DEP_3) | instskip(NEXT) | instid1(VALU_DEP_3)
	v_add_nc_u32_e32 v5, 1, v3
	v_add_co_u32 v1, vcc_lo, v1, v7
	s_delay_alu instid0(VALU_DEP_3) | instskip(NEXT) | instid1(VALU_DEP_2)
	v_add_co_ci_u32_e32 v2, vcc_lo, v2, v8, vcc_lo
	v_add_co_u32 v1, vcc_lo, v1, v13
	s_delay_alu instid0(VALU_DEP_2) | instskip(NEXT) | instid1(VALU_DEP_2)
	v_add_co_ci_u32_e32 v2, vcc_lo, v2, v14, vcc_lo
	v_add_co_u32 v1, vcc_lo, v1, v11
	s_delay_alu instid0(VALU_DEP_2) | instskip(NEXT) | instid1(VALU_DEP_2)
	;; [unrolled: 3-line block ×24, first 2 shown]
	v_add_co_ci_u32_e32 v2, vcc_lo, v2, v56, vcc_lo
	v_add_co_u32 v1, vcc_lo, v1, v61
	s_delay_alu instid0(VALU_DEP_2) | instskip(SKIP_2) | instid1(VALU_DEP_4)
	v_add_co_ci_u32_e32 v2, vcc_lo, v2, v62, vcc_lo
	v_cmp_ne_u32_e32 vcc_lo, 31, v3
	v_add_co_ci_u32_e32 v4, vcc_lo, 0, v3, vcc_lo
	v_add_co_u32 v1, vcc_lo, v1, v59
	s_delay_alu instid0(VALU_DEP_4) | instskip(NEXT) | instid1(VALU_DEP_2)
	v_add_co_ci_u32_e32 v2, vcc_lo, v2, v60, vcc_lo
	v_add_co_u32 v1, vcc_lo, v1, v63
	s_delay_alu instid0(VALU_DEP_4) | instskip(NEXT) | instid1(VALU_DEP_3)
	v_lshlrev_b32_e32 v4, 2, v4
	v_add_co_ci_u32_e32 v2, vcc_lo, v2, v64, vcc_lo
	ds_bpermute_b32 v7, v4, v1
	ds_bpermute_b32 v6, v4, v2
	v_and_b32_e32 v4, 0x60, v0
	s_delay_alu instid0(VALU_DEP_1) | instskip(NEXT) | instid1(VALU_DEP_1)
	v_sub_nc_u32_e64 v4, s2, v4 clamp
	v_cmp_lt_u32_e32 vcc_lo, v5, v4
	v_mov_b32_e32 v5, v1
	s_and_saveexec_b32 s3, vcc_lo
	s_cbranch_execz .LBB183_527
; %bb.526:
	s_waitcnt lgkmcnt(1)
	v_add_co_u32 v5, vcc_lo, v1, v7
	v_add_co_ci_u32_e32 v2, vcc_lo, 0, v2, vcc_lo
	s_delay_alu instid0(VALU_DEP_2) | instskip(SKIP_1) | instid1(VALU_DEP_2)
	v_add_co_u32 v1, vcc_lo, 0, v5
	s_waitcnt lgkmcnt(0)
	v_add_co_ci_u32_e32 v2, vcc_lo, v6, v2, vcc_lo
.LBB183_527:
	s_or_b32 exec_lo, exec_lo, s3
	v_cmp_gt_u32_e32 vcc_lo, 30, v3
	v_add_nc_u32_e32 v8, 2, v3
	s_mov_b32 s3, exec_lo
	s_waitcnt lgkmcnt(0)
	v_cndmask_b32_e64 v6, 0, 1, vcc_lo
	s_delay_alu instid0(VALU_DEP_1) | instskip(NEXT) | instid1(VALU_DEP_1)
	v_lshlrev_b32_e32 v6, 1, v6
	v_add_lshl_u32 v6, v6, v3, 2
	ds_bpermute_b32 v7, v6, v5
	ds_bpermute_b32 v6, v6, v2
	v_cmpx_lt_u32_e64 v8, v4
	s_cbranch_execz .LBB183_529
; %bb.528:
	s_waitcnt lgkmcnt(1)
	v_add_co_u32 v5, vcc_lo, v1, v7
	v_add_co_ci_u32_e32 v2, vcc_lo, 0, v2, vcc_lo
	s_delay_alu instid0(VALU_DEP_2) | instskip(SKIP_1) | instid1(VALU_DEP_2)
	v_add_co_u32 v1, vcc_lo, 0, v5
	s_waitcnt lgkmcnt(0)
	v_add_co_ci_u32_e32 v2, vcc_lo, v6, v2, vcc_lo
.LBB183_529:
	s_or_b32 exec_lo, exec_lo, s3
	v_cmp_gt_u32_e32 vcc_lo, 28, v3
	v_add_nc_u32_e32 v8, 4, v3
	s_mov_b32 s3, exec_lo
	s_waitcnt lgkmcnt(0)
	v_cndmask_b32_e64 v6, 0, 1, vcc_lo
	s_delay_alu instid0(VALU_DEP_1) | instskip(NEXT) | instid1(VALU_DEP_1)
	v_lshlrev_b32_e32 v6, 2, v6
	v_add_lshl_u32 v6, v6, v3, 2
	ds_bpermute_b32 v7, v6, v5
	ds_bpermute_b32 v6, v6, v2
	v_cmpx_lt_u32_e64 v8, v4
	;; [unrolled: 22-line block ×3, first 2 shown]
	s_cbranch_execz .LBB183_533
; %bb.532:
	s_waitcnt lgkmcnt(1)
	v_add_co_u32 v5, vcc_lo, v1, v7
	v_add_co_ci_u32_e32 v2, vcc_lo, 0, v2, vcc_lo
	s_delay_alu instid0(VALU_DEP_2) | instskip(SKIP_1) | instid1(VALU_DEP_2)
	v_add_co_u32 v1, vcc_lo, 0, v5
	s_waitcnt lgkmcnt(0)
	v_add_co_ci_u32_e32 v2, vcc_lo, v6, v2, vcc_lo
.LBB183_533:
	s_or_b32 exec_lo, exec_lo, s3
	v_cmp_gt_u32_e32 vcc_lo, 16, v3
	s_mov_b32 s3, exec_lo
	s_waitcnt lgkmcnt(0)
	v_cndmask_b32_e64 v6, 0, 1, vcc_lo
	s_delay_alu instid0(VALU_DEP_1) | instskip(NEXT) | instid1(VALU_DEP_1)
	v_lshlrev_b32_e32 v6, 4, v6
	v_add_lshl_u32 v7, v6, v3, 2
	ds_bpermute_b32 v6, v7, v5
	ds_bpermute_b32 v5, v7, v2
	v_add_nc_u32_e32 v7, 16, v3
	s_delay_alu instid0(VALU_DEP_1)
	v_cmpx_lt_u32_e64 v7, v4
	s_cbranch_execz .LBB183_535
; %bb.534:
	s_waitcnt lgkmcnt(1)
	v_add_co_u32 v1, vcc_lo, v1, v6
	v_add_co_ci_u32_e32 v2, vcc_lo, 0, v2, vcc_lo
	s_delay_alu instid0(VALU_DEP_2) | instskip(SKIP_1) | instid1(VALU_DEP_2)
	v_add_co_u32 v1, vcc_lo, v1, 0
	s_waitcnt lgkmcnt(0)
	v_add_co_ci_u32_e32 v2, vcc_lo, v2, v5, vcc_lo
.LBB183_535:
	s_or_b32 exec_lo, exec_lo, s3
	s_delay_alu instid0(SALU_CYCLE_1)
	s_mov_b32 s3, exec_lo
	v_cmpx_eq_u32_e32 0, v3
	s_cbranch_execz .LBB183_537
; %bb.536:
	v_lshrrev_b32_e32 v4, 2, v0
	s_delay_alu instid0(VALU_DEP_1)
	v_and_b32_e32 v4, 24, v4
	ds_store_b64 v4, v[1:2] offset:256
.LBB183_537:
	s_or_b32 exec_lo, exec_lo, s3
	s_delay_alu instid0(SALU_CYCLE_1)
	s_mov_b32 s3, exec_lo
	s_waitcnt lgkmcnt(0)
	s_barrier
	buffer_gl0_inv
	v_cmpx_gt_u32_e32 4, v0
	s_cbranch_execz .LBB183_543
; %bb.538:
	v_lshlrev_b32_e32 v1, 3, v3
	s_add_i32 s2, s2, 31
	s_delay_alu instid0(SALU_CYCLE_1) | instskip(SKIP_2) | instid1(VALU_DEP_1)
	s_lshr_b32 s2, s2, 5
	ds_load_b64 v[1:2], v1 offset:256
	v_and_b32_e32 v4, 3, v3
	v_cmp_ne_u32_e32 vcc_lo, 3, v4
	v_add_co_ci_u32_e32 v5, vcc_lo, 0, v3, vcc_lo
	s_delay_alu instid0(VALU_DEP_1) | instskip(SKIP_4) | instid1(VALU_DEP_1)
	v_lshlrev_b32_e32 v5, 2, v5
	s_waitcnt lgkmcnt(0)
	ds_bpermute_b32 v7, v5, v1
	ds_bpermute_b32 v6, v5, v2
	v_add_nc_u32_e32 v5, 1, v4
	v_cmp_gt_u32_e32 vcc_lo, s2, v5
	v_mov_b32_e32 v5, v1
	s_and_saveexec_b32 s4, vcc_lo
	s_cbranch_execz .LBB183_540
; %bb.539:
	s_waitcnt lgkmcnt(1)
	v_add_co_u32 v5, vcc_lo, v1, v7
	v_add_co_ci_u32_e32 v2, vcc_lo, 0, v2, vcc_lo
	s_delay_alu instid0(VALU_DEP_2) | instskip(SKIP_1) | instid1(VALU_DEP_2)
	v_add_co_u32 v1, vcc_lo, 0, v5
	s_waitcnt lgkmcnt(0)
	v_add_co_ci_u32_e32 v2, vcc_lo, v6, v2, vcc_lo
.LBB183_540:
	s_or_b32 exec_lo, exec_lo, s4
	v_cmp_gt_u32_e32 vcc_lo, 2, v4
	v_add_nc_u32_e32 v4, 2, v4
	s_waitcnt lgkmcnt(0)
	v_cndmask_b32_e64 v6, 0, 1, vcc_lo
	s_delay_alu instid0(VALU_DEP_2) | instskip(NEXT) | instid1(VALU_DEP_2)
	v_cmp_gt_u32_e32 vcc_lo, s2, v4
	v_lshlrev_b32_e32 v6, 1, v6
	s_delay_alu instid0(VALU_DEP_1)
	v_add_lshl_u32 v3, v6, v3, 2
	ds_bpermute_b32 v5, v3, v5
	ds_bpermute_b32 v3, v3, v2
	s_and_saveexec_b32 s2, vcc_lo
	s_cbranch_execz .LBB183_542
; %bb.541:
	s_waitcnt lgkmcnt(1)
	v_add_co_u32 v1, vcc_lo, v1, v5
	v_add_co_ci_u32_e32 v2, vcc_lo, 0, v2, vcc_lo
	s_delay_alu instid0(VALU_DEP_2) | instskip(SKIP_1) | instid1(VALU_DEP_2)
	v_add_co_u32 v1, vcc_lo, v1, 0
	s_waitcnt lgkmcnt(0)
	v_add_co_ci_u32_e32 v2, vcc_lo, v2, v3, vcc_lo
.LBB183_542:
	s_or_b32 exec_lo, exec_lo, s2
.LBB183_543:
	s_delay_alu instid0(SALU_CYCLE_1)
	s_or_b32 exec_lo, exec_lo, s3
	v_cmp_eq_u32_e64 s2, 0, v0
	s_branch .LBB183_605
.LBB183_544:
	s_cmp_eq_u32 s26, 16
                                        ; implicit-def: $vgpr1_vgpr2
	s_cbranch_scc0 .LBB183_605
; %bb.545:
	s_mov_b32 s19, 0
	s_lshl_b32 s4, s18, 11
	s_mov_b32 s5, s19
	s_lshr_b64 s[6:7], s[20:21], 11
	s_lshl_b64 s[2:3], s[4:5], 2
	s_delay_alu instid0(SALU_CYCLE_1)
	s_add_u32 s16, s24, s2
	s_addc_u32 s17, s25, s3
	s_cmp_lg_u64 s[6:7], s[18:19]
	s_cbranch_scc0 .LBB183_551
; %bb.546:
	v_lshlrev_b32_e32 v1, 2, v0
	s_waitcnt lgkmcnt(0)
	s_clause 0x6
	global_load_b32 v3, v1, s[16:17]
	global_load_b32 v4, v1, s[16:17] offset:512
	global_load_b32 v5, v1, s[16:17] offset:1024
	;; [unrolled: 1-line block ×6, first 2 shown]
	v_add_co_u32 v2, s2, s16, v1
	global_load_b32 v11, v1, s[16:17] offset:3584
	v_add_co_ci_u32_e64 v10, null, s17, 0, s2
	v_add_co_u32 v1, vcc_lo, 0x1000, v2
	s_delay_alu instid0(VALU_DEP_2)
	v_add_co_ci_u32_e32 v2, vcc_lo, 0, v10, vcc_lo
	s_clause 0x7
	global_load_b32 v10, v[1:2], off
	global_load_b32 v12, v[1:2], off offset:512
	global_load_b32 v13, v[1:2], off offset:1024
	;; [unrolled: 1-line block ×7, first 2 shown]
	s_waitcnt vmcnt(15)
	v_cmp_ne_u32_e32 vcc_lo, 0, v3
	v_cndmask_b32_e64 v2, 0, 1, vcc_lo
	s_waitcnt vmcnt(14)
	v_cmp_ne_u32_e32 vcc_lo, 0, v4
	v_cndmask_b32_e64 v3, 0, 1, vcc_lo
	s_waitcnt vmcnt(13)
	v_cmp_ne_u32_e32 vcc_lo, 0, v5
	s_delay_alu instid0(VALU_DEP_2)
	v_add_co_u32 v2, s2, v3, v2
	v_cndmask_b32_e64 v4, 0, 1, vcc_lo
	s_waitcnt vmcnt(12)
	v_cmp_ne_u32_e32 vcc_lo, 0, v6
	v_add_co_ci_u32_e64 v5, null, 0, 0, s2
	s_waitcnt vmcnt(11)
	v_cmp_ne_u32_e64 s2, 0, v7
	v_cndmask_b32_e64 v3, 0, 1, vcc_lo
	v_add_co_u32 v2, vcc_lo, v2, v4
	v_add_co_ci_u32_e32 v5, vcc_lo, 0, v5, vcc_lo
	s_delay_alu instid0(VALU_DEP_4) | instskip(NEXT) | instid1(VALU_DEP_3)
	v_cndmask_b32_e64 v4, 0, 1, s2
	v_add_co_u32 v2, vcc_lo, v2, v3
	s_waitcnt vmcnt(10)
	v_cmp_ne_u32_e64 s2, 0, v8
	v_add_co_ci_u32_e32 v5, vcc_lo, 0, v5, vcc_lo
	s_delay_alu instid0(VALU_DEP_3) | instskip(NEXT) | instid1(VALU_DEP_3)
	v_add_co_u32 v2, vcc_lo, v2, v4
	v_cndmask_b32_e64 v3, 0, 1, s2
	s_waitcnt vmcnt(9)
	v_cmp_ne_u32_e64 s2, 0, v9
	v_add_co_ci_u32_e32 v5, vcc_lo, 0, v5, vcc_lo
	s_delay_alu instid0(VALU_DEP_3) | instskip(NEXT) | instid1(VALU_DEP_3)
	v_add_co_u32 v2, vcc_lo, v2, v3
	v_cndmask_b32_e64 v4, 0, 1, s2
	;; [unrolled: 6-line block ×10, first 2 shown]
	s_waitcnt vmcnt(0)
	v_cmp_ne_u32_e64 s2, 0, v1
	v_add_co_ci_u32_e32 v3, vcc_lo, 0, v5, vcc_lo
	s_delay_alu instid0(VALU_DEP_3) | instskip(SKIP_1) | instid1(VALU_DEP_4)
	v_add_co_u32 v2, vcc_lo, v2, v4
	v_mov_b32_e32 v4, 0
	v_cndmask_b32_e64 v1, 0, 1, s2
	s_delay_alu instid0(VALU_DEP_4) | instskip(SKIP_1) | instid1(VALU_DEP_2)
	v_add_co_ci_u32_e32 v3, vcc_lo, 0, v3, vcc_lo
	s_mov_b32 s2, exec_lo
	v_add_co_u32 v1, vcc_lo, v2, v1
	s_delay_alu instid0(VALU_DEP_2) | instskip(NEXT) | instid1(VALU_DEP_2)
	v_add_co_ci_u32_e32 v2, vcc_lo, 0, v3, vcc_lo
	v_mov_b32_dpp v3, v1 quad_perm:[1,0,3,2] row_mask:0xf bank_mask:0xf
	s_delay_alu instid0(VALU_DEP_1) | instskip(SKIP_1) | instid1(VALU_DEP_4)
	v_add_co_u32 v1, vcc_lo, v1, v3
	v_mov_b32_dpp v3, v4 quad_perm:[1,0,3,2] row_mask:0xf bank_mask:0xf
	v_add_co_ci_u32_e32 v2, vcc_lo, 0, v2, vcc_lo
	s_delay_alu instid0(VALU_DEP_3) | instskip(SKIP_1) | instid1(VALU_DEP_3)
	v_mov_b32_dpp v5, v1 quad_perm:[2,3,0,1] row_mask:0xf bank_mask:0xf
	v_add_co_u32 v1, vcc_lo, 0, v1
	v_add_co_ci_u32_e32 v2, vcc_lo, v3, v2, vcc_lo
	s_delay_alu instid0(VALU_DEP_2) | instskip(NEXT) | instid1(VALU_DEP_2)
	v_add_co_u32 v1, vcc_lo, v1, v5
	v_mov_b32_dpp v3, v2 quad_perm:[2,3,0,1] row_mask:0xf bank_mask:0xf
	v_add_co_ci_u32_e32 v2, vcc_lo, 0, v2, vcc_lo
	s_delay_alu instid0(VALU_DEP_3) | instskip(SKIP_1) | instid1(VALU_DEP_3)
	v_mov_b32_dpp v5, v1 row_ror:4 row_mask:0xf bank_mask:0xf
	v_add_co_u32 v1, vcc_lo, v1, 0
	v_add_co_ci_u32_e32 v2, vcc_lo, v2, v3, vcc_lo
	s_delay_alu instid0(VALU_DEP_2) | instskip(NEXT) | instid1(VALU_DEP_2)
	v_add_co_u32 v1, vcc_lo, v1, v5
	v_mov_b32_dpp v3, v2 row_ror:4 row_mask:0xf bank_mask:0xf
	v_add_co_ci_u32_e32 v2, vcc_lo, 0, v2, vcc_lo
	s_delay_alu instid0(VALU_DEP_3) | instskip(SKIP_1) | instid1(VALU_DEP_3)
	v_mov_b32_dpp v5, v1 row_ror:8 row_mask:0xf bank_mask:0xf
	v_add_co_u32 v1, vcc_lo, v1, 0
	v_add_co_ci_u32_e32 v2, vcc_lo, v2, v3, vcc_lo
	s_delay_alu instid0(VALU_DEP_2) | instskip(NEXT) | instid1(VALU_DEP_2)
	v_add_co_u32 v1, vcc_lo, v1, v5
	v_mov_b32_dpp v3, v2 row_ror:8 row_mask:0xf bank_mask:0xf
	v_add_co_ci_u32_e32 v2, vcc_lo, 0, v2, vcc_lo
	ds_swizzle_b32 v5, v1 offset:swizzle(BROADCAST,32,15)
	v_add_co_u32 v1, vcc_lo, v1, 0
	v_add_co_ci_u32_e32 v2, vcc_lo, v2, v3, vcc_lo
	ds_swizzle_b32 v3, v2 offset:swizzle(BROADCAST,32,15)
	s_waitcnt lgkmcnt(1)
	v_add_co_u32 v1, vcc_lo, v1, v5
	v_add_co_ci_u32_e32 v2, vcc_lo, 0, v2, vcc_lo
	ds_bpermute_b32 v1, v4, v1 offset:124
	s_waitcnt lgkmcnt(1)
	v_add_nc_u32_e32 v2, v3, v2
	v_mbcnt_lo_u32_b32 v3, -1, 0
	ds_bpermute_b32 v2, v4, v2 offset:124
	v_cmpx_eq_u32_e32 0, v3
	s_cbranch_execz .LBB183_548
; %bb.547:
	v_lshrrev_b32_e32 v4, 2, v0
	s_delay_alu instid0(VALU_DEP_1)
	v_and_b32_e32 v4, 24, v4
	s_waitcnt lgkmcnt(0)
	ds_store_b64 v4, v[1:2] offset:32
.LBB183_548:
	s_or_b32 exec_lo, exec_lo, s2
	s_delay_alu instid0(SALU_CYCLE_1)
	s_mov_b32 s2, exec_lo
	s_waitcnt lgkmcnt(0)
	s_barrier
	buffer_gl0_inv
	v_cmpx_gt_u32_e32 32, v0
	s_cbranch_execz .LBB183_550
; %bb.549:
	v_and_b32_e32 v4, 3, v3
	s_delay_alu instid0(VALU_DEP_1) | instskip(SKIP_4) | instid1(VALU_DEP_2)
	v_lshlrev_b32_e32 v1, 3, v4
	v_cmp_ne_u32_e32 vcc_lo, 3, v4
	ds_load_b64 v[1:2], v1 offset:32
	v_add_co_ci_u32_e32 v5, vcc_lo, 0, v3, vcc_lo
	v_cmp_gt_u32_e32 vcc_lo, 2, v4
	v_lshlrev_b32_e32 v5, 2, v5
	v_cndmask_b32_e64 v4, 0, 1, vcc_lo
	s_delay_alu instid0(VALU_DEP_1) | instskip(NEXT) | instid1(VALU_DEP_1)
	v_lshlrev_b32_e32 v4, 1, v4
	v_add_lshl_u32 v3, v4, v3, 2
	s_waitcnt lgkmcnt(0)
	ds_bpermute_b32 v6, v5, v1
	ds_bpermute_b32 v5, v5, v2
	s_waitcnt lgkmcnt(1)
	v_add_co_u32 v1, vcc_lo, v1, v6
	v_add_co_ci_u32_e32 v2, vcc_lo, 0, v2, vcc_lo
	ds_bpermute_b32 v4, v3, v1
	v_add_co_u32 v1, vcc_lo, 0, v1
	s_waitcnt lgkmcnt(1)
	v_add_co_ci_u32_e32 v2, vcc_lo, v5, v2, vcc_lo
	ds_bpermute_b32 v3, v3, v2
	s_waitcnt lgkmcnt(1)
	v_add_co_u32 v1, vcc_lo, v1, v4
	v_add_co_ci_u32_e32 v2, vcc_lo, 0, v2, vcc_lo
	s_delay_alu instid0(VALU_DEP_2) | instskip(SKIP_1) | instid1(VALU_DEP_2)
	v_add_co_u32 v1, vcc_lo, v1, 0
	s_waitcnt lgkmcnt(0)
	v_add_co_ci_u32_e32 v2, vcc_lo, v2, v3, vcc_lo
.LBB183_550:
	s_or_b32 exec_lo, exec_lo, s2
	s_mov_b32 s2, 0
	s_branch .LBB183_552
.LBB183_551:
	s_mov_b32 s2, -1
                                        ; implicit-def: $vgpr1_vgpr2
.LBB183_552:
	s_delay_alu instid0(SALU_CYCLE_1)
	s_and_b32 vcc_lo, exec_lo, s2
	s_cbranch_vccz .LBB183_604
; %bb.553:
	s_sub_i32 s27, s20, s4
	s_mov_b32 s2, exec_lo
                                        ; implicit-def: $vgpr1_vgpr2_vgpr3_vgpr4_vgpr5_vgpr6_vgpr7_vgpr8_vgpr9_vgpr10_vgpr11_vgpr12_vgpr13_vgpr14_vgpr15_vgpr16_vgpr17_vgpr18_vgpr19_vgpr20_vgpr21_vgpr22_vgpr23_vgpr24_vgpr25_vgpr26_vgpr27_vgpr28_vgpr29_vgpr30_vgpr31_vgpr32
	v_cmpx_gt_u32_e64 s27, v0
	s_cbranch_execz .LBB183_555
; %bb.554:
	v_dual_mov_b32 v2, 0 :: v_dual_lshlrev_b32 v1, 2, v0
	global_load_b32 v1, v1, s[16:17]
	s_waitcnt vmcnt(0)
	v_cmp_ne_u32_e32 vcc_lo, 0, v1
	v_cndmask_b32_e64 v1, 0, 1, vcc_lo
.LBB183_555:
	s_or_b32 exec_lo, exec_lo, s2
	v_or_b32_e32 v33, 0x80, v0
	s_delay_alu instid0(VALU_DEP_1)
	v_cmp_gt_u32_e32 vcc_lo, s27, v33
	s_and_saveexec_b32 s3, vcc_lo
	s_cbranch_execz .LBB183_557
; %bb.556:
	s_waitcnt lgkmcnt(0)
	v_dual_mov_b32 v4, 0 :: v_dual_lshlrev_b32 v3, 2, v0
	global_load_b32 v3, v3, s[16:17] offset:512
	s_waitcnt vmcnt(0)
	v_cmp_ne_u32_e64 s2, 0, v3
	s_delay_alu instid0(VALU_DEP_1)
	v_cndmask_b32_e64 v3, 0, 1, s2
.LBB183_557:
	s_or_b32 exec_lo, exec_lo, s3
	v_or_b32_e32 v33, 0x100, v0
	s_delay_alu instid0(VALU_DEP_1) | instskip(NEXT) | instid1(VALU_DEP_1)
	v_cmp_gt_u32_e64 s2, s27, v33
	s_and_saveexec_b32 s4, s2
	s_cbranch_execz .LBB183_559
; %bb.558:
	s_waitcnt lgkmcnt(1)
	v_dual_mov_b32 v6, 0 :: v_dual_lshlrev_b32 v5, 2, v0
	global_load_b32 v5, v5, s[16:17] offset:1024
	s_waitcnt vmcnt(0)
	v_cmp_ne_u32_e64 s3, 0, v5
	s_delay_alu instid0(VALU_DEP_1)
	v_cndmask_b32_e64 v5, 0, 1, s3
.LBB183_559:
	s_or_b32 exec_lo, exec_lo, s4
	v_or_b32_e32 v33, 0x180, v0
	s_delay_alu instid0(VALU_DEP_1) | instskip(NEXT) | instid1(VALU_DEP_1)
	v_cmp_gt_u32_e64 s3, s27, v33
	s_and_saveexec_b32 s5, s3
	s_cbranch_execz .LBB183_561
; %bb.560:
	v_dual_mov_b32 v8, 0 :: v_dual_lshlrev_b32 v7, 2, v0
	global_load_b32 v7, v7, s[16:17] offset:1536
	s_waitcnt vmcnt(0)
	v_cmp_ne_u32_e64 s4, 0, v7
	s_delay_alu instid0(VALU_DEP_1)
	v_cndmask_b32_e64 v7, 0, 1, s4
.LBB183_561:
	s_or_b32 exec_lo, exec_lo, s5
	v_or_b32_e32 v33, 0x200, v0
	s_delay_alu instid0(VALU_DEP_1) | instskip(NEXT) | instid1(VALU_DEP_1)
	v_cmp_gt_u32_e64 s4, s27, v33
	s_and_saveexec_b32 s6, s4
	s_cbranch_execz .LBB183_563
; %bb.562:
	v_dual_mov_b32 v10, 0 :: v_dual_lshlrev_b32 v9, 2, v0
	global_load_b32 v9, v9, s[16:17] offset:2048
	s_waitcnt vmcnt(0)
	v_cmp_ne_u32_e64 s5, 0, v9
	s_delay_alu instid0(VALU_DEP_1)
	v_cndmask_b32_e64 v9, 0, 1, s5
.LBB183_563:
	;; [unrolled: 14-line block ×5, first 2 shown]
	s_or_b32 exec_lo, exec_lo, s9
	v_or_b32_e32 v33, 0x400, v0
	s_delay_alu instid0(VALU_DEP_1) | instskip(NEXT) | instid1(VALU_DEP_1)
	v_cmp_gt_u32_e64 s8, s27, v33
	s_and_saveexec_b32 s10, s8
	s_cbranch_execz .LBB183_571
; %bb.570:
	v_dual_mov_b32 v18, 0 :: v_dual_lshlrev_b32 v17, 2, v33
	global_load_b32 v17, v17, s[16:17]
	s_waitcnt vmcnt(0)
	v_cmp_ne_u32_e64 s9, 0, v17
	s_delay_alu instid0(VALU_DEP_1)
	v_cndmask_b32_e64 v17, 0, 1, s9
.LBB183_571:
	s_or_b32 exec_lo, exec_lo, s10
	v_or_b32_e32 v33, 0x480, v0
	s_delay_alu instid0(VALU_DEP_1) | instskip(NEXT) | instid1(VALU_DEP_1)
	v_cmp_gt_u32_e64 s9, s27, v33
	s_and_saveexec_b32 s11, s9
	s_cbranch_execz .LBB183_573
; %bb.572:
	v_dual_mov_b32 v20, 0 :: v_dual_lshlrev_b32 v19, 2, v33
	global_load_b32 v19, v19, s[16:17]
	s_waitcnt vmcnt(0)
	v_cmp_ne_u32_e64 s10, 0, v19
	s_delay_alu instid0(VALU_DEP_1)
	v_cndmask_b32_e64 v19, 0, 1, s10
.LBB183_573:
	;; [unrolled: 14-line block ×8, first 2 shown]
	s_or_b32 exec_lo, exec_lo, s28
	s_waitcnt lgkmcnt(0)
	v_dual_cndmask_b32 v3, 0, v3 :: v_dual_cndmask_b32 v4, 0, v4
	v_cndmask_b32_e64 v5, 0, v5, s2
	v_cndmask_b32_e64 v6, 0, v6, s2
	s_min_u32 s2, s27, 0x80
	s_delay_alu instid0(VALU_DEP_3) | instskip(SKIP_2) | instid1(VALU_DEP_3)
	v_add_co_u32 v1, vcc_lo, v3, v1
	v_add_co_ci_u32_e32 v2, vcc_lo, v4, v2, vcc_lo
	v_cndmask_b32_e64 v3, 0, v7, s3
	v_add_co_u32 v1, vcc_lo, v1, v5
	s_delay_alu instid0(VALU_DEP_3) | instskip(SKIP_2) | instid1(VALU_DEP_4)
	v_add_co_ci_u32_e32 v2, vcc_lo, v2, v6, vcc_lo
	v_cndmask_b32_e64 v4, 0, v8, s3
	v_cndmask_b32_e64 v5, 0, v9, s4
	v_add_co_u32 v1, vcc_lo, v1, v3
	v_cndmask_b32_e64 v3, 0, v10, s4
	s_delay_alu instid0(VALU_DEP_4) | instskip(SKIP_1) | instid1(VALU_DEP_4)
	v_add_co_ci_u32_e32 v2, vcc_lo, v2, v4, vcc_lo
	v_cndmask_b32_e64 v4, 0, v11, s5
	v_add_co_u32 v1, vcc_lo, v1, v5
	s_delay_alu instid0(VALU_DEP_3) | instskip(SKIP_2) | instid1(VALU_DEP_4)
	v_add_co_ci_u32_e32 v2, vcc_lo, v2, v3, vcc_lo
	v_cndmask_b32_e64 v3, 0, v12, s5
	v_cndmask_b32_e64 v5, 0, v13, s6
	v_add_co_u32 v1, vcc_lo, v1, v4
	v_cndmask_b32_e64 v4, 0, v15, s7
	s_delay_alu instid0(VALU_DEP_4) | instskip(SKIP_1) | instid1(VALU_DEP_4)
	v_add_co_ci_u32_e32 v2, vcc_lo, v2, v3, vcc_lo
	v_cndmask_b32_e64 v3, 0, v14, s6
	v_add_co_u32 v1, vcc_lo, v1, v5
	v_cndmask_b32_e64 v5, 0, v17, s8
	v_cndmask_b32_e64 v6, 0, v31, s15
	s_delay_alu instid0(VALU_DEP_4) | instskip(SKIP_3) | instid1(VALU_DEP_3)
	v_add_co_ci_u32_e32 v2, vcc_lo, v2, v3, vcc_lo
	v_cndmask_b32_e64 v3, 0, v16, s7
	v_add_co_u32 v1, vcc_lo, v1, v4
	v_cndmask_b32_e64 v4, 0, v19, s9
	v_add_co_ci_u32_e32 v2, vcc_lo, v2, v3, vcc_lo
	v_cndmask_b32_e64 v3, 0, v18, s8
	s_delay_alu instid0(VALU_DEP_4) | instskip(SKIP_1) | instid1(VALU_DEP_3)
	v_add_co_u32 v1, vcc_lo, v1, v5
	v_cndmask_b32_e64 v5, 0, v21, s10
	v_add_co_ci_u32_e32 v2, vcc_lo, v2, v3, vcc_lo
	v_cndmask_b32_e64 v3, 0, v20, s9
	s_delay_alu instid0(VALU_DEP_4) | instskip(SKIP_1) | instid1(VALU_DEP_3)
	;; [unrolled: 5-line block ×5, first 2 shown]
	v_add_co_u32 v1, vcc_lo, v1, v5
	v_cndmask_b32_e64 v5, 0, v28, s13
	v_add_co_ci_u32_e32 v2, vcc_lo, v2, v3, vcc_lo
	v_mbcnt_lo_u32_b32 v3, -1, 0
	s_delay_alu instid0(VALU_DEP_4) | instskip(NEXT) | instid1(VALU_DEP_3)
	v_add_co_u32 v1, vcc_lo, v1, v4
	v_add_co_ci_u32_e32 v2, vcc_lo, v2, v5, vcc_lo
	s_delay_alu instid0(VALU_DEP_3) | instskip(SKIP_3) | instid1(VALU_DEP_3)
	v_cmp_ne_u32_e32 vcc_lo, 31, v3
	v_cndmask_b32_e64 v5, 0, v29, s14
	v_cndmask_b32_e64 v4, 0, v30, s14
	v_add_co_ci_u32_e32 v7, vcc_lo, 0, v3, vcc_lo
	v_add_co_u32 v1, vcc_lo, v1, v5
	s_delay_alu instid0(VALU_DEP_3) | instskip(SKIP_1) | instid1(VALU_DEP_3)
	v_add_co_ci_u32_e32 v2, vcc_lo, v2, v4, vcc_lo
	v_cndmask_b32_e64 v4, 0, v32, s15
	v_add_co_u32 v1, vcc_lo, v1, v6
	v_lshlrev_b32_e32 v5, 2, v7
	s_delay_alu instid0(VALU_DEP_3)
	v_add_co_ci_u32_e32 v2, vcc_lo, v2, v4, vcc_lo
	v_and_b32_e32 v4, 0x60, v0
	ds_bpermute_b32 v7, v5, v1
	ds_bpermute_b32 v6, v5, v2
	v_add_nc_u32_e32 v5, 1, v3
	v_sub_nc_u32_e64 v4, s2, v4 clamp
	s_delay_alu instid0(VALU_DEP_1)
	v_cmp_lt_u32_e32 vcc_lo, v5, v4
	v_mov_b32_e32 v5, v1
	s_and_saveexec_b32 s3, vcc_lo
	s_cbranch_execz .LBB183_587
; %bb.586:
	s_waitcnt lgkmcnt(1)
	v_add_co_u32 v5, vcc_lo, v1, v7
	v_add_co_ci_u32_e32 v2, vcc_lo, 0, v2, vcc_lo
	s_delay_alu instid0(VALU_DEP_2) | instskip(SKIP_1) | instid1(VALU_DEP_2)
	v_add_co_u32 v1, vcc_lo, v5, 0
	s_waitcnt lgkmcnt(0)
	v_add_co_ci_u32_e32 v2, vcc_lo, v2, v6, vcc_lo
.LBB183_587:
	s_or_b32 exec_lo, exec_lo, s3
	v_cmp_gt_u32_e32 vcc_lo, 30, v3
	v_add_nc_u32_e32 v8, 2, v3
	s_mov_b32 s3, exec_lo
	s_waitcnt lgkmcnt(0)
	v_cndmask_b32_e64 v6, 0, 1, vcc_lo
	s_delay_alu instid0(VALU_DEP_1) | instskip(NEXT) | instid1(VALU_DEP_1)
	v_lshlrev_b32_e32 v6, 1, v6
	v_add_lshl_u32 v6, v6, v3, 2
	ds_bpermute_b32 v7, v6, v5
	ds_bpermute_b32 v6, v6, v2
	v_cmpx_lt_u32_e64 v8, v4
	s_cbranch_execz .LBB183_589
; %bb.588:
	s_waitcnt lgkmcnt(1)
	v_add_co_u32 v5, vcc_lo, v1, v7
	v_add_co_ci_u32_e32 v2, vcc_lo, 0, v2, vcc_lo
	s_delay_alu instid0(VALU_DEP_2) | instskip(SKIP_1) | instid1(VALU_DEP_2)
	v_add_co_u32 v1, vcc_lo, 0, v5
	s_waitcnt lgkmcnt(0)
	v_add_co_ci_u32_e32 v2, vcc_lo, v6, v2, vcc_lo
.LBB183_589:
	s_or_b32 exec_lo, exec_lo, s3
	v_cmp_gt_u32_e32 vcc_lo, 28, v3
	v_add_nc_u32_e32 v8, 4, v3
	s_mov_b32 s3, exec_lo
	s_waitcnt lgkmcnt(0)
	v_cndmask_b32_e64 v6, 0, 1, vcc_lo
	s_delay_alu instid0(VALU_DEP_1) | instskip(NEXT) | instid1(VALU_DEP_1)
	v_lshlrev_b32_e32 v6, 2, v6
	v_add_lshl_u32 v6, v6, v3, 2
	ds_bpermute_b32 v7, v6, v5
	ds_bpermute_b32 v6, v6, v2
	v_cmpx_lt_u32_e64 v8, v4
	;; [unrolled: 22-line block ×3, first 2 shown]
	s_cbranch_execz .LBB183_593
; %bb.592:
	s_waitcnt lgkmcnt(1)
	v_add_co_u32 v5, vcc_lo, v1, v7
	v_add_co_ci_u32_e32 v2, vcc_lo, 0, v2, vcc_lo
	s_delay_alu instid0(VALU_DEP_2) | instskip(SKIP_1) | instid1(VALU_DEP_2)
	v_add_co_u32 v1, vcc_lo, 0, v5
	s_waitcnt lgkmcnt(0)
	v_add_co_ci_u32_e32 v2, vcc_lo, v6, v2, vcc_lo
.LBB183_593:
	s_or_b32 exec_lo, exec_lo, s3
	v_cmp_gt_u32_e32 vcc_lo, 16, v3
	s_mov_b32 s3, exec_lo
	s_waitcnt lgkmcnt(0)
	v_cndmask_b32_e64 v6, 0, 1, vcc_lo
	s_delay_alu instid0(VALU_DEP_1) | instskip(NEXT) | instid1(VALU_DEP_1)
	v_lshlrev_b32_e32 v6, 4, v6
	v_add_lshl_u32 v7, v6, v3, 2
	ds_bpermute_b32 v6, v7, v5
	ds_bpermute_b32 v5, v7, v2
	v_add_nc_u32_e32 v7, 16, v3
	s_delay_alu instid0(VALU_DEP_1)
	v_cmpx_lt_u32_e64 v7, v4
	s_cbranch_execz .LBB183_595
; %bb.594:
	s_waitcnt lgkmcnt(1)
	v_add_co_u32 v1, vcc_lo, v1, v6
	v_add_co_ci_u32_e32 v2, vcc_lo, 0, v2, vcc_lo
	s_delay_alu instid0(VALU_DEP_2) | instskip(SKIP_1) | instid1(VALU_DEP_2)
	v_add_co_u32 v1, vcc_lo, v1, 0
	s_waitcnt lgkmcnt(0)
	v_add_co_ci_u32_e32 v2, vcc_lo, v2, v5, vcc_lo
.LBB183_595:
	s_or_b32 exec_lo, exec_lo, s3
	s_delay_alu instid0(SALU_CYCLE_1)
	s_mov_b32 s3, exec_lo
	v_cmpx_eq_u32_e32 0, v3
	s_cbranch_execz .LBB183_597
; %bb.596:
	v_lshrrev_b32_e32 v4, 2, v0
	s_delay_alu instid0(VALU_DEP_1)
	v_and_b32_e32 v4, 24, v4
	ds_store_b64 v4, v[1:2] offset:256
.LBB183_597:
	s_or_b32 exec_lo, exec_lo, s3
	s_delay_alu instid0(SALU_CYCLE_1)
	s_mov_b32 s3, exec_lo
	s_waitcnt lgkmcnt(0)
	s_barrier
	buffer_gl0_inv
	v_cmpx_gt_u32_e32 4, v0
	s_cbranch_execz .LBB183_603
; %bb.598:
	v_lshlrev_b32_e32 v1, 3, v3
	s_add_i32 s2, s2, 31
	s_delay_alu instid0(SALU_CYCLE_1) | instskip(SKIP_2) | instid1(VALU_DEP_1)
	s_lshr_b32 s2, s2, 5
	ds_load_b64 v[1:2], v1 offset:256
	v_and_b32_e32 v4, 3, v3
	v_cmp_ne_u32_e32 vcc_lo, 3, v4
	v_add_co_ci_u32_e32 v5, vcc_lo, 0, v3, vcc_lo
	s_delay_alu instid0(VALU_DEP_1) | instskip(SKIP_4) | instid1(VALU_DEP_1)
	v_lshlrev_b32_e32 v5, 2, v5
	s_waitcnt lgkmcnt(0)
	ds_bpermute_b32 v7, v5, v1
	ds_bpermute_b32 v6, v5, v2
	v_add_nc_u32_e32 v5, 1, v4
	v_cmp_gt_u32_e32 vcc_lo, s2, v5
	v_mov_b32_e32 v5, v1
	s_and_saveexec_b32 s4, vcc_lo
	s_cbranch_execz .LBB183_600
; %bb.599:
	s_waitcnt lgkmcnt(1)
	v_add_co_u32 v5, vcc_lo, v1, v7
	v_add_co_ci_u32_e32 v2, vcc_lo, 0, v2, vcc_lo
	s_delay_alu instid0(VALU_DEP_2) | instskip(SKIP_1) | instid1(VALU_DEP_2)
	v_add_co_u32 v1, vcc_lo, 0, v5
	s_waitcnt lgkmcnt(0)
	v_add_co_ci_u32_e32 v2, vcc_lo, v6, v2, vcc_lo
.LBB183_600:
	s_or_b32 exec_lo, exec_lo, s4
	v_cmp_gt_u32_e32 vcc_lo, 2, v4
	v_add_nc_u32_e32 v4, 2, v4
	s_waitcnt lgkmcnt(0)
	v_cndmask_b32_e64 v6, 0, 1, vcc_lo
	s_delay_alu instid0(VALU_DEP_2) | instskip(NEXT) | instid1(VALU_DEP_2)
	v_cmp_gt_u32_e32 vcc_lo, s2, v4
	v_lshlrev_b32_e32 v6, 1, v6
	s_delay_alu instid0(VALU_DEP_1)
	v_add_lshl_u32 v3, v6, v3, 2
	ds_bpermute_b32 v5, v3, v5
	ds_bpermute_b32 v3, v3, v2
	s_and_saveexec_b32 s2, vcc_lo
	s_cbranch_execz .LBB183_602
; %bb.601:
	s_waitcnt lgkmcnt(1)
	v_add_co_u32 v1, vcc_lo, v1, v5
	v_add_co_ci_u32_e32 v2, vcc_lo, 0, v2, vcc_lo
	s_delay_alu instid0(VALU_DEP_2) | instskip(SKIP_1) | instid1(VALU_DEP_2)
	v_add_co_u32 v1, vcc_lo, v1, 0
	s_waitcnt lgkmcnt(0)
	v_add_co_ci_u32_e32 v2, vcc_lo, v2, v3, vcc_lo
.LBB183_602:
	s_or_b32 exec_lo, exec_lo, s2
.LBB183_603:
	s_delay_alu instid0(SALU_CYCLE_1)
	s_or_b32 exec_lo, exec_lo, s3
.LBB183_604:
	v_cmp_eq_u32_e64 s2, 0, v0
.LBB183_605:
	s_branch .LBB183_758
.LBB183_606:
	s_cmp_gt_i32 s26, 3
	s_cbranch_scc0 .LBB183_616
; %bb.607:
	s_cmp_gt_i32 s26, 7
	s_cbranch_scc0 .LBB183_617
; %bb.608:
	s_cmp_eq_u32 s26, 8
                                        ; implicit-def: $vgpr1_vgpr2
	s_cbranch_scc0 .LBB183_618
; %bb.609:
	s_mov_b32 s19, 0
	s_lshl_b32 s4, s18, 10
	s_mov_b32 s5, s19
	s_lshr_b64 s[6:7], s[20:21], 10
	s_lshl_b64 s[2:3], s[4:5], 2
	s_delay_alu instid0(SALU_CYCLE_1)
	s_add_u32 s8, s24, s2
	s_addc_u32 s9, s25, s3
	s_cmp_lg_u64 s[6:7], s[18:19]
	s_cbranch_scc0 .LBB183_619
; %bb.610:
	v_lshlrev_b32_e32 v1, 2, v0
	global_load_b32 v2, v1, s[8:9]
	s_waitcnt lgkmcnt(0)
	s_clause 0x6
	global_load_b32 v3, v1, s[8:9] offset:512
	global_load_b32 v4, v1, s[8:9] offset:1024
	;; [unrolled: 1-line block ×7, first 2 shown]
	s_waitcnt vmcnt(7)
	v_cmp_ne_u32_e32 vcc_lo, 0, v2
	v_cndmask_b32_e64 v2, 0, 1, vcc_lo
	s_waitcnt vmcnt(6)
	v_cmp_ne_u32_e32 vcc_lo, 0, v3
	v_cndmask_b32_e64 v3, 0, 1, vcc_lo
	s_waitcnt vmcnt(5)
	v_cmp_ne_u32_e32 vcc_lo, 0, v4
	s_delay_alu instid0(VALU_DEP_2)
	v_add_co_u32 v2, s2, v3, v2
	v_cndmask_b32_e64 v4, 0, 1, vcc_lo
	s_waitcnt vmcnt(4)
	v_cmp_ne_u32_e32 vcc_lo, 0, v5
	v_add_co_ci_u32_e64 v5, null, 0, 0, s2
	s_waitcnt vmcnt(3)
	v_cmp_ne_u32_e64 s2, 0, v6
	v_cndmask_b32_e64 v3, 0, 1, vcc_lo
	v_add_co_u32 v2, vcc_lo, v2, v4
	v_add_co_ci_u32_e32 v5, vcc_lo, 0, v5, vcc_lo
	s_delay_alu instid0(VALU_DEP_4) | instskip(NEXT) | instid1(VALU_DEP_3)
	v_cndmask_b32_e64 v4, 0, 1, s2
	v_add_co_u32 v2, vcc_lo, v2, v3
	s_waitcnt vmcnt(2)
	v_cmp_ne_u32_e64 s2, 0, v7
	v_add_co_ci_u32_e32 v5, vcc_lo, 0, v5, vcc_lo
	s_delay_alu instid0(VALU_DEP_3) | instskip(NEXT) | instid1(VALU_DEP_3)
	v_add_co_u32 v2, vcc_lo, v2, v4
	v_cndmask_b32_e64 v3, 0, 1, s2
	s_waitcnt vmcnt(1)
	v_cmp_ne_u32_e64 s2, 0, v8
	v_add_co_ci_u32_e32 v5, vcc_lo, 0, v5, vcc_lo
	s_delay_alu instid0(VALU_DEP_3) | instskip(NEXT) | instid1(VALU_DEP_3)
	v_add_co_u32 v2, vcc_lo, v2, v3
	v_cndmask_b32_e64 v4, 0, 1, s2
	s_waitcnt vmcnt(0)
	v_cmp_ne_u32_e64 s2, 0, v1
	v_add_co_ci_u32_e32 v3, vcc_lo, 0, v5, vcc_lo
	s_delay_alu instid0(VALU_DEP_3) | instskip(SKIP_1) | instid1(VALU_DEP_4)
	v_add_co_u32 v2, vcc_lo, v2, v4
	v_mov_b32_e32 v4, 0
	v_cndmask_b32_e64 v1, 0, 1, s2
	s_delay_alu instid0(VALU_DEP_4) | instskip(SKIP_1) | instid1(VALU_DEP_2)
	v_add_co_ci_u32_e32 v3, vcc_lo, 0, v3, vcc_lo
	s_mov_b32 s2, exec_lo
	v_add_co_u32 v1, vcc_lo, v2, v1
	s_delay_alu instid0(VALU_DEP_2) | instskip(NEXT) | instid1(VALU_DEP_2)
	v_add_co_ci_u32_e32 v2, vcc_lo, 0, v3, vcc_lo
	v_mov_b32_dpp v3, v1 quad_perm:[1,0,3,2] row_mask:0xf bank_mask:0xf
	s_delay_alu instid0(VALU_DEP_1) | instskip(SKIP_1) | instid1(VALU_DEP_4)
	v_add_co_u32 v1, vcc_lo, v1, v3
	v_mov_b32_dpp v3, v4 quad_perm:[1,0,3,2] row_mask:0xf bank_mask:0xf
	v_add_co_ci_u32_e32 v2, vcc_lo, 0, v2, vcc_lo
	s_delay_alu instid0(VALU_DEP_3) | instskip(SKIP_1) | instid1(VALU_DEP_3)
	v_mov_b32_dpp v5, v1 quad_perm:[2,3,0,1] row_mask:0xf bank_mask:0xf
	v_add_co_u32 v1, vcc_lo, 0, v1
	v_add_co_ci_u32_e32 v2, vcc_lo, v3, v2, vcc_lo
	s_delay_alu instid0(VALU_DEP_2) | instskip(NEXT) | instid1(VALU_DEP_2)
	v_add_co_u32 v1, vcc_lo, v1, v5
	v_mov_b32_dpp v3, v2 quad_perm:[2,3,0,1] row_mask:0xf bank_mask:0xf
	v_add_co_ci_u32_e32 v2, vcc_lo, 0, v2, vcc_lo
	s_delay_alu instid0(VALU_DEP_3) | instskip(SKIP_1) | instid1(VALU_DEP_3)
	v_mov_b32_dpp v5, v1 row_ror:4 row_mask:0xf bank_mask:0xf
	v_add_co_u32 v1, vcc_lo, v1, 0
	v_add_co_ci_u32_e32 v2, vcc_lo, v2, v3, vcc_lo
	s_delay_alu instid0(VALU_DEP_2) | instskip(NEXT) | instid1(VALU_DEP_2)
	v_add_co_u32 v1, vcc_lo, v1, v5
	v_mov_b32_dpp v3, v2 row_ror:4 row_mask:0xf bank_mask:0xf
	v_add_co_ci_u32_e32 v2, vcc_lo, 0, v2, vcc_lo
	s_delay_alu instid0(VALU_DEP_3) | instskip(SKIP_1) | instid1(VALU_DEP_3)
	v_mov_b32_dpp v5, v1 row_ror:8 row_mask:0xf bank_mask:0xf
	v_add_co_u32 v1, vcc_lo, v1, 0
	v_add_co_ci_u32_e32 v2, vcc_lo, v2, v3, vcc_lo
	s_delay_alu instid0(VALU_DEP_2) | instskip(NEXT) | instid1(VALU_DEP_2)
	v_add_co_u32 v1, vcc_lo, v1, v5
	v_mov_b32_dpp v3, v2 row_ror:8 row_mask:0xf bank_mask:0xf
	v_add_co_ci_u32_e32 v2, vcc_lo, 0, v2, vcc_lo
	ds_swizzle_b32 v5, v1 offset:swizzle(BROADCAST,32,15)
	v_add_co_u32 v1, vcc_lo, v1, 0
	v_add_co_ci_u32_e32 v2, vcc_lo, v2, v3, vcc_lo
	ds_swizzle_b32 v3, v2 offset:swizzle(BROADCAST,32,15)
	s_waitcnt lgkmcnt(1)
	v_add_co_u32 v1, vcc_lo, v1, v5
	v_add_co_ci_u32_e32 v2, vcc_lo, 0, v2, vcc_lo
	ds_bpermute_b32 v1, v4, v1 offset:124
	s_waitcnt lgkmcnt(1)
	v_add_nc_u32_e32 v2, v3, v2
	v_mbcnt_lo_u32_b32 v3, -1, 0
	ds_bpermute_b32 v2, v4, v2 offset:124
	v_cmpx_eq_u32_e32 0, v3
	s_cbranch_execz .LBB183_612
; %bb.611:
	v_lshrrev_b32_e32 v4, 2, v0
	s_delay_alu instid0(VALU_DEP_1)
	v_and_b32_e32 v4, 24, v4
	s_waitcnt lgkmcnt(0)
	ds_store_b64 v4, v[1:2] offset:224
.LBB183_612:
	s_or_b32 exec_lo, exec_lo, s2
	s_delay_alu instid0(SALU_CYCLE_1)
	s_mov_b32 s2, exec_lo
	s_waitcnt lgkmcnt(0)
	s_barrier
	buffer_gl0_inv
	v_cmpx_gt_u32_e32 32, v0
	s_cbranch_execz .LBB183_614
; %bb.613:
	v_lshl_or_b32 v1, v3, 3, 0xe0
	v_and_b32_e32 v4, 3, v3
	ds_load_b64 v[1:2], v1
	v_cmp_ne_u32_e32 vcc_lo, 3, v4
	v_add_co_ci_u32_e32 v5, vcc_lo, 0, v3, vcc_lo
	v_cmp_gt_u32_e32 vcc_lo, 2, v4
	s_delay_alu instid0(VALU_DEP_2) | instskip(SKIP_1) | instid1(VALU_DEP_1)
	v_lshlrev_b32_e32 v5, 2, v5
	v_cndmask_b32_e64 v4, 0, 1, vcc_lo
	v_lshlrev_b32_e32 v4, 1, v4
	s_waitcnt lgkmcnt(0)
	ds_bpermute_b32 v6, v5, v1
	ds_bpermute_b32 v5, v5, v2
	v_add_lshl_u32 v3, v4, v3, 2
	s_waitcnt lgkmcnt(1)
	v_add_co_u32 v1, vcc_lo, v1, v6
	v_add_co_ci_u32_e32 v2, vcc_lo, 0, v2, vcc_lo
	ds_bpermute_b32 v4, v3, v1
	v_add_co_u32 v1, vcc_lo, 0, v1
	s_waitcnt lgkmcnt(1)
	v_add_co_ci_u32_e32 v2, vcc_lo, v5, v2, vcc_lo
	ds_bpermute_b32 v3, v3, v2
	s_waitcnt lgkmcnt(1)
	v_add_co_u32 v1, vcc_lo, v1, v4
	v_add_co_ci_u32_e32 v2, vcc_lo, 0, v2, vcc_lo
	s_delay_alu instid0(VALU_DEP_2) | instskip(SKIP_1) | instid1(VALU_DEP_2)
	v_add_co_u32 v1, vcc_lo, v1, 0
	s_waitcnt lgkmcnt(0)
	v_add_co_ci_u32_e32 v2, vcc_lo, v2, v3, vcc_lo
.LBB183_614:
	s_or_b32 exec_lo, exec_lo, s2
.LBB183_615:
	v_cmp_eq_u32_e64 s2, 0, v0
	s_branch .LBB183_692
.LBB183_616:
                                        ; implicit-def: $vgpr1_vgpr2
	s_cbranch_execnz .LBB183_693
	s_branch .LBB183_758
.LBB183_617:
                                        ; implicit-def: $vgpr1_vgpr2
	s_cbranch_execnz .LBB183_655
	s_branch .LBB183_692
.LBB183_618:
	s_branch .LBB183_692
.LBB183_619:
                                        ; implicit-def: $vgpr1_vgpr2
	s_cbranch_execz .LBB183_615
; %bb.620:
	s_sub_i32 s10, s20, s4
	s_mov_b32 s2, exec_lo
                                        ; implicit-def: $vgpr1_vgpr2_vgpr3_vgpr4_vgpr5_vgpr6_vgpr7_vgpr8_vgpr9_vgpr10_vgpr11_vgpr12_vgpr13_vgpr14_vgpr15_vgpr16
	v_cmpx_gt_u32_e64 s10, v0
	s_cbranch_execz .LBB183_622
; %bb.621:
	v_dual_mov_b32 v2, 0 :: v_dual_lshlrev_b32 v1, 2, v0
	global_load_b32 v1, v1, s[8:9]
	s_waitcnt vmcnt(0)
	v_cmp_ne_u32_e32 vcc_lo, 0, v1
	v_cndmask_b32_e64 v1, 0, 1, vcc_lo
.LBB183_622:
	s_or_b32 exec_lo, exec_lo, s2
	v_or_b32_e32 v17, 0x80, v0
	s_delay_alu instid0(VALU_DEP_1)
	v_cmp_gt_u32_e32 vcc_lo, s10, v17
	s_and_saveexec_b32 s3, vcc_lo
	s_cbranch_execz .LBB183_624
; %bb.623:
	s_waitcnt lgkmcnt(0)
	v_dual_mov_b32 v4, 0 :: v_dual_lshlrev_b32 v3, 2, v0
	global_load_b32 v3, v3, s[8:9] offset:512
	s_waitcnt vmcnt(0)
	v_cmp_ne_u32_e64 s2, 0, v3
	s_delay_alu instid0(VALU_DEP_1)
	v_cndmask_b32_e64 v3, 0, 1, s2
.LBB183_624:
	s_or_b32 exec_lo, exec_lo, s3
	v_or_b32_e32 v17, 0x100, v0
	s_delay_alu instid0(VALU_DEP_1) | instskip(NEXT) | instid1(VALU_DEP_1)
	v_cmp_gt_u32_e64 s2, s10, v17
	s_and_saveexec_b32 s4, s2
	s_cbranch_execz .LBB183_626
; %bb.625:
	s_waitcnt lgkmcnt(1)
	v_dual_mov_b32 v6, 0 :: v_dual_lshlrev_b32 v5, 2, v0
	global_load_b32 v5, v5, s[8:9] offset:1024
	s_waitcnt vmcnt(0)
	v_cmp_ne_u32_e64 s3, 0, v5
	s_delay_alu instid0(VALU_DEP_1)
	v_cndmask_b32_e64 v5, 0, 1, s3
.LBB183_626:
	s_or_b32 exec_lo, exec_lo, s4
	v_or_b32_e32 v17, 0x180, v0
	s_delay_alu instid0(VALU_DEP_1) | instskip(NEXT) | instid1(VALU_DEP_1)
	v_cmp_gt_u32_e64 s3, s10, v17
	s_and_saveexec_b32 s5, s3
	s_cbranch_execz .LBB183_628
; %bb.627:
	v_dual_mov_b32 v8, 0 :: v_dual_lshlrev_b32 v7, 2, v0
	global_load_b32 v7, v7, s[8:9] offset:1536
	s_waitcnt vmcnt(0)
	v_cmp_ne_u32_e64 s4, 0, v7
	s_delay_alu instid0(VALU_DEP_1)
	v_cndmask_b32_e64 v7, 0, 1, s4
.LBB183_628:
	s_or_b32 exec_lo, exec_lo, s5
	v_or_b32_e32 v17, 0x200, v0
	s_delay_alu instid0(VALU_DEP_1) | instskip(NEXT) | instid1(VALU_DEP_1)
	v_cmp_gt_u32_e64 s4, s10, v17
	s_and_saveexec_b32 s6, s4
	s_cbranch_execz .LBB183_630
; %bb.629:
	v_dual_mov_b32 v10, 0 :: v_dual_lshlrev_b32 v9, 2, v0
	global_load_b32 v9, v9, s[8:9] offset:2048
	s_waitcnt vmcnt(0)
	v_cmp_ne_u32_e64 s5, 0, v9
	s_delay_alu instid0(VALU_DEP_1)
	v_cndmask_b32_e64 v9, 0, 1, s5
.LBB183_630:
	;; [unrolled: 14-line block ×5, first 2 shown]
	s_or_b32 exec_lo, exec_lo, s11
	s_waitcnt lgkmcnt(0)
	v_dual_cndmask_b32 v3, 0, v3 :: v_dual_cndmask_b32 v4, 0, v4
	v_cndmask_b32_e64 v5, 0, v5, s2
	v_cndmask_b32_e64 v6, 0, v6, s2
	s_min_u32 s2, s10, 0x80
	s_delay_alu instid0(VALU_DEP_3) | instskip(SKIP_2) | instid1(VALU_DEP_3)
	v_add_co_u32 v1, vcc_lo, v3, v1
	v_add_co_ci_u32_e32 v2, vcc_lo, v4, v2, vcc_lo
	v_cndmask_b32_e64 v3, 0, v7, s3
	v_add_co_u32 v1, vcc_lo, v1, v5
	s_delay_alu instid0(VALU_DEP_3) | instskip(SKIP_2) | instid1(VALU_DEP_4)
	v_add_co_ci_u32_e32 v2, vcc_lo, v2, v6, vcc_lo
	v_cndmask_b32_e64 v4, 0, v8, s3
	v_cndmask_b32_e64 v5, 0, v9, s4
	v_add_co_u32 v1, vcc_lo, v1, v3
	v_cndmask_b32_e64 v3, 0, v10, s4
	s_delay_alu instid0(VALU_DEP_4) | instskip(SKIP_1) | instid1(VALU_DEP_4)
	v_add_co_ci_u32_e32 v2, vcc_lo, v2, v4, vcc_lo
	v_cndmask_b32_e64 v4, 0, v11, s5
	v_add_co_u32 v1, vcc_lo, v1, v5
	s_delay_alu instid0(VALU_DEP_3) | instskip(SKIP_2) | instid1(VALU_DEP_4)
	v_add_co_ci_u32_e32 v2, vcc_lo, v2, v3, vcc_lo
	v_cndmask_b32_e64 v5, 0, v12, s5
	v_mbcnt_lo_u32_b32 v3, -1, 0
	v_add_co_u32 v1, vcc_lo, v1, v4
	v_cndmask_b32_e64 v4, 0, v14, s6
	s_delay_alu instid0(VALU_DEP_4) | instskip(NEXT) | instid1(VALU_DEP_4)
	v_add_co_ci_u32_e32 v2, vcc_lo, v2, v5, vcc_lo
	v_cmp_ne_u32_e32 vcc_lo, 31, v3
	v_cndmask_b32_e64 v5, 0, v13, s6
	v_cndmask_b32_e64 v6, 0, v15, s7
	v_add_co_ci_u32_e32 v7, vcc_lo, 0, v3, vcc_lo
	s_delay_alu instid0(VALU_DEP_3) | instskip(SKIP_2) | instid1(VALU_DEP_3)
	v_add_co_u32 v1, vcc_lo, v1, v5
	v_add_co_ci_u32_e32 v2, vcc_lo, v2, v4, vcc_lo
	v_cndmask_b32_e64 v4, 0, v16, s7
	v_add_co_u32 v1, vcc_lo, v1, v6
	v_lshlrev_b32_e32 v5, 2, v7
	s_delay_alu instid0(VALU_DEP_3)
	v_add_co_ci_u32_e32 v2, vcc_lo, v2, v4, vcc_lo
	v_and_b32_e32 v4, 0x60, v0
	ds_bpermute_b32 v7, v5, v1
	ds_bpermute_b32 v6, v5, v2
	v_add_nc_u32_e32 v5, 1, v3
	v_sub_nc_u32_e64 v4, s2, v4 clamp
	s_delay_alu instid0(VALU_DEP_1)
	v_cmp_lt_u32_e32 vcc_lo, v5, v4
	v_mov_b32_e32 v5, v1
	s_and_saveexec_b32 s3, vcc_lo
	s_cbranch_execz .LBB183_638
; %bb.637:
	s_waitcnt lgkmcnt(1)
	v_add_co_u32 v5, vcc_lo, v1, v7
	v_add_co_ci_u32_e32 v2, vcc_lo, 0, v2, vcc_lo
	s_delay_alu instid0(VALU_DEP_2) | instskip(SKIP_1) | instid1(VALU_DEP_2)
	v_add_co_u32 v1, vcc_lo, v5, 0
	s_waitcnt lgkmcnt(0)
	v_add_co_ci_u32_e32 v2, vcc_lo, v2, v6, vcc_lo
.LBB183_638:
	s_or_b32 exec_lo, exec_lo, s3
	v_cmp_gt_u32_e32 vcc_lo, 30, v3
	v_add_nc_u32_e32 v8, 2, v3
	s_mov_b32 s3, exec_lo
	s_waitcnt lgkmcnt(0)
	v_cndmask_b32_e64 v6, 0, 1, vcc_lo
	s_delay_alu instid0(VALU_DEP_1) | instskip(NEXT) | instid1(VALU_DEP_1)
	v_lshlrev_b32_e32 v6, 1, v6
	v_add_lshl_u32 v6, v6, v3, 2
	ds_bpermute_b32 v7, v6, v5
	ds_bpermute_b32 v6, v6, v2
	v_cmpx_lt_u32_e64 v8, v4
	s_cbranch_execz .LBB183_640
; %bb.639:
	s_waitcnt lgkmcnt(1)
	v_add_co_u32 v5, vcc_lo, v1, v7
	v_add_co_ci_u32_e32 v2, vcc_lo, 0, v2, vcc_lo
	s_delay_alu instid0(VALU_DEP_2) | instskip(SKIP_1) | instid1(VALU_DEP_2)
	v_add_co_u32 v1, vcc_lo, 0, v5
	s_waitcnt lgkmcnt(0)
	v_add_co_ci_u32_e32 v2, vcc_lo, v6, v2, vcc_lo
.LBB183_640:
	s_or_b32 exec_lo, exec_lo, s3
	v_cmp_gt_u32_e32 vcc_lo, 28, v3
	v_add_nc_u32_e32 v8, 4, v3
	s_mov_b32 s3, exec_lo
	s_waitcnt lgkmcnt(0)
	v_cndmask_b32_e64 v6, 0, 1, vcc_lo
	s_delay_alu instid0(VALU_DEP_1) | instskip(NEXT) | instid1(VALU_DEP_1)
	v_lshlrev_b32_e32 v6, 2, v6
	v_add_lshl_u32 v6, v6, v3, 2
	ds_bpermute_b32 v7, v6, v5
	ds_bpermute_b32 v6, v6, v2
	v_cmpx_lt_u32_e64 v8, v4
	;; [unrolled: 22-line block ×3, first 2 shown]
	s_cbranch_execz .LBB183_644
; %bb.643:
	s_waitcnt lgkmcnt(1)
	v_add_co_u32 v5, vcc_lo, v1, v7
	v_add_co_ci_u32_e32 v2, vcc_lo, 0, v2, vcc_lo
	s_delay_alu instid0(VALU_DEP_2) | instskip(SKIP_1) | instid1(VALU_DEP_2)
	v_add_co_u32 v1, vcc_lo, 0, v5
	s_waitcnt lgkmcnt(0)
	v_add_co_ci_u32_e32 v2, vcc_lo, v6, v2, vcc_lo
.LBB183_644:
	s_or_b32 exec_lo, exec_lo, s3
	v_cmp_gt_u32_e32 vcc_lo, 16, v3
	s_mov_b32 s3, exec_lo
	s_waitcnt lgkmcnt(0)
	v_cndmask_b32_e64 v6, 0, 1, vcc_lo
	s_delay_alu instid0(VALU_DEP_1) | instskip(NEXT) | instid1(VALU_DEP_1)
	v_lshlrev_b32_e32 v6, 4, v6
	v_add_lshl_u32 v7, v6, v3, 2
	ds_bpermute_b32 v6, v7, v5
	ds_bpermute_b32 v5, v7, v2
	v_add_nc_u32_e32 v7, 16, v3
	s_delay_alu instid0(VALU_DEP_1)
	v_cmpx_lt_u32_e64 v7, v4
	s_cbranch_execz .LBB183_646
; %bb.645:
	s_waitcnt lgkmcnt(1)
	v_add_co_u32 v1, vcc_lo, v1, v6
	v_add_co_ci_u32_e32 v2, vcc_lo, 0, v2, vcc_lo
	s_delay_alu instid0(VALU_DEP_2) | instskip(SKIP_1) | instid1(VALU_DEP_2)
	v_add_co_u32 v1, vcc_lo, v1, 0
	s_waitcnt lgkmcnt(0)
	v_add_co_ci_u32_e32 v2, vcc_lo, v2, v5, vcc_lo
.LBB183_646:
	s_or_b32 exec_lo, exec_lo, s3
	s_delay_alu instid0(SALU_CYCLE_1)
	s_mov_b32 s3, exec_lo
	v_cmpx_eq_u32_e32 0, v3
	s_cbranch_execz .LBB183_648
; %bb.647:
	v_lshrrev_b32_e32 v4, 2, v0
	s_delay_alu instid0(VALU_DEP_1)
	v_and_b32_e32 v4, 24, v4
	ds_store_b64 v4, v[1:2] offset:256
.LBB183_648:
	s_or_b32 exec_lo, exec_lo, s3
	s_delay_alu instid0(SALU_CYCLE_1)
	s_mov_b32 s3, exec_lo
	s_waitcnt lgkmcnt(0)
	s_barrier
	buffer_gl0_inv
	v_cmpx_gt_u32_e32 4, v0
	s_cbranch_execz .LBB183_654
; %bb.649:
	v_lshlrev_b32_e32 v1, 3, v3
	s_add_i32 s2, s2, 31
	s_delay_alu instid0(SALU_CYCLE_1) | instskip(SKIP_2) | instid1(VALU_DEP_1)
	s_lshr_b32 s2, s2, 5
	ds_load_b64 v[1:2], v1 offset:256
	v_and_b32_e32 v4, 3, v3
	v_cmp_ne_u32_e32 vcc_lo, 3, v4
	v_add_co_ci_u32_e32 v5, vcc_lo, 0, v3, vcc_lo
	s_delay_alu instid0(VALU_DEP_1) | instskip(SKIP_4) | instid1(VALU_DEP_1)
	v_lshlrev_b32_e32 v5, 2, v5
	s_waitcnt lgkmcnt(0)
	ds_bpermute_b32 v7, v5, v1
	ds_bpermute_b32 v6, v5, v2
	v_add_nc_u32_e32 v5, 1, v4
	v_cmp_gt_u32_e32 vcc_lo, s2, v5
	v_mov_b32_e32 v5, v1
	s_and_saveexec_b32 s4, vcc_lo
	s_cbranch_execz .LBB183_651
; %bb.650:
	s_waitcnt lgkmcnt(1)
	v_add_co_u32 v5, vcc_lo, v1, v7
	v_add_co_ci_u32_e32 v2, vcc_lo, 0, v2, vcc_lo
	s_delay_alu instid0(VALU_DEP_2) | instskip(SKIP_1) | instid1(VALU_DEP_2)
	v_add_co_u32 v1, vcc_lo, 0, v5
	s_waitcnt lgkmcnt(0)
	v_add_co_ci_u32_e32 v2, vcc_lo, v6, v2, vcc_lo
.LBB183_651:
	s_or_b32 exec_lo, exec_lo, s4
	v_cmp_gt_u32_e32 vcc_lo, 2, v4
	v_add_nc_u32_e32 v4, 2, v4
	s_waitcnt lgkmcnt(0)
	v_cndmask_b32_e64 v6, 0, 1, vcc_lo
	s_delay_alu instid0(VALU_DEP_2) | instskip(NEXT) | instid1(VALU_DEP_2)
	v_cmp_gt_u32_e32 vcc_lo, s2, v4
	v_lshlrev_b32_e32 v6, 1, v6
	s_delay_alu instid0(VALU_DEP_1)
	v_add_lshl_u32 v3, v6, v3, 2
	ds_bpermute_b32 v5, v3, v5
	ds_bpermute_b32 v3, v3, v2
	s_and_saveexec_b32 s2, vcc_lo
	s_cbranch_execz .LBB183_653
; %bb.652:
	s_waitcnt lgkmcnt(1)
	v_add_co_u32 v1, vcc_lo, v1, v5
	v_add_co_ci_u32_e32 v2, vcc_lo, 0, v2, vcc_lo
	s_delay_alu instid0(VALU_DEP_2) | instskip(SKIP_1) | instid1(VALU_DEP_2)
	v_add_co_u32 v1, vcc_lo, v1, 0
	s_waitcnt lgkmcnt(0)
	v_add_co_ci_u32_e32 v2, vcc_lo, v2, v3, vcc_lo
.LBB183_653:
	s_or_b32 exec_lo, exec_lo, s2
.LBB183_654:
	s_delay_alu instid0(SALU_CYCLE_1)
	s_or_b32 exec_lo, exec_lo, s3
	v_cmp_eq_u32_e64 s2, 0, v0
	s_branch .LBB183_692
.LBB183_655:
	s_cmp_eq_u32 s26, 4
                                        ; implicit-def: $vgpr1_vgpr2
	s_cbranch_scc0 .LBB183_692
; %bb.656:
	s_mov_b32 s19, 0
	s_lshl_b32 s2, s18, 9
	s_mov_b32 s3, s19
	s_lshr_b64 s[6:7], s[20:21], 9
	s_lshl_b64 s[4:5], s[2:3], 2
	s_delay_alu instid0(SALU_CYCLE_1)
	s_add_u32 s4, s24, s4
	s_addc_u32 s5, s25, s5
	s_cmp_lg_u64 s[6:7], s[18:19]
	s_cbranch_scc0 .LBB183_662
; %bb.657:
	v_lshlrev_b32_e32 v1, 2, v0
	global_load_b32 v2, v1, s[4:5]
	s_waitcnt lgkmcnt(0)
	s_clause 0x2
	global_load_b32 v3, v1, s[4:5] offset:512
	global_load_b32 v4, v1, s[4:5] offset:1024
	;; [unrolled: 1-line block ×3, first 2 shown]
	s_waitcnt vmcnt(3)
	v_cmp_ne_u32_e32 vcc_lo, 0, v2
	v_cndmask_b32_e64 v2, 0, 1, vcc_lo
	s_waitcnt vmcnt(2)
	v_cmp_ne_u32_e32 vcc_lo, 0, v3
	v_cndmask_b32_e64 v3, 0, 1, vcc_lo
	s_waitcnt vmcnt(1)
	v_cmp_ne_u32_e32 vcc_lo, 0, v4
	s_delay_alu instid0(VALU_DEP_2)
	v_add_co_u32 v2, s3, v3, v2
	v_cndmask_b32_e64 v4, 0, 1, vcc_lo
	s_waitcnt vmcnt(0)
	v_cmp_ne_u32_e32 vcc_lo, 0, v1
	v_add_co_ci_u32_e64 v3, null, 0, 0, s3
	s_mov_b32 s3, exec_lo
	v_cndmask_b32_e64 v1, 0, 1, vcc_lo
	v_add_co_u32 v2, vcc_lo, v2, v4
	v_mov_b32_e32 v4, 0
	v_add_co_ci_u32_e32 v3, vcc_lo, 0, v3, vcc_lo
	s_delay_alu instid0(VALU_DEP_3) | instskip(NEXT) | instid1(VALU_DEP_2)
	v_add_co_u32 v1, vcc_lo, v2, v1
	v_add_co_ci_u32_e32 v2, vcc_lo, 0, v3, vcc_lo
	s_delay_alu instid0(VALU_DEP_2) | instskip(NEXT) | instid1(VALU_DEP_1)
	v_mov_b32_dpp v3, v1 quad_perm:[1,0,3,2] row_mask:0xf bank_mask:0xf
	v_add_co_u32 v1, vcc_lo, v1, v3
	v_mov_b32_dpp v3, v4 quad_perm:[1,0,3,2] row_mask:0xf bank_mask:0xf
	s_delay_alu instid0(VALU_DEP_4) | instskip(NEXT) | instid1(VALU_DEP_3)
	v_add_co_ci_u32_e32 v2, vcc_lo, 0, v2, vcc_lo
	v_mov_b32_dpp v5, v1 quad_perm:[2,3,0,1] row_mask:0xf bank_mask:0xf
	v_add_co_u32 v1, vcc_lo, 0, v1
	s_delay_alu instid0(VALU_DEP_3) | instskip(NEXT) | instid1(VALU_DEP_2)
	v_add_co_ci_u32_e32 v2, vcc_lo, v3, v2, vcc_lo
	v_add_co_u32 v1, vcc_lo, v1, v5
	s_delay_alu instid0(VALU_DEP_2) | instskip(SKIP_1) | instid1(VALU_DEP_3)
	v_mov_b32_dpp v3, v2 quad_perm:[2,3,0,1] row_mask:0xf bank_mask:0xf
	v_add_co_ci_u32_e32 v2, vcc_lo, 0, v2, vcc_lo
	v_mov_b32_dpp v5, v1 row_ror:4 row_mask:0xf bank_mask:0xf
	v_add_co_u32 v1, vcc_lo, v1, 0
	s_delay_alu instid0(VALU_DEP_3) | instskip(NEXT) | instid1(VALU_DEP_2)
	v_add_co_ci_u32_e32 v2, vcc_lo, v2, v3, vcc_lo
	v_add_co_u32 v1, vcc_lo, v1, v5
	s_delay_alu instid0(VALU_DEP_2) | instskip(SKIP_1) | instid1(VALU_DEP_3)
	v_mov_b32_dpp v3, v2 row_ror:4 row_mask:0xf bank_mask:0xf
	v_add_co_ci_u32_e32 v2, vcc_lo, 0, v2, vcc_lo
	v_mov_b32_dpp v5, v1 row_ror:8 row_mask:0xf bank_mask:0xf
	v_add_co_u32 v1, vcc_lo, v1, 0
	s_delay_alu instid0(VALU_DEP_3) | instskip(NEXT) | instid1(VALU_DEP_2)
	v_add_co_ci_u32_e32 v2, vcc_lo, v2, v3, vcc_lo
	v_add_co_u32 v1, vcc_lo, v1, v5
	s_delay_alu instid0(VALU_DEP_2)
	v_mov_b32_dpp v3, v2 row_ror:8 row_mask:0xf bank_mask:0xf
	v_add_co_ci_u32_e32 v2, vcc_lo, 0, v2, vcc_lo
	ds_swizzle_b32 v5, v1 offset:swizzle(BROADCAST,32,15)
	v_add_co_u32 v1, vcc_lo, v1, 0
	v_add_co_ci_u32_e32 v2, vcc_lo, v2, v3, vcc_lo
	ds_swizzle_b32 v3, v2 offset:swizzle(BROADCAST,32,15)
	s_waitcnt lgkmcnt(1)
	v_add_co_u32 v1, vcc_lo, v1, v5
	v_add_co_ci_u32_e32 v2, vcc_lo, 0, v2, vcc_lo
	ds_bpermute_b32 v1, v4, v1 offset:124
	s_waitcnt lgkmcnt(1)
	v_add_nc_u32_e32 v2, v3, v2
	v_mbcnt_lo_u32_b32 v3, -1, 0
	ds_bpermute_b32 v2, v4, v2 offset:124
	v_cmpx_eq_u32_e32 0, v3
	s_cbranch_execz .LBB183_659
; %bb.658:
	v_lshrrev_b32_e32 v4, 2, v0
	s_delay_alu instid0(VALU_DEP_1)
	v_and_b32_e32 v4, 24, v4
	s_waitcnt lgkmcnt(0)
	ds_store_b64 v4, v[1:2] offset:160
.LBB183_659:
	s_or_b32 exec_lo, exec_lo, s3
	s_delay_alu instid0(SALU_CYCLE_1)
	s_mov_b32 s3, exec_lo
	s_waitcnt lgkmcnt(0)
	s_barrier
	buffer_gl0_inv
	v_cmpx_gt_u32_e32 32, v0
	s_cbranch_execz .LBB183_661
; %bb.660:
	v_and_b32_e32 v4, 3, v3
	s_delay_alu instid0(VALU_DEP_1) | instskip(SKIP_4) | instid1(VALU_DEP_2)
	v_lshlrev_b32_e32 v1, 3, v4
	v_cmp_ne_u32_e32 vcc_lo, 3, v4
	ds_load_b64 v[1:2], v1 offset:160
	v_add_co_ci_u32_e32 v5, vcc_lo, 0, v3, vcc_lo
	v_cmp_gt_u32_e32 vcc_lo, 2, v4
	v_lshlrev_b32_e32 v5, 2, v5
	v_cndmask_b32_e64 v4, 0, 1, vcc_lo
	s_delay_alu instid0(VALU_DEP_1) | instskip(NEXT) | instid1(VALU_DEP_1)
	v_lshlrev_b32_e32 v4, 1, v4
	v_add_lshl_u32 v3, v4, v3, 2
	s_waitcnt lgkmcnt(0)
	ds_bpermute_b32 v6, v5, v1
	ds_bpermute_b32 v5, v5, v2
	s_waitcnt lgkmcnt(1)
	v_add_co_u32 v1, vcc_lo, v1, v6
	v_add_co_ci_u32_e32 v2, vcc_lo, 0, v2, vcc_lo
	ds_bpermute_b32 v4, v3, v1
	v_add_co_u32 v1, vcc_lo, 0, v1
	s_waitcnt lgkmcnt(1)
	v_add_co_ci_u32_e32 v2, vcc_lo, v5, v2, vcc_lo
	ds_bpermute_b32 v3, v3, v2
	s_waitcnt lgkmcnt(1)
	v_add_co_u32 v1, vcc_lo, v1, v4
	v_add_co_ci_u32_e32 v2, vcc_lo, 0, v2, vcc_lo
	s_delay_alu instid0(VALU_DEP_2) | instskip(SKIP_1) | instid1(VALU_DEP_2)
	v_add_co_u32 v1, vcc_lo, v1, 0
	s_waitcnt lgkmcnt(0)
	v_add_co_ci_u32_e32 v2, vcc_lo, v2, v3, vcc_lo
.LBB183_661:
	s_or_b32 exec_lo, exec_lo, s3
	s_mov_b32 s3, 0
	s_branch .LBB183_663
.LBB183_662:
	s_mov_b32 s3, -1
                                        ; implicit-def: $vgpr1_vgpr2
.LBB183_663:
	s_delay_alu instid0(SALU_CYCLE_1)
	s_and_b32 vcc_lo, exec_lo, s3
	s_cbranch_vccz .LBB183_691
; %bb.664:
	s_sub_i32 s6, s20, s2
	s_mov_b32 s2, exec_lo
                                        ; implicit-def: $vgpr1_vgpr2_vgpr3_vgpr4_vgpr5_vgpr6_vgpr7_vgpr8
	v_cmpx_gt_u32_e64 s6, v0
	s_cbranch_execz .LBB183_666
; %bb.665:
	v_dual_mov_b32 v2, 0 :: v_dual_lshlrev_b32 v1, 2, v0
	global_load_b32 v1, v1, s[4:5]
	s_waitcnt vmcnt(0)
	v_cmp_ne_u32_e32 vcc_lo, 0, v1
	v_cndmask_b32_e64 v1, 0, 1, vcc_lo
.LBB183_666:
	s_or_b32 exec_lo, exec_lo, s2
	v_or_b32_e32 v9, 0x80, v0
	s_delay_alu instid0(VALU_DEP_1)
	v_cmp_gt_u32_e32 vcc_lo, s6, v9
	s_and_saveexec_b32 s3, vcc_lo
	s_cbranch_execz .LBB183_668
; %bb.667:
	s_waitcnt lgkmcnt(0)
	v_dual_mov_b32 v4, 0 :: v_dual_lshlrev_b32 v3, 2, v0
	global_load_b32 v3, v3, s[4:5] offset:512
	s_waitcnt vmcnt(0)
	v_cmp_ne_u32_e64 s2, 0, v3
	s_delay_alu instid0(VALU_DEP_1)
	v_cndmask_b32_e64 v3, 0, 1, s2
.LBB183_668:
	s_or_b32 exec_lo, exec_lo, s3
	v_or_b32_e32 v9, 0x100, v0
	s_delay_alu instid0(VALU_DEP_1) | instskip(NEXT) | instid1(VALU_DEP_1)
	v_cmp_gt_u32_e64 s2, s6, v9
	s_and_saveexec_b32 s7, s2
	s_cbranch_execz .LBB183_670
; %bb.669:
	s_waitcnt lgkmcnt(1)
	v_dual_mov_b32 v6, 0 :: v_dual_lshlrev_b32 v5, 2, v0
	global_load_b32 v5, v5, s[4:5] offset:1024
	s_waitcnt vmcnt(0)
	v_cmp_ne_u32_e64 s3, 0, v5
	s_delay_alu instid0(VALU_DEP_1)
	v_cndmask_b32_e64 v5, 0, 1, s3
.LBB183_670:
	s_or_b32 exec_lo, exec_lo, s7
	v_or_b32_e32 v9, 0x180, v0
	s_delay_alu instid0(VALU_DEP_1) | instskip(NEXT) | instid1(VALU_DEP_1)
	v_cmp_gt_u32_e64 s3, s6, v9
	s_and_saveexec_b32 s7, s3
	s_cbranch_execz .LBB183_672
; %bb.671:
	v_dual_mov_b32 v8, 0 :: v_dual_lshlrev_b32 v7, 2, v0
	global_load_b32 v7, v7, s[4:5] offset:1536
	s_waitcnt vmcnt(0)
	v_cmp_ne_u32_e64 s4, 0, v7
	s_delay_alu instid0(VALU_DEP_1)
	v_cndmask_b32_e64 v7, 0, 1, s4
.LBB183_672:
	s_or_b32 exec_lo, exec_lo, s7
	s_waitcnt lgkmcnt(0)
	v_dual_cndmask_b32 v9, 0, v3 :: v_dual_cndmask_b32 v4, 0, v4
	v_mbcnt_lo_u32_b32 v3, -1, 0
	v_cndmask_b32_e64 v5, 0, v5, s2
	s_delay_alu instid0(VALU_DEP_3) | instskip(NEXT) | instid1(VALU_DEP_4)
	v_add_co_u32 v1, vcc_lo, v9, v1
	v_add_co_ci_u32_e32 v2, vcc_lo, v4, v2, vcc_lo
	s_delay_alu instid0(VALU_DEP_4)
	v_cmp_ne_u32_e32 vcc_lo, 31, v3
	v_cndmask_b32_e64 v4, 0, v6, s2
	v_cndmask_b32_e64 v6, 0, v7, s3
	s_min_u32 s2, s6, 0x80
	v_add_co_ci_u32_e32 v7, vcc_lo, 0, v3, vcc_lo
	v_add_co_u32 v1, vcc_lo, v1, v5
	v_add_co_ci_u32_e32 v2, vcc_lo, v2, v4, vcc_lo
	v_cndmask_b32_e64 v4, 0, v8, s3
	s_delay_alu instid0(VALU_DEP_3) | instskip(SKIP_1) | instid1(VALU_DEP_3)
	v_add_co_u32 v1, vcc_lo, v1, v6
	v_lshlrev_b32_e32 v5, 2, v7
	v_add_co_ci_u32_e32 v2, vcc_lo, v2, v4, vcc_lo
	v_and_b32_e32 v4, 0x60, v0
	ds_bpermute_b32 v7, v5, v1
	ds_bpermute_b32 v6, v5, v2
	v_add_nc_u32_e32 v5, 1, v3
	v_sub_nc_u32_e64 v4, s2, v4 clamp
	s_delay_alu instid0(VALU_DEP_1)
	v_cmp_lt_u32_e32 vcc_lo, v5, v4
	v_mov_b32_e32 v5, v1
	s_and_saveexec_b32 s3, vcc_lo
	s_cbranch_execz .LBB183_674
; %bb.673:
	s_waitcnt lgkmcnt(1)
	v_add_co_u32 v5, vcc_lo, v1, v7
	v_add_co_ci_u32_e32 v2, vcc_lo, 0, v2, vcc_lo
	s_delay_alu instid0(VALU_DEP_2) | instskip(SKIP_1) | instid1(VALU_DEP_2)
	v_add_co_u32 v1, vcc_lo, v5, 0
	s_waitcnt lgkmcnt(0)
	v_add_co_ci_u32_e32 v2, vcc_lo, v2, v6, vcc_lo
.LBB183_674:
	s_or_b32 exec_lo, exec_lo, s3
	v_cmp_gt_u32_e32 vcc_lo, 30, v3
	v_add_nc_u32_e32 v8, 2, v3
	s_mov_b32 s3, exec_lo
	s_waitcnt lgkmcnt(0)
	v_cndmask_b32_e64 v6, 0, 1, vcc_lo
	s_delay_alu instid0(VALU_DEP_1) | instskip(NEXT) | instid1(VALU_DEP_1)
	v_lshlrev_b32_e32 v6, 1, v6
	v_add_lshl_u32 v6, v6, v3, 2
	ds_bpermute_b32 v7, v6, v5
	ds_bpermute_b32 v6, v6, v2
	v_cmpx_lt_u32_e64 v8, v4
	s_cbranch_execz .LBB183_676
; %bb.675:
	s_waitcnt lgkmcnt(1)
	v_add_co_u32 v5, vcc_lo, v1, v7
	v_add_co_ci_u32_e32 v2, vcc_lo, 0, v2, vcc_lo
	s_delay_alu instid0(VALU_DEP_2) | instskip(SKIP_1) | instid1(VALU_DEP_2)
	v_add_co_u32 v1, vcc_lo, 0, v5
	s_waitcnt lgkmcnt(0)
	v_add_co_ci_u32_e32 v2, vcc_lo, v6, v2, vcc_lo
.LBB183_676:
	s_or_b32 exec_lo, exec_lo, s3
	v_cmp_gt_u32_e32 vcc_lo, 28, v3
	v_add_nc_u32_e32 v8, 4, v3
	s_mov_b32 s3, exec_lo
	s_waitcnt lgkmcnt(0)
	v_cndmask_b32_e64 v6, 0, 1, vcc_lo
	s_delay_alu instid0(VALU_DEP_1) | instskip(NEXT) | instid1(VALU_DEP_1)
	v_lshlrev_b32_e32 v6, 2, v6
	v_add_lshl_u32 v6, v6, v3, 2
	ds_bpermute_b32 v7, v6, v5
	ds_bpermute_b32 v6, v6, v2
	v_cmpx_lt_u32_e64 v8, v4
	;; [unrolled: 22-line block ×3, first 2 shown]
	s_cbranch_execz .LBB183_680
; %bb.679:
	s_waitcnt lgkmcnt(1)
	v_add_co_u32 v5, vcc_lo, v1, v7
	v_add_co_ci_u32_e32 v2, vcc_lo, 0, v2, vcc_lo
	s_delay_alu instid0(VALU_DEP_2) | instskip(SKIP_1) | instid1(VALU_DEP_2)
	v_add_co_u32 v1, vcc_lo, 0, v5
	s_waitcnt lgkmcnt(0)
	v_add_co_ci_u32_e32 v2, vcc_lo, v6, v2, vcc_lo
.LBB183_680:
	s_or_b32 exec_lo, exec_lo, s3
	v_cmp_gt_u32_e32 vcc_lo, 16, v3
	s_mov_b32 s3, exec_lo
	s_waitcnt lgkmcnt(0)
	v_cndmask_b32_e64 v6, 0, 1, vcc_lo
	s_delay_alu instid0(VALU_DEP_1) | instskip(NEXT) | instid1(VALU_DEP_1)
	v_lshlrev_b32_e32 v6, 4, v6
	v_add_lshl_u32 v7, v6, v3, 2
	ds_bpermute_b32 v6, v7, v5
	ds_bpermute_b32 v5, v7, v2
	v_add_nc_u32_e32 v7, 16, v3
	s_delay_alu instid0(VALU_DEP_1)
	v_cmpx_lt_u32_e64 v7, v4
	s_cbranch_execz .LBB183_682
; %bb.681:
	s_waitcnt lgkmcnt(1)
	v_add_co_u32 v1, vcc_lo, v1, v6
	v_add_co_ci_u32_e32 v2, vcc_lo, 0, v2, vcc_lo
	s_delay_alu instid0(VALU_DEP_2) | instskip(SKIP_1) | instid1(VALU_DEP_2)
	v_add_co_u32 v1, vcc_lo, v1, 0
	s_waitcnt lgkmcnt(0)
	v_add_co_ci_u32_e32 v2, vcc_lo, v2, v5, vcc_lo
.LBB183_682:
	s_or_b32 exec_lo, exec_lo, s3
	s_delay_alu instid0(SALU_CYCLE_1)
	s_mov_b32 s3, exec_lo
	v_cmpx_eq_u32_e32 0, v3
	s_cbranch_execz .LBB183_684
; %bb.683:
	v_lshrrev_b32_e32 v4, 2, v0
	s_delay_alu instid0(VALU_DEP_1)
	v_and_b32_e32 v4, 24, v4
	ds_store_b64 v4, v[1:2] offset:256
.LBB183_684:
	s_or_b32 exec_lo, exec_lo, s3
	s_delay_alu instid0(SALU_CYCLE_1)
	s_mov_b32 s3, exec_lo
	s_waitcnt lgkmcnt(0)
	s_barrier
	buffer_gl0_inv
	v_cmpx_gt_u32_e32 4, v0
	s_cbranch_execz .LBB183_690
; %bb.685:
	v_lshlrev_b32_e32 v1, 3, v3
	s_add_i32 s2, s2, 31
	s_delay_alu instid0(SALU_CYCLE_1) | instskip(SKIP_2) | instid1(VALU_DEP_1)
	s_lshr_b32 s2, s2, 5
	ds_load_b64 v[1:2], v1 offset:256
	v_and_b32_e32 v4, 3, v3
	v_cmp_ne_u32_e32 vcc_lo, 3, v4
	v_add_co_ci_u32_e32 v5, vcc_lo, 0, v3, vcc_lo
	s_delay_alu instid0(VALU_DEP_1) | instskip(SKIP_4) | instid1(VALU_DEP_1)
	v_lshlrev_b32_e32 v5, 2, v5
	s_waitcnt lgkmcnt(0)
	ds_bpermute_b32 v7, v5, v1
	ds_bpermute_b32 v6, v5, v2
	v_add_nc_u32_e32 v5, 1, v4
	v_cmp_gt_u32_e32 vcc_lo, s2, v5
	v_mov_b32_e32 v5, v1
	s_and_saveexec_b32 s4, vcc_lo
	s_cbranch_execz .LBB183_687
; %bb.686:
	s_waitcnt lgkmcnt(1)
	v_add_co_u32 v5, vcc_lo, v1, v7
	v_add_co_ci_u32_e32 v2, vcc_lo, 0, v2, vcc_lo
	s_delay_alu instid0(VALU_DEP_2) | instskip(SKIP_1) | instid1(VALU_DEP_2)
	v_add_co_u32 v1, vcc_lo, 0, v5
	s_waitcnt lgkmcnt(0)
	v_add_co_ci_u32_e32 v2, vcc_lo, v6, v2, vcc_lo
.LBB183_687:
	s_or_b32 exec_lo, exec_lo, s4
	v_cmp_gt_u32_e32 vcc_lo, 2, v4
	v_add_nc_u32_e32 v4, 2, v4
	s_waitcnt lgkmcnt(0)
	v_cndmask_b32_e64 v6, 0, 1, vcc_lo
	s_delay_alu instid0(VALU_DEP_2) | instskip(NEXT) | instid1(VALU_DEP_2)
	v_cmp_gt_u32_e32 vcc_lo, s2, v4
	v_lshlrev_b32_e32 v6, 1, v6
	s_delay_alu instid0(VALU_DEP_1)
	v_add_lshl_u32 v3, v6, v3, 2
	ds_bpermute_b32 v5, v3, v5
	ds_bpermute_b32 v3, v3, v2
	s_and_saveexec_b32 s2, vcc_lo
	s_cbranch_execz .LBB183_689
; %bb.688:
	s_waitcnt lgkmcnt(1)
	v_add_co_u32 v1, vcc_lo, v1, v5
	v_add_co_ci_u32_e32 v2, vcc_lo, 0, v2, vcc_lo
	s_delay_alu instid0(VALU_DEP_2) | instskip(SKIP_1) | instid1(VALU_DEP_2)
	v_add_co_u32 v1, vcc_lo, v1, 0
	s_waitcnt lgkmcnt(0)
	v_add_co_ci_u32_e32 v2, vcc_lo, v2, v3, vcc_lo
.LBB183_689:
	s_or_b32 exec_lo, exec_lo, s2
.LBB183_690:
	s_delay_alu instid0(SALU_CYCLE_1)
	s_or_b32 exec_lo, exec_lo, s3
.LBB183_691:
	v_cmp_eq_u32_e64 s2, 0, v0
.LBB183_692:
	s_branch .LBB183_758
.LBB183_693:
	s_cmp_gt_i32 s26, 1
	s_cbranch_scc0 .LBB183_702
; %bb.694:
	s_cmp_eq_u32 s26, 2
                                        ; implicit-def: $vgpr1_vgpr2
	s_cbranch_scc0 .LBB183_703
; %bb.695:
	s_mov_b32 s19, 0
	s_lshl_b32 s4, s18, 8
	s_mov_b32 s5, s19
	s_lshr_b64 s[6:7], s[20:21], 8
	s_lshl_b64 s[2:3], s[4:5], 2
	s_delay_alu instid0(SALU_CYCLE_1)
	s_add_u32 s2, s24, s2
	s_addc_u32 s3, s25, s3
	s_cmp_lg_u64 s[6:7], s[18:19]
	s_cbranch_scc0 .LBB183_704
; %bb.696:
	v_dual_mov_b32 v4, 0 :: v_dual_lshlrev_b32 v1, 2, v0
	s_clause 0x1
	global_load_b32 v2, v1, s[2:3]
	global_load_b32 v1, v1, s[2:3] offset:512
	s_waitcnt vmcnt(1)
	v_cmp_ne_u32_e32 vcc_lo, 0, v2
	v_cndmask_b32_e64 v2, 0, 1, vcc_lo
	s_waitcnt vmcnt(0)
	v_cmp_ne_u32_e32 vcc_lo, 0, v1
	v_cndmask_b32_e64 v1, 0, 1, vcc_lo
	s_delay_alu instid0(VALU_DEP_1) | instskip(NEXT) | instid1(VALU_DEP_1)
	v_add_co_u32 v1, s5, v1, v2
	v_add_co_ci_u32_e64 v2, null, 0, 0, s5
	s_mov_b32 s5, exec_lo
	s_waitcnt lgkmcnt(0)
	s_delay_alu instid0(VALU_DEP_2) | instskip(NEXT) | instid1(VALU_DEP_1)
	v_mov_b32_dpp v3, v1 quad_perm:[1,0,3,2] row_mask:0xf bank_mask:0xf
	v_add_co_u32 v1, vcc_lo, v1, v3
	v_mov_b32_dpp v3, v4 quad_perm:[1,0,3,2] row_mask:0xf bank_mask:0xf
	v_add_co_ci_u32_e32 v2, vcc_lo, 0, v2, vcc_lo
	s_delay_alu instid0(VALU_DEP_3) | instskip(SKIP_1) | instid1(VALU_DEP_3)
	v_mov_b32_dpp v5, v1 quad_perm:[2,3,0,1] row_mask:0xf bank_mask:0xf
	v_add_co_u32 v1, vcc_lo, 0, v1
	v_add_co_ci_u32_e32 v2, vcc_lo, v3, v2, vcc_lo
	s_delay_alu instid0(VALU_DEP_2) | instskip(NEXT) | instid1(VALU_DEP_2)
	v_add_co_u32 v1, vcc_lo, v1, v5
	v_mov_b32_dpp v3, v2 quad_perm:[2,3,0,1] row_mask:0xf bank_mask:0xf
	v_add_co_ci_u32_e32 v2, vcc_lo, 0, v2, vcc_lo
	s_delay_alu instid0(VALU_DEP_3) | instskip(SKIP_1) | instid1(VALU_DEP_3)
	v_mov_b32_dpp v5, v1 row_ror:4 row_mask:0xf bank_mask:0xf
	v_add_co_u32 v1, vcc_lo, v1, 0
	v_add_co_ci_u32_e32 v2, vcc_lo, v2, v3, vcc_lo
	s_delay_alu instid0(VALU_DEP_2) | instskip(NEXT) | instid1(VALU_DEP_2)
	v_add_co_u32 v1, vcc_lo, v1, v5
	v_mov_b32_dpp v3, v2 row_ror:4 row_mask:0xf bank_mask:0xf
	v_add_co_ci_u32_e32 v2, vcc_lo, 0, v2, vcc_lo
	s_delay_alu instid0(VALU_DEP_3) | instskip(SKIP_1) | instid1(VALU_DEP_3)
	v_mov_b32_dpp v5, v1 row_ror:8 row_mask:0xf bank_mask:0xf
	v_add_co_u32 v1, vcc_lo, v1, 0
	v_add_co_ci_u32_e32 v2, vcc_lo, v2, v3, vcc_lo
	s_delay_alu instid0(VALU_DEP_2) | instskip(NEXT) | instid1(VALU_DEP_2)
	v_add_co_u32 v1, vcc_lo, v1, v5
	v_mov_b32_dpp v3, v2 row_ror:8 row_mask:0xf bank_mask:0xf
	v_add_co_ci_u32_e32 v2, vcc_lo, 0, v2, vcc_lo
	ds_swizzle_b32 v5, v1 offset:swizzle(BROADCAST,32,15)
	v_add_co_u32 v1, vcc_lo, v1, 0
	v_add_co_ci_u32_e32 v2, vcc_lo, v2, v3, vcc_lo
	ds_swizzle_b32 v3, v2 offset:swizzle(BROADCAST,32,15)
	s_waitcnt lgkmcnt(1)
	v_add_co_u32 v1, vcc_lo, v1, v5
	v_add_co_ci_u32_e32 v2, vcc_lo, 0, v2, vcc_lo
	ds_bpermute_b32 v1, v4, v1 offset:124
	s_waitcnt lgkmcnt(1)
	v_add_nc_u32_e32 v2, v3, v2
	v_mbcnt_lo_u32_b32 v3, -1, 0
	ds_bpermute_b32 v2, v4, v2 offset:124
	v_cmpx_eq_u32_e32 0, v3
	s_cbranch_execz .LBB183_698
; %bb.697:
	v_lshrrev_b32_e32 v4, 2, v0
	s_delay_alu instid0(VALU_DEP_1)
	v_and_b32_e32 v4, 24, v4
	s_waitcnt lgkmcnt(0)
	ds_store_b64 v4, v[1:2] offset:96
.LBB183_698:
	s_or_b32 exec_lo, exec_lo, s5
	s_delay_alu instid0(SALU_CYCLE_1)
	s_mov_b32 s5, exec_lo
	s_waitcnt lgkmcnt(0)
	s_barrier
	buffer_gl0_inv
	v_cmpx_gt_u32_e32 32, v0
	s_cbranch_execz .LBB183_700
; %bb.699:
	v_and_b32_e32 v4, 3, v3
	s_delay_alu instid0(VALU_DEP_1) | instskip(SKIP_4) | instid1(VALU_DEP_2)
	v_lshlrev_b32_e32 v1, 3, v4
	v_cmp_ne_u32_e32 vcc_lo, 3, v4
	ds_load_b64 v[1:2], v1 offset:96
	v_add_co_ci_u32_e32 v5, vcc_lo, 0, v3, vcc_lo
	v_cmp_gt_u32_e32 vcc_lo, 2, v4
	v_lshlrev_b32_e32 v5, 2, v5
	v_cndmask_b32_e64 v4, 0, 1, vcc_lo
	s_delay_alu instid0(VALU_DEP_1) | instskip(NEXT) | instid1(VALU_DEP_1)
	v_lshlrev_b32_e32 v4, 1, v4
	v_add_lshl_u32 v3, v4, v3, 2
	s_waitcnt lgkmcnt(0)
	ds_bpermute_b32 v6, v5, v1
	ds_bpermute_b32 v5, v5, v2
	s_waitcnt lgkmcnt(1)
	v_add_co_u32 v1, vcc_lo, v1, v6
	v_add_co_ci_u32_e32 v2, vcc_lo, 0, v2, vcc_lo
	ds_bpermute_b32 v4, v3, v1
	v_add_co_u32 v1, vcc_lo, 0, v1
	s_waitcnt lgkmcnt(1)
	v_add_co_ci_u32_e32 v2, vcc_lo, v5, v2, vcc_lo
	ds_bpermute_b32 v3, v3, v2
	s_waitcnt lgkmcnt(1)
	v_add_co_u32 v1, vcc_lo, v1, v4
	v_add_co_ci_u32_e32 v2, vcc_lo, 0, v2, vcc_lo
	s_delay_alu instid0(VALU_DEP_2) | instskip(SKIP_1) | instid1(VALU_DEP_2)
	v_add_co_u32 v1, vcc_lo, v1, 0
	s_waitcnt lgkmcnt(0)
	v_add_co_ci_u32_e32 v2, vcc_lo, v2, v3, vcc_lo
.LBB183_700:
	s_or_b32 exec_lo, exec_lo, s5
.LBB183_701:
	v_cmp_eq_u32_e64 s2, 0, v0
	s_branch .LBB183_758
.LBB183_702:
                                        ; implicit-def: $vgpr1_vgpr2
	s_cbranch_execnz .LBB183_728
	s_branch .LBB183_758
.LBB183_703:
	s_branch .LBB183_758
.LBB183_704:
                                        ; implicit-def: $vgpr1_vgpr2
	s_cbranch_execz .LBB183_701
; %bb.705:
	s_sub_i32 s4, s20, s4
	s_mov_b32 s5, exec_lo
                                        ; implicit-def: $vgpr1_vgpr2_vgpr3_vgpr4
	v_cmpx_gt_u32_e64 s4, v0
	s_cbranch_execz .LBB183_707
; %bb.706:
	v_dual_mov_b32 v2, 0 :: v_dual_lshlrev_b32 v1, 2, v0
	global_load_b32 v1, v1, s[2:3]
	s_waitcnt vmcnt(0)
	v_cmp_ne_u32_e32 vcc_lo, 0, v1
	v_cndmask_b32_e64 v1, 0, 1, vcc_lo
.LBB183_707:
	s_or_b32 exec_lo, exec_lo, s5
	s_waitcnt lgkmcnt(1)
	v_or_b32_e32 v5, 0x80, v0
	s_delay_alu instid0(VALU_DEP_1)
	v_cmp_gt_u32_e32 vcc_lo, s4, v5
	s_and_saveexec_b32 s5, vcc_lo
	s_cbranch_execz .LBB183_709
; %bb.708:
	s_waitcnt lgkmcnt(0)
	v_dual_mov_b32 v4, 0 :: v_dual_lshlrev_b32 v3, 2, v0
	global_load_b32 v3, v3, s[2:3] offset:512
	s_waitcnt vmcnt(0)
	v_cmp_ne_u32_e64 s2, 0, v3
	s_delay_alu instid0(VALU_DEP_1)
	v_cndmask_b32_e64 v3, 0, 1, s2
.LBB183_709:
	s_or_b32 exec_lo, exec_lo, s5
	v_mbcnt_lo_u32_b32 v5, -1, 0
	s_waitcnt lgkmcnt(0)
	s_delay_alu instid0(VALU_DEP_2) | instskip(NEXT) | instid1(VALU_DEP_2)
	v_dual_cndmask_b32 v3, 0, v3 :: v_dual_cndmask_b32 v4, 0, v4
	v_cmp_ne_u32_e64 s2, 31, v5
	s_delay_alu instid0(VALU_DEP_2) | instskip(NEXT) | instid1(VALU_DEP_3)
	v_add_co_u32 v1, vcc_lo, v3, v1
	v_add_co_ci_u32_e32 v2, vcc_lo, v4, v2, vcc_lo
	s_delay_alu instid0(VALU_DEP_3) | instskip(SKIP_3) | instid1(VALU_DEP_3)
	v_add_co_ci_u32_e64 v6, s2, 0, v5, s2
	v_and_b32_e32 v3, 0x60, v0
	s_min_u32 s2, s4, 0x80
	v_add_nc_u32_e32 v4, 1, v5
	v_lshlrev_b32_e32 v6, 2, v6
	s_delay_alu instid0(VALU_DEP_3)
	v_sub_nc_u32_e64 v3, s2, v3 clamp
	ds_bpermute_b32 v7, v6, v1
	ds_bpermute_b32 v6, v6, v2
	v_cmp_lt_u32_e32 vcc_lo, v4, v3
	v_mov_b32_e32 v4, v1
	s_and_saveexec_b32 s3, vcc_lo
	s_cbranch_execz .LBB183_711
; %bb.710:
	s_waitcnt lgkmcnt(1)
	v_add_co_u32 v4, vcc_lo, v1, v7
	v_add_co_ci_u32_e32 v2, vcc_lo, 0, v2, vcc_lo
	s_delay_alu instid0(VALU_DEP_2) | instskip(SKIP_1) | instid1(VALU_DEP_2)
	v_add_co_u32 v1, vcc_lo, 0, v4
	s_waitcnt lgkmcnt(0)
	v_add_co_ci_u32_e32 v2, vcc_lo, v6, v2, vcc_lo
.LBB183_711:
	s_or_b32 exec_lo, exec_lo, s3
	v_cmp_gt_u32_e32 vcc_lo, 30, v5
	v_add_nc_u32_e32 v8, 2, v5
	s_mov_b32 s3, exec_lo
	s_waitcnt lgkmcnt(0)
	v_cndmask_b32_e64 v6, 0, 1, vcc_lo
	s_delay_alu instid0(VALU_DEP_1) | instskip(NEXT) | instid1(VALU_DEP_1)
	v_lshlrev_b32_e32 v6, 1, v6
	v_add_lshl_u32 v6, v6, v5, 2
	ds_bpermute_b32 v7, v6, v4
	ds_bpermute_b32 v6, v6, v2
	v_cmpx_lt_u32_e64 v8, v3
	s_cbranch_execz .LBB183_713
; %bb.712:
	s_waitcnt lgkmcnt(1)
	v_add_co_u32 v4, vcc_lo, v1, v7
	v_add_co_ci_u32_e32 v2, vcc_lo, 0, v2, vcc_lo
	s_delay_alu instid0(VALU_DEP_2) | instskip(SKIP_1) | instid1(VALU_DEP_2)
	v_add_co_u32 v1, vcc_lo, 0, v4
	s_waitcnt lgkmcnt(0)
	v_add_co_ci_u32_e32 v2, vcc_lo, v6, v2, vcc_lo
.LBB183_713:
	s_or_b32 exec_lo, exec_lo, s3
	v_cmp_gt_u32_e32 vcc_lo, 28, v5
	v_add_nc_u32_e32 v8, 4, v5
	s_mov_b32 s3, exec_lo
	s_waitcnt lgkmcnt(0)
	v_cndmask_b32_e64 v6, 0, 1, vcc_lo
	s_delay_alu instid0(VALU_DEP_1) | instskip(NEXT) | instid1(VALU_DEP_1)
	v_lshlrev_b32_e32 v6, 2, v6
	v_add_lshl_u32 v6, v6, v5, 2
	ds_bpermute_b32 v7, v6, v4
	ds_bpermute_b32 v6, v6, v2
	v_cmpx_lt_u32_e64 v8, v3
	s_cbranch_execz .LBB183_715
; %bb.714:
	s_waitcnt lgkmcnt(1)
	v_add_co_u32 v4, vcc_lo, v1, v7
	v_add_co_ci_u32_e32 v2, vcc_lo, 0, v2, vcc_lo
	s_delay_alu instid0(VALU_DEP_2) | instskip(SKIP_1) | instid1(VALU_DEP_2)
	v_add_co_u32 v1, vcc_lo, 0, v4
	s_waitcnt lgkmcnt(0)
	v_add_co_ci_u32_e32 v2, vcc_lo, v6, v2, vcc_lo
.LBB183_715:
	s_or_b32 exec_lo, exec_lo, s3
	v_cmp_gt_u32_e32 vcc_lo, 24, v5
	v_add_nc_u32_e32 v8, 8, v5
	s_mov_b32 s3, exec_lo
	s_waitcnt lgkmcnt(0)
	v_cndmask_b32_e64 v6, 0, 1, vcc_lo
	s_delay_alu instid0(VALU_DEP_1) | instskip(NEXT) | instid1(VALU_DEP_1)
	v_lshlrev_b32_e32 v6, 3, v6
	v_add_lshl_u32 v6, v6, v5, 2
	ds_bpermute_b32 v7, v6, v4
	ds_bpermute_b32 v6, v6, v2
	v_cmpx_lt_u32_e64 v8, v3
	s_cbranch_execz .LBB183_717
; %bb.716:
	s_waitcnt lgkmcnt(1)
	v_add_co_u32 v4, vcc_lo, v1, v7
	v_add_co_ci_u32_e32 v2, vcc_lo, 0, v2, vcc_lo
	s_delay_alu instid0(VALU_DEP_2) | instskip(SKIP_1) | instid1(VALU_DEP_2)
	v_add_co_u32 v1, vcc_lo, 0, v4
	s_waitcnt lgkmcnt(0)
	v_add_co_ci_u32_e32 v2, vcc_lo, v6, v2, vcc_lo
.LBB183_717:
	s_or_b32 exec_lo, exec_lo, s3
	v_cmp_gt_u32_e32 vcc_lo, 16, v5
	s_mov_b32 s3, exec_lo
	s_waitcnt lgkmcnt(0)
	v_cndmask_b32_e64 v6, 0, 1, vcc_lo
	s_delay_alu instid0(VALU_DEP_1) | instskip(NEXT) | instid1(VALU_DEP_1)
	v_lshlrev_b32_e32 v6, 4, v6
	v_add_lshl_u32 v7, v6, v5, 2
	ds_bpermute_b32 v6, v7, v4
	ds_bpermute_b32 v4, v7, v2
	v_add_nc_u32_e32 v7, 16, v5
	s_delay_alu instid0(VALU_DEP_1)
	v_cmpx_lt_u32_e64 v7, v3
	s_cbranch_execz .LBB183_719
; %bb.718:
	s_waitcnt lgkmcnt(1)
	v_add_co_u32 v1, vcc_lo, v1, v6
	v_add_co_ci_u32_e32 v2, vcc_lo, 0, v2, vcc_lo
	s_delay_alu instid0(VALU_DEP_2) | instskip(SKIP_1) | instid1(VALU_DEP_2)
	v_add_co_u32 v1, vcc_lo, v1, 0
	s_waitcnt lgkmcnt(0)
	v_add_co_ci_u32_e32 v2, vcc_lo, v2, v4, vcc_lo
.LBB183_719:
	s_or_b32 exec_lo, exec_lo, s3
	s_delay_alu instid0(SALU_CYCLE_1)
	s_mov_b32 s3, exec_lo
	v_cmpx_eq_u32_e32 0, v5
	s_cbranch_execz .LBB183_721
; %bb.720:
	v_lshrrev_b32_e32 v3, 2, v0
	s_delay_alu instid0(VALU_DEP_1)
	v_and_b32_e32 v3, 24, v3
	ds_store_b64 v3, v[1:2] offset:256
.LBB183_721:
	s_or_b32 exec_lo, exec_lo, s3
	s_delay_alu instid0(SALU_CYCLE_1)
	s_mov_b32 s3, exec_lo
	s_waitcnt lgkmcnt(0)
	s_barrier
	buffer_gl0_inv
	v_cmpx_gt_u32_e32 4, v0
	s_cbranch_execz .LBB183_727
; %bb.722:
	v_lshlrev_b32_e32 v1, 3, v5
	s_add_i32 s2, s2, 31
	s_delay_alu instid0(SALU_CYCLE_1) | instskip(SKIP_2) | instid1(VALU_DEP_1)
	s_lshr_b32 s2, s2, 5
	ds_load_b64 v[1:2], v1 offset:256
	v_and_b32_e32 v3, 3, v5
	v_cmp_ne_u32_e32 vcc_lo, 3, v3
	v_add_co_ci_u32_e32 v4, vcc_lo, 0, v5, vcc_lo
	s_delay_alu instid0(VALU_DEP_1) | instskip(SKIP_4) | instid1(VALU_DEP_1)
	v_lshlrev_b32_e32 v4, 2, v4
	s_waitcnt lgkmcnt(0)
	ds_bpermute_b32 v7, v4, v1
	ds_bpermute_b32 v6, v4, v2
	v_add_nc_u32_e32 v4, 1, v3
	v_cmp_gt_u32_e32 vcc_lo, s2, v4
	v_mov_b32_e32 v4, v1
	s_and_saveexec_b32 s4, vcc_lo
	s_cbranch_execz .LBB183_724
; %bb.723:
	s_waitcnt lgkmcnt(1)
	v_add_co_u32 v4, vcc_lo, v1, v7
	v_add_co_ci_u32_e32 v2, vcc_lo, 0, v2, vcc_lo
	s_delay_alu instid0(VALU_DEP_2) | instskip(SKIP_1) | instid1(VALU_DEP_2)
	v_add_co_u32 v1, vcc_lo, 0, v4
	s_waitcnt lgkmcnt(0)
	v_add_co_ci_u32_e32 v2, vcc_lo, v6, v2, vcc_lo
.LBB183_724:
	s_or_b32 exec_lo, exec_lo, s4
	v_cmp_gt_u32_e32 vcc_lo, 2, v3
	v_add_nc_u32_e32 v3, 2, v3
	s_waitcnt lgkmcnt(0)
	v_cndmask_b32_e64 v6, 0, 1, vcc_lo
	s_delay_alu instid0(VALU_DEP_2) | instskip(NEXT) | instid1(VALU_DEP_2)
	v_cmp_gt_u32_e32 vcc_lo, s2, v3
	v_lshlrev_b32_e32 v6, 1, v6
	s_delay_alu instid0(VALU_DEP_1)
	v_add_lshl_u32 v6, v6, v5, 2
	ds_bpermute_b32 v5, v6, v4
	ds_bpermute_b32 v4, v6, v2
	s_and_saveexec_b32 s2, vcc_lo
	s_cbranch_execz .LBB183_726
; %bb.725:
	s_waitcnt lgkmcnt(1)
	v_add_co_u32 v1, vcc_lo, v1, v5
	v_add_co_ci_u32_e32 v2, vcc_lo, 0, v2, vcc_lo
	s_delay_alu instid0(VALU_DEP_2) | instskip(SKIP_1) | instid1(VALU_DEP_2)
	v_add_co_u32 v1, vcc_lo, v1, 0
	s_waitcnt lgkmcnt(0)
	v_add_co_ci_u32_e32 v2, vcc_lo, v2, v4, vcc_lo
.LBB183_726:
	s_or_b32 exec_lo, exec_lo, s2
.LBB183_727:
	s_delay_alu instid0(SALU_CYCLE_1)
	s_or_b32 exec_lo, exec_lo, s3
	v_cmp_eq_u32_e64 s2, 0, v0
	s_branch .LBB183_758
.LBB183_728:
	s_cmp_eq_u32 s26, 1
                                        ; implicit-def: $vgpr1_vgpr2
	s_cbranch_scc0 .LBB183_758
; %bb.729:
	s_mov_b32 s3, 0
	s_waitcnt lgkmcnt(0)
	v_mbcnt_lo_u32_b32 v3, -1, 0
	s_lshr_b64 s[4:5], s[20:21], 7
	s_mov_b32 s19, s3
	s_lshl_b32 s2, s18, 7
	s_cmp_lg_u64 s[4:5], s[18:19]
	s_cbranch_scc0 .LBB183_735
; %bb.730:
	s_lshl_b64 s[4:5], s[2:3], 2
	v_dual_mov_b32 v4, 0 :: v_dual_lshlrev_b32 v1, 2, v0
	s_add_u32 s4, s24, s4
	s_addc_u32 s5, s25, s5
	global_load_b32 v1, v1, s[4:5]
	s_waitcnt vmcnt(0)
	v_cmp_ne_u32_e32 vcc_lo, 0, v1
	v_cndmask_b32_e64 v1, 0, 1, vcc_lo
	s_delay_alu instid0(VALU_DEP_1) | instskip(NEXT) | instid1(VALU_DEP_1)
	v_mov_b32_dpp v2, v1 quad_perm:[1,0,3,2] row_mask:0xf bank_mask:0xf
	v_add_co_u32 v1, s4, v2, v1
	v_mov_b32_dpp v2, v4 quad_perm:[1,0,3,2] row_mask:0xf bank_mask:0xf
	v_add_co_ci_u32_e64 v5, null, 0, 0, s4
	s_delay_alu instid0(VALU_DEP_3) | instskip(SKIP_1) | instid1(VALU_DEP_3)
	v_mov_b32_dpp v6, v1 quad_perm:[2,3,0,1] row_mask:0xf bank_mask:0xf
	v_add_co_u32 v1, vcc_lo, 0, v1
	v_add_co_ci_u32_e32 v2, vcc_lo, v2, v5, vcc_lo
	s_mov_b32 s4, exec_lo
	s_delay_alu instid0(VALU_DEP_2) | instskip(NEXT) | instid1(VALU_DEP_2)
	v_add_co_u32 v1, vcc_lo, v1, v6
	v_mov_b32_dpp v5, v2 quad_perm:[2,3,0,1] row_mask:0xf bank_mask:0xf
	v_add_co_ci_u32_e32 v2, vcc_lo, 0, v2, vcc_lo
	s_delay_alu instid0(VALU_DEP_3) | instskip(SKIP_1) | instid1(VALU_DEP_3)
	v_mov_b32_dpp v6, v1 row_ror:4 row_mask:0xf bank_mask:0xf
	v_add_co_u32 v1, vcc_lo, v1, 0
	v_add_co_ci_u32_e32 v2, vcc_lo, v2, v5, vcc_lo
	s_delay_alu instid0(VALU_DEP_2) | instskip(NEXT) | instid1(VALU_DEP_2)
	v_add_co_u32 v1, vcc_lo, v1, v6
	v_mov_b32_dpp v5, v2 row_ror:4 row_mask:0xf bank_mask:0xf
	v_add_co_ci_u32_e32 v2, vcc_lo, 0, v2, vcc_lo
	s_delay_alu instid0(VALU_DEP_3) | instskip(SKIP_1) | instid1(VALU_DEP_3)
	v_mov_b32_dpp v6, v1 row_ror:8 row_mask:0xf bank_mask:0xf
	v_add_co_u32 v1, vcc_lo, v1, 0
	v_add_co_ci_u32_e32 v2, vcc_lo, v2, v5, vcc_lo
	s_delay_alu instid0(VALU_DEP_2) | instskip(NEXT) | instid1(VALU_DEP_2)
	v_add_co_u32 v1, vcc_lo, v1, v6
	v_mov_b32_dpp v5, v2 row_ror:8 row_mask:0xf bank_mask:0xf
	v_add_co_ci_u32_e32 v2, vcc_lo, 0, v2, vcc_lo
	ds_swizzle_b32 v6, v1 offset:swizzle(BROADCAST,32,15)
	v_add_co_u32 v1, vcc_lo, v1, 0
	v_add_co_ci_u32_e32 v2, vcc_lo, v2, v5, vcc_lo
	ds_swizzle_b32 v5, v2 offset:swizzle(BROADCAST,32,15)
	s_waitcnt lgkmcnt(1)
	v_add_co_u32 v1, vcc_lo, v1, v6
	v_add_co_ci_u32_e32 v2, vcc_lo, 0, v2, vcc_lo
	ds_bpermute_b32 v1, v4, v1 offset:124
	s_waitcnt lgkmcnt(1)
	v_add_nc_u32_e32 v2, v5, v2
	ds_bpermute_b32 v2, v4, v2 offset:124
	v_cmpx_eq_u32_e32 0, v3
	s_cbranch_execz .LBB183_732
; %bb.731:
	v_lshrrev_b32_e32 v4, 2, v0
	s_delay_alu instid0(VALU_DEP_1)
	v_and_b32_e32 v4, 24, v4
	s_waitcnt lgkmcnt(0)
	ds_store_b64 v4, v[1:2] offset:64
.LBB183_732:
	s_or_b32 exec_lo, exec_lo, s4
	s_delay_alu instid0(SALU_CYCLE_1)
	s_mov_b32 s4, exec_lo
	s_waitcnt lgkmcnt(0)
	s_barrier
	buffer_gl0_inv
	v_cmpx_gt_u32_e32 32, v0
	s_cbranch_execz .LBB183_734
; %bb.733:
	v_and_b32_e32 v4, 3, v3
	s_delay_alu instid0(VALU_DEP_1) | instskip(SKIP_4) | instid1(VALU_DEP_2)
	v_lshlrev_b32_e32 v1, 3, v4
	v_cmp_ne_u32_e32 vcc_lo, 3, v4
	ds_load_b64 v[1:2], v1 offset:64
	v_add_co_ci_u32_e32 v5, vcc_lo, 0, v3, vcc_lo
	v_cmp_gt_u32_e32 vcc_lo, 2, v4
	v_lshlrev_b32_e32 v5, 2, v5
	v_cndmask_b32_e64 v4, 0, 1, vcc_lo
	s_delay_alu instid0(VALU_DEP_1) | instskip(NEXT) | instid1(VALU_DEP_1)
	v_lshlrev_b32_e32 v4, 1, v4
	v_add_lshl_u32 v4, v4, v3, 2
	s_waitcnt lgkmcnt(0)
	ds_bpermute_b32 v6, v5, v1
	ds_bpermute_b32 v5, v5, v2
	s_waitcnt lgkmcnt(1)
	v_add_co_u32 v1, vcc_lo, v1, v6
	v_add_co_ci_u32_e32 v2, vcc_lo, 0, v2, vcc_lo
	ds_bpermute_b32 v6, v4, v1
	v_add_co_u32 v1, vcc_lo, 0, v1
	s_waitcnt lgkmcnt(1)
	v_add_co_ci_u32_e32 v2, vcc_lo, v5, v2, vcc_lo
	ds_bpermute_b32 v4, v4, v2
	s_waitcnt lgkmcnt(1)
	v_add_co_u32 v1, vcc_lo, v1, v6
	v_add_co_ci_u32_e32 v2, vcc_lo, 0, v2, vcc_lo
	s_delay_alu instid0(VALU_DEP_2) | instskip(SKIP_1) | instid1(VALU_DEP_2)
	v_add_co_u32 v1, vcc_lo, v1, 0
	s_waitcnt lgkmcnt(0)
	v_add_co_ci_u32_e32 v2, vcc_lo, v2, v4, vcc_lo
.LBB183_734:
	s_or_b32 exec_lo, exec_lo, s4
	s_branch .LBB183_757
.LBB183_735:
                                        ; implicit-def: $vgpr1_vgpr2
	s_cbranch_execz .LBB183_757
; %bb.736:
	s_sub_i32 s4, s20, s2
	s_mov_b32 s5, exec_lo
                                        ; implicit-def: $vgpr1_vgpr2
	v_cmpx_gt_u32_e64 s4, v0
	s_cbranch_execz .LBB183_738
; %bb.737:
	s_lshl_b64 s[2:3], s[2:3], 2
	v_lshlrev_b32_e32 v1, 2, v0
	s_add_u32 s2, s24, s2
	s_addc_u32 s3, s25, s3
	global_load_b32 v1, v1, s[2:3]
	s_mov_b32 s2, 0
	s_delay_alu instid0(SALU_CYCLE_1)
	v_mov_b32_e32 v2, s2
	s_waitcnt vmcnt(0)
	v_cmp_ne_u32_e32 vcc_lo, 0, v1
	v_cndmask_b32_e64 v1, 0, 1, vcc_lo
.LBB183_738:
	s_or_b32 exec_lo, exec_lo, s5
	v_cmp_ne_u32_e32 vcc_lo, 31, v3
	s_min_u32 s2, s4, 0x80
	v_add_nc_u32_e32 v5, 1, v3
	v_add_co_ci_u32_e32 v4, vcc_lo, 0, v3, vcc_lo
	s_delay_alu instid0(VALU_DEP_1) | instskip(SKIP_3) | instid1(VALU_DEP_1)
	v_lshlrev_b32_e32 v4, 2, v4
	ds_bpermute_b32 v7, v4, v1
	ds_bpermute_b32 v6, v4, v2
	v_and_b32_e32 v4, 0x60, v0
	v_sub_nc_u32_e64 v4, s2, v4 clamp
	s_delay_alu instid0(VALU_DEP_1)
	v_cmp_lt_u32_e32 vcc_lo, v5, v4
	v_mov_b32_e32 v5, v1
	s_and_saveexec_b32 s3, vcc_lo
	s_cbranch_execz .LBB183_740
; %bb.739:
	s_waitcnt lgkmcnt(1)
	v_add_co_u32 v5, vcc_lo, v1, v7
	v_add_co_ci_u32_e32 v2, vcc_lo, 0, v2, vcc_lo
	s_delay_alu instid0(VALU_DEP_2) | instskip(SKIP_1) | instid1(VALU_DEP_2)
	v_add_co_u32 v1, vcc_lo, 0, v5
	s_waitcnt lgkmcnt(0)
	v_add_co_ci_u32_e32 v2, vcc_lo, v6, v2, vcc_lo
.LBB183_740:
	s_or_b32 exec_lo, exec_lo, s3
	v_cmp_gt_u32_e32 vcc_lo, 30, v3
	v_add_nc_u32_e32 v8, 2, v3
	s_mov_b32 s3, exec_lo
	s_waitcnt lgkmcnt(0)
	v_cndmask_b32_e64 v6, 0, 1, vcc_lo
	s_delay_alu instid0(VALU_DEP_1) | instskip(NEXT) | instid1(VALU_DEP_1)
	v_lshlrev_b32_e32 v6, 1, v6
	v_add_lshl_u32 v6, v6, v3, 2
	ds_bpermute_b32 v7, v6, v5
	ds_bpermute_b32 v6, v6, v2
	v_cmpx_lt_u32_e64 v8, v4
	s_cbranch_execz .LBB183_742
; %bb.741:
	s_waitcnt lgkmcnt(1)
	v_add_co_u32 v5, vcc_lo, v1, v7
	v_add_co_ci_u32_e32 v2, vcc_lo, 0, v2, vcc_lo
	s_delay_alu instid0(VALU_DEP_2) | instskip(SKIP_1) | instid1(VALU_DEP_2)
	v_add_co_u32 v1, vcc_lo, 0, v5
	s_waitcnt lgkmcnt(0)
	v_add_co_ci_u32_e32 v2, vcc_lo, v6, v2, vcc_lo
.LBB183_742:
	s_or_b32 exec_lo, exec_lo, s3
	v_cmp_gt_u32_e32 vcc_lo, 28, v3
	v_add_nc_u32_e32 v8, 4, v3
	s_mov_b32 s3, exec_lo
	s_waitcnt lgkmcnt(0)
	v_cndmask_b32_e64 v6, 0, 1, vcc_lo
	s_delay_alu instid0(VALU_DEP_1) | instskip(NEXT) | instid1(VALU_DEP_1)
	v_lshlrev_b32_e32 v6, 2, v6
	v_add_lshl_u32 v6, v6, v3, 2
	ds_bpermute_b32 v7, v6, v5
	ds_bpermute_b32 v6, v6, v2
	v_cmpx_lt_u32_e64 v8, v4
	;; [unrolled: 22-line block ×3, first 2 shown]
	s_cbranch_execz .LBB183_746
; %bb.745:
	s_waitcnt lgkmcnt(1)
	v_add_co_u32 v5, vcc_lo, v1, v7
	v_add_co_ci_u32_e32 v2, vcc_lo, 0, v2, vcc_lo
	s_delay_alu instid0(VALU_DEP_2) | instskip(SKIP_1) | instid1(VALU_DEP_2)
	v_add_co_u32 v1, vcc_lo, 0, v5
	s_waitcnt lgkmcnt(0)
	v_add_co_ci_u32_e32 v2, vcc_lo, v6, v2, vcc_lo
.LBB183_746:
	s_or_b32 exec_lo, exec_lo, s3
	v_cmp_gt_u32_e32 vcc_lo, 16, v3
	s_mov_b32 s3, exec_lo
	s_waitcnt lgkmcnt(0)
	v_cndmask_b32_e64 v6, 0, 1, vcc_lo
	s_delay_alu instid0(VALU_DEP_1) | instskip(NEXT) | instid1(VALU_DEP_1)
	v_lshlrev_b32_e32 v6, 4, v6
	v_add_lshl_u32 v7, v6, v3, 2
	ds_bpermute_b32 v6, v7, v5
	ds_bpermute_b32 v5, v7, v2
	v_add_nc_u32_e32 v7, 16, v3
	s_delay_alu instid0(VALU_DEP_1)
	v_cmpx_lt_u32_e64 v7, v4
	s_cbranch_execz .LBB183_748
; %bb.747:
	s_waitcnt lgkmcnt(1)
	v_add_co_u32 v1, vcc_lo, v1, v6
	v_add_co_ci_u32_e32 v2, vcc_lo, 0, v2, vcc_lo
	s_delay_alu instid0(VALU_DEP_2) | instskip(SKIP_1) | instid1(VALU_DEP_2)
	v_add_co_u32 v1, vcc_lo, v1, 0
	s_waitcnt lgkmcnt(0)
	v_add_co_ci_u32_e32 v2, vcc_lo, v2, v5, vcc_lo
.LBB183_748:
	s_or_b32 exec_lo, exec_lo, s3
	s_delay_alu instid0(SALU_CYCLE_1)
	s_mov_b32 s3, exec_lo
	v_cmpx_eq_u32_e32 0, v3
	s_cbranch_execz .LBB183_750
; %bb.749:
	v_lshrrev_b32_e32 v4, 2, v0
	s_delay_alu instid0(VALU_DEP_1)
	v_and_b32_e32 v4, 24, v4
	ds_store_b64 v4, v[1:2] offset:256
.LBB183_750:
	s_or_b32 exec_lo, exec_lo, s3
	s_delay_alu instid0(SALU_CYCLE_1)
	s_mov_b32 s3, exec_lo
	s_waitcnt lgkmcnt(0)
	s_barrier
	buffer_gl0_inv
	v_cmpx_gt_u32_e32 4, v0
	s_cbranch_execz .LBB183_756
; %bb.751:
	v_lshlrev_b32_e32 v1, 3, v3
	s_add_i32 s2, s2, 31
	s_delay_alu instid0(SALU_CYCLE_1) | instskip(SKIP_2) | instid1(VALU_DEP_1)
	s_lshr_b32 s2, s2, 5
	ds_load_b64 v[1:2], v1 offset:256
	v_and_b32_e32 v4, 3, v3
	v_cmp_ne_u32_e32 vcc_lo, 3, v4
	v_add_co_ci_u32_e32 v5, vcc_lo, 0, v3, vcc_lo
	s_delay_alu instid0(VALU_DEP_1) | instskip(SKIP_4) | instid1(VALU_DEP_1)
	v_lshlrev_b32_e32 v5, 2, v5
	s_waitcnt lgkmcnt(0)
	ds_bpermute_b32 v7, v5, v1
	ds_bpermute_b32 v6, v5, v2
	v_add_nc_u32_e32 v5, 1, v4
	v_cmp_gt_u32_e32 vcc_lo, s2, v5
	v_mov_b32_e32 v5, v1
	s_and_saveexec_b32 s4, vcc_lo
	s_cbranch_execz .LBB183_753
; %bb.752:
	s_waitcnt lgkmcnt(1)
	v_add_co_u32 v5, vcc_lo, v1, v7
	v_add_co_ci_u32_e32 v2, vcc_lo, 0, v2, vcc_lo
	s_delay_alu instid0(VALU_DEP_2) | instskip(SKIP_1) | instid1(VALU_DEP_2)
	v_add_co_u32 v1, vcc_lo, 0, v5
	s_waitcnt lgkmcnt(0)
	v_add_co_ci_u32_e32 v2, vcc_lo, v6, v2, vcc_lo
.LBB183_753:
	s_or_b32 exec_lo, exec_lo, s4
	v_cmp_gt_u32_e32 vcc_lo, 2, v4
	v_add_nc_u32_e32 v4, 2, v4
	s_waitcnt lgkmcnt(0)
	v_cndmask_b32_e64 v6, 0, 1, vcc_lo
	s_delay_alu instid0(VALU_DEP_2) | instskip(NEXT) | instid1(VALU_DEP_2)
	v_cmp_gt_u32_e32 vcc_lo, s2, v4
	v_lshlrev_b32_e32 v6, 1, v6
	s_delay_alu instid0(VALU_DEP_1)
	v_add_lshl_u32 v3, v6, v3, 2
	ds_bpermute_b32 v5, v3, v5
	ds_bpermute_b32 v3, v3, v2
	s_and_saveexec_b32 s2, vcc_lo
	s_cbranch_execz .LBB183_755
; %bb.754:
	s_waitcnt lgkmcnt(1)
	v_add_co_u32 v1, vcc_lo, v1, v5
	v_add_co_ci_u32_e32 v2, vcc_lo, 0, v2, vcc_lo
	s_delay_alu instid0(VALU_DEP_2) | instskip(SKIP_1) | instid1(VALU_DEP_2)
	v_add_co_u32 v1, vcc_lo, v1, 0
	s_waitcnt lgkmcnt(0)
	v_add_co_ci_u32_e32 v2, vcc_lo, v2, v3, vcc_lo
.LBB183_755:
	s_or_b32 exec_lo, exec_lo, s2
.LBB183_756:
	s_delay_alu instid0(SALU_CYCLE_1)
	s_or_b32 exec_lo, exec_lo, s3
.LBB183_757:
	v_cmp_eq_u32_e64 s2, 0, v0
.LBB183_758:
	s_delay_alu instid0(VALU_DEP_1)
	s_and_saveexec_b32 s3, s2
	s_cbranch_execz .LBB183_760
; %bb.759:
	s_load_b64 s[0:1], s[0:1], 0x28
	s_cmp_lg_u64 s[20:21], 0
	s_cselect_b32 vcc_lo, -1, 0
	s_lshl_b64 s[2:3], s[18:19], 3
	v_cndmask_b32_e32 v0, 0, v1, vcc_lo
	v_cndmask_b32_e32 v2, 0, v2, vcc_lo
	s_waitcnt lgkmcnt(0)
	s_delay_alu instid0(VALU_DEP_2) | instskip(NEXT) | instid1(VALU_DEP_2)
	v_add_co_u32 v0, vcc_lo, v0, s0
	v_add_co_ci_u32_e32 v1, vcc_lo, s1, v2, vcc_lo
	v_mov_b32_e32 v2, 0
	s_add_u32 s0, s22, s2
	s_addc_u32 s1, s23, s3
	global_store_b64 v2, v[0:1], s[0:1]
.LBB183_760:
	s_nop 0
	s_sendmsg sendmsg(MSG_DEALLOC_VGPRS)
	s_endpgm
	.section	.rodata,"a",@progbits
	.p2align	6, 0x0
	.amdhsa_kernel _ZN7rocprim17ROCPRIM_400000_NS6detail17trampoline_kernelINS0_14default_configENS1_22reduce_config_selectorIbEEZNS1_11reduce_implILb1ES3_N6hipcub16HIPCUB_304000_NS22TransformInputIteratorIb7NonZeroIiEPilEEPllNS8_6detail34convert_binary_result_type_wrapperINS8_3SumESD_lEEEE10hipError_tPvRmT1_T2_T3_mT4_P12ihipStream_tbEUlT_E1_NS1_11comp_targetILNS1_3genE9ELNS1_11target_archE1100ELNS1_3gpuE3ELNS1_3repE0EEENS1_30default_config_static_selectorELNS0_4arch9wavefront6targetE0EEEvSM_
		.amdhsa_group_segment_fixed_size 288
		.amdhsa_private_segment_fixed_size 20
		.amdhsa_kernarg_size 56
		.amdhsa_user_sgpr_count 15
		.amdhsa_user_sgpr_dispatch_ptr 0
		.amdhsa_user_sgpr_queue_ptr 0
		.amdhsa_user_sgpr_kernarg_segment_ptr 1
		.amdhsa_user_sgpr_dispatch_id 0
		.amdhsa_user_sgpr_private_segment_size 0
		.amdhsa_wavefront_size32 1
		.amdhsa_uses_dynamic_stack 0
		.amdhsa_enable_private_segment 1
		.amdhsa_system_sgpr_workgroup_id_x 1
		.amdhsa_system_sgpr_workgroup_id_y 0
		.amdhsa_system_sgpr_workgroup_id_z 0
		.amdhsa_system_sgpr_workgroup_info 0
		.amdhsa_system_vgpr_workitem_id 0
		.amdhsa_next_free_vgpr 256
		.amdhsa_next_free_sgpr 29
		.amdhsa_reserve_vcc 1
		.amdhsa_float_round_mode_32 0
		.amdhsa_float_round_mode_16_64 0
		.amdhsa_float_denorm_mode_32 3
		.amdhsa_float_denorm_mode_16_64 3
		.amdhsa_dx10_clamp 1
		.amdhsa_ieee_mode 1
		.amdhsa_fp16_overflow 0
		.amdhsa_workgroup_processor_mode 1
		.amdhsa_memory_ordered 1
		.amdhsa_forward_progress 0
		.amdhsa_shared_vgpr_count 0
		.amdhsa_exception_fp_ieee_invalid_op 0
		.amdhsa_exception_fp_denorm_src 0
		.amdhsa_exception_fp_ieee_div_zero 0
		.amdhsa_exception_fp_ieee_overflow 0
		.amdhsa_exception_fp_ieee_underflow 0
		.amdhsa_exception_fp_ieee_inexact 0
		.amdhsa_exception_int_div_zero 0
	.end_amdhsa_kernel
	.section	.text._ZN7rocprim17ROCPRIM_400000_NS6detail17trampoline_kernelINS0_14default_configENS1_22reduce_config_selectorIbEEZNS1_11reduce_implILb1ES3_N6hipcub16HIPCUB_304000_NS22TransformInputIteratorIb7NonZeroIiEPilEEPllNS8_6detail34convert_binary_result_type_wrapperINS8_3SumESD_lEEEE10hipError_tPvRmT1_T2_T3_mT4_P12ihipStream_tbEUlT_E1_NS1_11comp_targetILNS1_3genE9ELNS1_11target_archE1100ELNS1_3gpuE3ELNS1_3repE0EEENS1_30default_config_static_selectorELNS0_4arch9wavefront6targetE0EEEvSM_,"axG",@progbits,_ZN7rocprim17ROCPRIM_400000_NS6detail17trampoline_kernelINS0_14default_configENS1_22reduce_config_selectorIbEEZNS1_11reduce_implILb1ES3_N6hipcub16HIPCUB_304000_NS22TransformInputIteratorIb7NonZeroIiEPilEEPllNS8_6detail34convert_binary_result_type_wrapperINS8_3SumESD_lEEEE10hipError_tPvRmT1_T2_T3_mT4_P12ihipStream_tbEUlT_E1_NS1_11comp_targetILNS1_3genE9ELNS1_11target_archE1100ELNS1_3gpuE3ELNS1_3repE0EEENS1_30default_config_static_selectorELNS0_4arch9wavefront6targetE0EEEvSM_,comdat
.Lfunc_end183:
	.size	_ZN7rocprim17ROCPRIM_400000_NS6detail17trampoline_kernelINS0_14default_configENS1_22reduce_config_selectorIbEEZNS1_11reduce_implILb1ES3_N6hipcub16HIPCUB_304000_NS22TransformInputIteratorIb7NonZeroIiEPilEEPllNS8_6detail34convert_binary_result_type_wrapperINS8_3SumESD_lEEEE10hipError_tPvRmT1_T2_T3_mT4_P12ihipStream_tbEUlT_E1_NS1_11comp_targetILNS1_3genE9ELNS1_11target_archE1100ELNS1_3gpuE3ELNS1_3repE0EEENS1_30default_config_static_selectorELNS0_4arch9wavefront6targetE0EEEvSM_, .Lfunc_end183-_ZN7rocprim17ROCPRIM_400000_NS6detail17trampoline_kernelINS0_14default_configENS1_22reduce_config_selectorIbEEZNS1_11reduce_implILb1ES3_N6hipcub16HIPCUB_304000_NS22TransformInputIteratorIb7NonZeroIiEPilEEPllNS8_6detail34convert_binary_result_type_wrapperINS8_3SumESD_lEEEE10hipError_tPvRmT1_T2_T3_mT4_P12ihipStream_tbEUlT_E1_NS1_11comp_targetILNS1_3genE9ELNS1_11target_archE1100ELNS1_3gpuE3ELNS1_3repE0EEENS1_30default_config_static_selectorELNS0_4arch9wavefront6targetE0EEEvSM_
                                        ; -- End function
	.section	.AMDGPU.csdata,"",@progbits
; Kernel info:
; codeLenInByte = 47948
; NumSgprs: 31
; NumVgprs: 256
; ScratchSize: 20
; MemoryBound: 0
; FloatMode: 240
; IeeeMode: 1
; LDSByteSize: 288 bytes/workgroup (compile time only)
; SGPRBlocks: 3
; VGPRBlocks: 31
; NumSGPRsForWavesPerEU: 31
; NumVGPRsForWavesPerEU: 256
; Occupancy: 5
; WaveLimiterHint : 1
; COMPUTE_PGM_RSRC2:SCRATCH_EN: 1
; COMPUTE_PGM_RSRC2:USER_SGPR: 15
; COMPUTE_PGM_RSRC2:TRAP_HANDLER: 0
; COMPUTE_PGM_RSRC2:TGID_X_EN: 1
; COMPUTE_PGM_RSRC2:TGID_Y_EN: 0
; COMPUTE_PGM_RSRC2:TGID_Z_EN: 0
; COMPUTE_PGM_RSRC2:TIDIG_COMP_CNT: 0
	.section	.text._ZN7rocprim17ROCPRIM_400000_NS6detail17trampoline_kernelINS0_14default_configENS1_22reduce_config_selectorIbEEZNS1_11reduce_implILb1ES3_N6hipcub16HIPCUB_304000_NS22TransformInputIteratorIb7NonZeroIiEPilEEPllNS8_6detail34convert_binary_result_type_wrapperINS8_3SumESD_lEEEE10hipError_tPvRmT1_T2_T3_mT4_P12ihipStream_tbEUlT_E1_NS1_11comp_targetILNS1_3genE8ELNS1_11target_archE1030ELNS1_3gpuE2ELNS1_3repE0EEENS1_30default_config_static_selectorELNS0_4arch9wavefront6targetE0EEEvSM_,"axG",@progbits,_ZN7rocprim17ROCPRIM_400000_NS6detail17trampoline_kernelINS0_14default_configENS1_22reduce_config_selectorIbEEZNS1_11reduce_implILb1ES3_N6hipcub16HIPCUB_304000_NS22TransformInputIteratorIb7NonZeroIiEPilEEPllNS8_6detail34convert_binary_result_type_wrapperINS8_3SumESD_lEEEE10hipError_tPvRmT1_T2_T3_mT4_P12ihipStream_tbEUlT_E1_NS1_11comp_targetILNS1_3genE8ELNS1_11target_archE1030ELNS1_3gpuE2ELNS1_3repE0EEENS1_30default_config_static_selectorELNS0_4arch9wavefront6targetE0EEEvSM_,comdat
	.protected	_ZN7rocprim17ROCPRIM_400000_NS6detail17trampoline_kernelINS0_14default_configENS1_22reduce_config_selectorIbEEZNS1_11reduce_implILb1ES3_N6hipcub16HIPCUB_304000_NS22TransformInputIteratorIb7NonZeroIiEPilEEPllNS8_6detail34convert_binary_result_type_wrapperINS8_3SumESD_lEEEE10hipError_tPvRmT1_T2_T3_mT4_P12ihipStream_tbEUlT_E1_NS1_11comp_targetILNS1_3genE8ELNS1_11target_archE1030ELNS1_3gpuE2ELNS1_3repE0EEENS1_30default_config_static_selectorELNS0_4arch9wavefront6targetE0EEEvSM_ ; -- Begin function _ZN7rocprim17ROCPRIM_400000_NS6detail17trampoline_kernelINS0_14default_configENS1_22reduce_config_selectorIbEEZNS1_11reduce_implILb1ES3_N6hipcub16HIPCUB_304000_NS22TransformInputIteratorIb7NonZeroIiEPilEEPllNS8_6detail34convert_binary_result_type_wrapperINS8_3SumESD_lEEEE10hipError_tPvRmT1_T2_T3_mT4_P12ihipStream_tbEUlT_E1_NS1_11comp_targetILNS1_3genE8ELNS1_11target_archE1030ELNS1_3gpuE2ELNS1_3repE0EEENS1_30default_config_static_selectorELNS0_4arch9wavefront6targetE0EEEvSM_
	.globl	_ZN7rocprim17ROCPRIM_400000_NS6detail17trampoline_kernelINS0_14default_configENS1_22reduce_config_selectorIbEEZNS1_11reduce_implILb1ES3_N6hipcub16HIPCUB_304000_NS22TransformInputIteratorIb7NonZeroIiEPilEEPllNS8_6detail34convert_binary_result_type_wrapperINS8_3SumESD_lEEEE10hipError_tPvRmT1_T2_T3_mT4_P12ihipStream_tbEUlT_E1_NS1_11comp_targetILNS1_3genE8ELNS1_11target_archE1030ELNS1_3gpuE2ELNS1_3repE0EEENS1_30default_config_static_selectorELNS0_4arch9wavefront6targetE0EEEvSM_
	.p2align	8
	.type	_ZN7rocprim17ROCPRIM_400000_NS6detail17trampoline_kernelINS0_14default_configENS1_22reduce_config_selectorIbEEZNS1_11reduce_implILb1ES3_N6hipcub16HIPCUB_304000_NS22TransformInputIteratorIb7NonZeroIiEPilEEPllNS8_6detail34convert_binary_result_type_wrapperINS8_3SumESD_lEEEE10hipError_tPvRmT1_T2_T3_mT4_P12ihipStream_tbEUlT_E1_NS1_11comp_targetILNS1_3genE8ELNS1_11target_archE1030ELNS1_3gpuE2ELNS1_3repE0EEENS1_30default_config_static_selectorELNS0_4arch9wavefront6targetE0EEEvSM_,@function
_ZN7rocprim17ROCPRIM_400000_NS6detail17trampoline_kernelINS0_14default_configENS1_22reduce_config_selectorIbEEZNS1_11reduce_implILb1ES3_N6hipcub16HIPCUB_304000_NS22TransformInputIteratorIb7NonZeroIiEPilEEPllNS8_6detail34convert_binary_result_type_wrapperINS8_3SumESD_lEEEE10hipError_tPvRmT1_T2_T3_mT4_P12ihipStream_tbEUlT_E1_NS1_11comp_targetILNS1_3genE8ELNS1_11target_archE1030ELNS1_3gpuE2ELNS1_3repE0EEENS1_30default_config_static_selectorELNS0_4arch9wavefront6targetE0EEEvSM_: ; @_ZN7rocprim17ROCPRIM_400000_NS6detail17trampoline_kernelINS0_14default_configENS1_22reduce_config_selectorIbEEZNS1_11reduce_implILb1ES3_N6hipcub16HIPCUB_304000_NS22TransformInputIteratorIb7NonZeroIiEPilEEPllNS8_6detail34convert_binary_result_type_wrapperINS8_3SumESD_lEEEE10hipError_tPvRmT1_T2_T3_mT4_P12ihipStream_tbEUlT_E1_NS1_11comp_targetILNS1_3genE8ELNS1_11target_archE1030ELNS1_3gpuE2ELNS1_3repE0EEENS1_30default_config_static_selectorELNS0_4arch9wavefront6targetE0EEEvSM_
; %bb.0:
	.section	.rodata,"a",@progbits
	.p2align	6, 0x0
	.amdhsa_kernel _ZN7rocprim17ROCPRIM_400000_NS6detail17trampoline_kernelINS0_14default_configENS1_22reduce_config_selectorIbEEZNS1_11reduce_implILb1ES3_N6hipcub16HIPCUB_304000_NS22TransformInputIteratorIb7NonZeroIiEPilEEPllNS8_6detail34convert_binary_result_type_wrapperINS8_3SumESD_lEEEE10hipError_tPvRmT1_T2_T3_mT4_P12ihipStream_tbEUlT_E1_NS1_11comp_targetILNS1_3genE8ELNS1_11target_archE1030ELNS1_3gpuE2ELNS1_3repE0EEENS1_30default_config_static_selectorELNS0_4arch9wavefront6targetE0EEEvSM_
		.amdhsa_group_segment_fixed_size 0
		.amdhsa_private_segment_fixed_size 0
		.amdhsa_kernarg_size 56
		.amdhsa_user_sgpr_count 15
		.amdhsa_user_sgpr_dispatch_ptr 0
		.amdhsa_user_sgpr_queue_ptr 0
		.amdhsa_user_sgpr_kernarg_segment_ptr 1
		.amdhsa_user_sgpr_dispatch_id 0
		.amdhsa_user_sgpr_private_segment_size 0
		.amdhsa_wavefront_size32 1
		.amdhsa_uses_dynamic_stack 0
		.amdhsa_enable_private_segment 0
		.amdhsa_system_sgpr_workgroup_id_x 1
		.amdhsa_system_sgpr_workgroup_id_y 0
		.amdhsa_system_sgpr_workgroup_id_z 0
		.amdhsa_system_sgpr_workgroup_info 0
		.amdhsa_system_vgpr_workitem_id 0
		.amdhsa_next_free_vgpr 1
		.amdhsa_next_free_sgpr 1
		.amdhsa_reserve_vcc 0
		.amdhsa_float_round_mode_32 0
		.amdhsa_float_round_mode_16_64 0
		.amdhsa_float_denorm_mode_32 3
		.amdhsa_float_denorm_mode_16_64 3
		.amdhsa_dx10_clamp 1
		.amdhsa_ieee_mode 1
		.amdhsa_fp16_overflow 0
		.amdhsa_workgroup_processor_mode 1
		.amdhsa_memory_ordered 1
		.amdhsa_forward_progress 0
		.amdhsa_shared_vgpr_count 0
		.amdhsa_exception_fp_ieee_invalid_op 0
		.amdhsa_exception_fp_denorm_src 0
		.amdhsa_exception_fp_ieee_div_zero 0
		.amdhsa_exception_fp_ieee_overflow 0
		.amdhsa_exception_fp_ieee_underflow 0
		.amdhsa_exception_fp_ieee_inexact 0
		.amdhsa_exception_int_div_zero 0
	.end_amdhsa_kernel
	.section	.text._ZN7rocprim17ROCPRIM_400000_NS6detail17trampoline_kernelINS0_14default_configENS1_22reduce_config_selectorIbEEZNS1_11reduce_implILb1ES3_N6hipcub16HIPCUB_304000_NS22TransformInputIteratorIb7NonZeroIiEPilEEPllNS8_6detail34convert_binary_result_type_wrapperINS8_3SumESD_lEEEE10hipError_tPvRmT1_T2_T3_mT4_P12ihipStream_tbEUlT_E1_NS1_11comp_targetILNS1_3genE8ELNS1_11target_archE1030ELNS1_3gpuE2ELNS1_3repE0EEENS1_30default_config_static_selectorELNS0_4arch9wavefront6targetE0EEEvSM_,"axG",@progbits,_ZN7rocprim17ROCPRIM_400000_NS6detail17trampoline_kernelINS0_14default_configENS1_22reduce_config_selectorIbEEZNS1_11reduce_implILb1ES3_N6hipcub16HIPCUB_304000_NS22TransformInputIteratorIb7NonZeroIiEPilEEPllNS8_6detail34convert_binary_result_type_wrapperINS8_3SumESD_lEEEE10hipError_tPvRmT1_T2_T3_mT4_P12ihipStream_tbEUlT_E1_NS1_11comp_targetILNS1_3genE8ELNS1_11target_archE1030ELNS1_3gpuE2ELNS1_3repE0EEENS1_30default_config_static_selectorELNS0_4arch9wavefront6targetE0EEEvSM_,comdat
.Lfunc_end184:
	.size	_ZN7rocprim17ROCPRIM_400000_NS6detail17trampoline_kernelINS0_14default_configENS1_22reduce_config_selectorIbEEZNS1_11reduce_implILb1ES3_N6hipcub16HIPCUB_304000_NS22TransformInputIteratorIb7NonZeroIiEPilEEPllNS8_6detail34convert_binary_result_type_wrapperINS8_3SumESD_lEEEE10hipError_tPvRmT1_T2_T3_mT4_P12ihipStream_tbEUlT_E1_NS1_11comp_targetILNS1_3genE8ELNS1_11target_archE1030ELNS1_3gpuE2ELNS1_3repE0EEENS1_30default_config_static_selectorELNS0_4arch9wavefront6targetE0EEEvSM_, .Lfunc_end184-_ZN7rocprim17ROCPRIM_400000_NS6detail17trampoline_kernelINS0_14default_configENS1_22reduce_config_selectorIbEEZNS1_11reduce_implILb1ES3_N6hipcub16HIPCUB_304000_NS22TransformInputIteratorIb7NonZeroIiEPilEEPllNS8_6detail34convert_binary_result_type_wrapperINS8_3SumESD_lEEEE10hipError_tPvRmT1_T2_T3_mT4_P12ihipStream_tbEUlT_E1_NS1_11comp_targetILNS1_3genE8ELNS1_11target_archE1030ELNS1_3gpuE2ELNS1_3repE0EEENS1_30default_config_static_selectorELNS0_4arch9wavefront6targetE0EEEvSM_
                                        ; -- End function
	.section	.AMDGPU.csdata,"",@progbits
; Kernel info:
; codeLenInByte = 0
; NumSgprs: 0
; NumVgprs: 0
; ScratchSize: 0
; MemoryBound: 0
; FloatMode: 240
; IeeeMode: 1
; LDSByteSize: 0 bytes/workgroup (compile time only)
; SGPRBlocks: 0
; VGPRBlocks: 0
; NumSGPRsForWavesPerEU: 1
; NumVGPRsForWavesPerEU: 1
; Occupancy: 16
; WaveLimiterHint : 0
; COMPUTE_PGM_RSRC2:SCRATCH_EN: 0
; COMPUTE_PGM_RSRC2:USER_SGPR: 15
; COMPUTE_PGM_RSRC2:TRAP_HANDLER: 0
; COMPUTE_PGM_RSRC2:TGID_X_EN: 1
; COMPUTE_PGM_RSRC2:TGID_Y_EN: 0
; COMPUTE_PGM_RSRC2:TGID_Z_EN: 0
; COMPUTE_PGM_RSRC2:TIDIG_COMP_CNT: 0
	.section	.text._ZN7rocprim17ROCPRIM_400000_NS6detail17trampoline_kernelINS0_14default_configENS1_25partition_config_selectorILNS1_17partition_subalgoE5ElNS0_10empty_typeEbEEZZNS1_14partition_implILS5_5ELb0ES3_mN6hipcub16HIPCUB_304000_NS21CountingInputIteratorIllEEPS6_NSA_22TransformInputIteratorIb7NonZeroIiEPilEENS0_5tupleIJPlS6_EEENSJ_IJSD_SD_EEES6_SK_JS6_EEE10hipError_tPvRmT3_T4_T5_T6_T7_T9_mT8_P12ihipStream_tbDpT10_ENKUlT_T0_E_clISt17integral_constantIbLb0EES16_EEDaS11_S12_EUlS11_E_NS1_11comp_targetILNS1_3genE0ELNS1_11target_archE4294967295ELNS1_3gpuE0ELNS1_3repE0EEENS1_30default_config_static_selectorELNS0_4arch9wavefront6targetE0EEEvT1_,"axG",@progbits,_ZN7rocprim17ROCPRIM_400000_NS6detail17trampoline_kernelINS0_14default_configENS1_25partition_config_selectorILNS1_17partition_subalgoE5ElNS0_10empty_typeEbEEZZNS1_14partition_implILS5_5ELb0ES3_mN6hipcub16HIPCUB_304000_NS21CountingInputIteratorIllEEPS6_NSA_22TransformInputIteratorIb7NonZeroIiEPilEENS0_5tupleIJPlS6_EEENSJ_IJSD_SD_EEES6_SK_JS6_EEE10hipError_tPvRmT3_T4_T5_T6_T7_T9_mT8_P12ihipStream_tbDpT10_ENKUlT_T0_E_clISt17integral_constantIbLb0EES16_EEDaS11_S12_EUlS11_E_NS1_11comp_targetILNS1_3genE0ELNS1_11target_archE4294967295ELNS1_3gpuE0ELNS1_3repE0EEENS1_30default_config_static_selectorELNS0_4arch9wavefront6targetE0EEEvT1_,comdat
	.protected	_ZN7rocprim17ROCPRIM_400000_NS6detail17trampoline_kernelINS0_14default_configENS1_25partition_config_selectorILNS1_17partition_subalgoE5ElNS0_10empty_typeEbEEZZNS1_14partition_implILS5_5ELb0ES3_mN6hipcub16HIPCUB_304000_NS21CountingInputIteratorIllEEPS6_NSA_22TransformInputIteratorIb7NonZeroIiEPilEENS0_5tupleIJPlS6_EEENSJ_IJSD_SD_EEES6_SK_JS6_EEE10hipError_tPvRmT3_T4_T5_T6_T7_T9_mT8_P12ihipStream_tbDpT10_ENKUlT_T0_E_clISt17integral_constantIbLb0EES16_EEDaS11_S12_EUlS11_E_NS1_11comp_targetILNS1_3genE0ELNS1_11target_archE4294967295ELNS1_3gpuE0ELNS1_3repE0EEENS1_30default_config_static_selectorELNS0_4arch9wavefront6targetE0EEEvT1_ ; -- Begin function _ZN7rocprim17ROCPRIM_400000_NS6detail17trampoline_kernelINS0_14default_configENS1_25partition_config_selectorILNS1_17partition_subalgoE5ElNS0_10empty_typeEbEEZZNS1_14partition_implILS5_5ELb0ES3_mN6hipcub16HIPCUB_304000_NS21CountingInputIteratorIllEEPS6_NSA_22TransformInputIteratorIb7NonZeroIiEPilEENS0_5tupleIJPlS6_EEENSJ_IJSD_SD_EEES6_SK_JS6_EEE10hipError_tPvRmT3_T4_T5_T6_T7_T9_mT8_P12ihipStream_tbDpT10_ENKUlT_T0_E_clISt17integral_constantIbLb0EES16_EEDaS11_S12_EUlS11_E_NS1_11comp_targetILNS1_3genE0ELNS1_11target_archE4294967295ELNS1_3gpuE0ELNS1_3repE0EEENS1_30default_config_static_selectorELNS0_4arch9wavefront6targetE0EEEvT1_
	.globl	_ZN7rocprim17ROCPRIM_400000_NS6detail17trampoline_kernelINS0_14default_configENS1_25partition_config_selectorILNS1_17partition_subalgoE5ElNS0_10empty_typeEbEEZZNS1_14partition_implILS5_5ELb0ES3_mN6hipcub16HIPCUB_304000_NS21CountingInputIteratorIllEEPS6_NSA_22TransformInputIteratorIb7NonZeroIiEPilEENS0_5tupleIJPlS6_EEENSJ_IJSD_SD_EEES6_SK_JS6_EEE10hipError_tPvRmT3_T4_T5_T6_T7_T9_mT8_P12ihipStream_tbDpT10_ENKUlT_T0_E_clISt17integral_constantIbLb0EES16_EEDaS11_S12_EUlS11_E_NS1_11comp_targetILNS1_3genE0ELNS1_11target_archE4294967295ELNS1_3gpuE0ELNS1_3repE0EEENS1_30default_config_static_selectorELNS0_4arch9wavefront6targetE0EEEvT1_
	.p2align	8
	.type	_ZN7rocprim17ROCPRIM_400000_NS6detail17trampoline_kernelINS0_14default_configENS1_25partition_config_selectorILNS1_17partition_subalgoE5ElNS0_10empty_typeEbEEZZNS1_14partition_implILS5_5ELb0ES3_mN6hipcub16HIPCUB_304000_NS21CountingInputIteratorIllEEPS6_NSA_22TransformInputIteratorIb7NonZeroIiEPilEENS0_5tupleIJPlS6_EEENSJ_IJSD_SD_EEES6_SK_JS6_EEE10hipError_tPvRmT3_T4_T5_T6_T7_T9_mT8_P12ihipStream_tbDpT10_ENKUlT_T0_E_clISt17integral_constantIbLb0EES16_EEDaS11_S12_EUlS11_E_NS1_11comp_targetILNS1_3genE0ELNS1_11target_archE4294967295ELNS1_3gpuE0ELNS1_3repE0EEENS1_30default_config_static_selectorELNS0_4arch9wavefront6targetE0EEEvT1_,@function
_ZN7rocprim17ROCPRIM_400000_NS6detail17trampoline_kernelINS0_14default_configENS1_25partition_config_selectorILNS1_17partition_subalgoE5ElNS0_10empty_typeEbEEZZNS1_14partition_implILS5_5ELb0ES3_mN6hipcub16HIPCUB_304000_NS21CountingInputIteratorIllEEPS6_NSA_22TransformInputIteratorIb7NonZeroIiEPilEENS0_5tupleIJPlS6_EEENSJ_IJSD_SD_EEES6_SK_JS6_EEE10hipError_tPvRmT3_T4_T5_T6_T7_T9_mT8_P12ihipStream_tbDpT10_ENKUlT_T0_E_clISt17integral_constantIbLb0EES16_EEDaS11_S12_EUlS11_E_NS1_11comp_targetILNS1_3genE0ELNS1_11target_archE4294967295ELNS1_3gpuE0ELNS1_3repE0EEENS1_30default_config_static_selectorELNS0_4arch9wavefront6targetE0EEEvT1_: ; @_ZN7rocprim17ROCPRIM_400000_NS6detail17trampoline_kernelINS0_14default_configENS1_25partition_config_selectorILNS1_17partition_subalgoE5ElNS0_10empty_typeEbEEZZNS1_14partition_implILS5_5ELb0ES3_mN6hipcub16HIPCUB_304000_NS21CountingInputIteratorIllEEPS6_NSA_22TransformInputIteratorIb7NonZeroIiEPilEENS0_5tupleIJPlS6_EEENSJ_IJSD_SD_EEES6_SK_JS6_EEE10hipError_tPvRmT3_T4_T5_T6_T7_T9_mT8_P12ihipStream_tbDpT10_ENKUlT_T0_E_clISt17integral_constantIbLb0EES16_EEDaS11_S12_EUlS11_E_NS1_11comp_targetILNS1_3genE0ELNS1_11target_archE4294967295ELNS1_3gpuE0ELNS1_3repE0EEENS1_30default_config_static_selectorELNS0_4arch9wavefront6targetE0EEEvT1_
; %bb.0:
	.section	.rodata,"a",@progbits
	.p2align	6, 0x0
	.amdhsa_kernel _ZN7rocprim17ROCPRIM_400000_NS6detail17trampoline_kernelINS0_14default_configENS1_25partition_config_selectorILNS1_17partition_subalgoE5ElNS0_10empty_typeEbEEZZNS1_14partition_implILS5_5ELb0ES3_mN6hipcub16HIPCUB_304000_NS21CountingInputIteratorIllEEPS6_NSA_22TransformInputIteratorIb7NonZeroIiEPilEENS0_5tupleIJPlS6_EEENSJ_IJSD_SD_EEES6_SK_JS6_EEE10hipError_tPvRmT3_T4_T5_T6_T7_T9_mT8_P12ihipStream_tbDpT10_ENKUlT_T0_E_clISt17integral_constantIbLb0EES16_EEDaS11_S12_EUlS11_E_NS1_11comp_targetILNS1_3genE0ELNS1_11target_archE4294967295ELNS1_3gpuE0ELNS1_3repE0EEENS1_30default_config_static_selectorELNS0_4arch9wavefront6targetE0EEEvT1_
		.amdhsa_group_segment_fixed_size 0
		.amdhsa_private_segment_fixed_size 0
		.amdhsa_kernarg_size 120
		.amdhsa_user_sgpr_count 15
		.amdhsa_user_sgpr_dispatch_ptr 0
		.amdhsa_user_sgpr_queue_ptr 0
		.amdhsa_user_sgpr_kernarg_segment_ptr 1
		.amdhsa_user_sgpr_dispatch_id 0
		.amdhsa_user_sgpr_private_segment_size 0
		.amdhsa_wavefront_size32 1
		.amdhsa_uses_dynamic_stack 0
		.amdhsa_enable_private_segment 0
		.amdhsa_system_sgpr_workgroup_id_x 1
		.amdhsa_system_sgpr_workgroup_id_y 0
		.amdhsa_system_sgpr_workgroup_id_z 0
		.amdhsa_system_sgpr_workgroup_info 0
		.amdhsa_system_vgpr_workitem_id 0
		.amdhsa_next_free_vgpr 1
		.amdhsa_next_free_sgpr 1
		.amdhsa_reserve_vcc 0
		.amdhsa_float_round_mode_32 0
		.amdhsa_float_round_mode_16_64 0
		.amdhsa_float_denorm_mode_32 3
		.amdhsa_float_denorm_mode_16_64 3
		.amdhsa_dx10_clamp 1
		.amdhsa_ieee_mode 1
		.amdhsa_fp16_overflow 0
		.amdhsa_workgroup_processor_mode 1
		.amdhsa_memory_ordered 1
		.amdhsa_forward_progress 0
		.amdhsa_shared_vgpr_count 0
		.amdhsa_exception_fp_ieee_invalid_op 0
		.amdhsa_exception_fp_denorm_src 0
		.amdhsa_exception_fp_ieee_div_zero 0
		.amdhsa_exception_fp_ieee_overflow 0
		.amdhsa_exception_fp_ieee_underflow 0
		.amdhsa_exception_fp_ieee_inexact 0
		.amdhsa_exception_int_div_zero 0
	.end_amdhsa_kernel
	.section	.text._ZN7rocprim17ROCPRIM_400000_NS6detail17trampoline_kernelINS0_14default_configENS1_25partition_config_selectorILNS1_17partition_subalgoE5ElNS0_10empty_typeEbEEZZNS1_14partition_implILS5_5ELb0ES3_mN6hipcub16HIPCUB_304000_NS21CountingInputIteratorIllEEPS6_NSA_22TransformInputIteratorIb7NonZeroIiEPilEENS0_5tupleIJPlS6_EEENSJ_IJSD_SD_EEES6_SK_JS6_EEE10hipError_tPvRmT3_T4_T5_T6_T7_T9_mT8_P12ihipStream_tbDpT10_ENKUlT_T0_E_clISt17integral_constantIbLb0EES16_EEDaS11_S12_EUlS11_E_NS1_11comp_targetILNS1_3genE0ELNS1_11target_archE4294967295ELNS1_3gpuE0ELNS1_3repE0EEENS1_30default_config_static_selectorELNS0_4arch9wavefront6targetE0EEEvT1_,"axG",@progbits,_ZN7rocprim17ROCPRIM_400000_NS6detail17trampoline_kernelINS0_14default_configENS1_25partition_config_selectorILNS1_17partition_subalgoE5ElNS0_10empty_typeEbEEZZNS1_14partition_implILS5_5ELb0ES3_mN6hipcub16HIPCUB_304000_NS21CountingInputIteratorIllEEPS6_NSA_22TransformInputIteratorIb7NonZeroIiEPilEENS0_5tupleIJPlS6_EEENSJ_IJSD_SD_EEES6_SK_JS6_EEE10hipError_tPvRmT3_T4_T5_T6_T7_T9_mT8_P12ihipStream_tbDpT10_ENKUlT_T0_E_clISt17integral_constantIbLb0EES16_EEDaS11_S12_EUlS11_E_NS1_11comp_targetILNS1_3genE0ELNS1_11target_archE4294967295ELNS1_3gpuE0ELNS1_3repE0EEENS1_30default_config_static_selectorELNS0_4arch9wavefront6targetE0EEEvT1_,comdat
.Lfunc_end185:
	.size	_ZN7rocprim17ROCPRIM_400000_NS6detail17trampoline_kernelINS0_14default_configENS1_25partition_config_selectorILNS1_17partition_subalgoE5ElNS0_10empty_typeEbEEZZNS1_14partition_implILS5_5ELb0ES3_mN6hipcub16HIPCUB_304000_NS21CountingInputIteratorIllEEPS6_NSA_22TransformInputIteratorIb7NonZeroIiEPilEENS0_5tupleIJPlS6_EEENSJ_IJSD_SD_EEES6_SK_JS6_EEE10hipError_tPvRmT3_T4_T5_T6_T7_T9_mT8_P12ihipStream_tbDpT10_ENKUlT_T0_E_clISt17integral_constantIbLb0EES16_EEDaS11_S12_EUlS11_E_NS1_11comp_targetILNS1_3genE0ELNS1_11target_archE4294967295ELNS1_3gpuE0ELNS1_3repE0EEENS1_30default_config_static_selectorELNS0_4arch9wavefront6targetE0EEEvT1_, .Lfunc_end185-_ZN7rocprim17ROCPRIM_400000_NS6detail17trampoline_kernelINS0_14default_configENS1_25partition_config_selectorILNS1_17partition_subalgoE5ElNS0_10empty_typeEbEEZZNS1_14partition_implILS5_5ELb0ES3_mN6hipcub16HIPCUB_304000_NS21CountingInputIteratorIllEEPS6_NSA_22TransformInputIteratorIb7NonZeroIiEPilEENS0_5tupleIJPlS6_EEENSJ_IJSD_SD_EEES6_SK_JS6_EEE10hipError_tPvRmT3_T4_T5_T6_T7_T9_mT8_P12ihipStream_tbDpT10_ENKUlT_T0_E_clISt17integral_constantIbLb0EES16_EEDaS11_S12_EUlS11_E_NS1_11comp_targetILNS1_3genE0ELNS1_11target_archE4294967295ELNS1_3gpuE0ELNS1_3repE0EEENS1_30default_config_static_selectorELNS0_4arch9wavefront6targetE0EEEvT1_
                                        ; -- End function
	.section	.AMDGPU.csdata,"",@progbits
; Kernel info:
; codeLenInByte = 0
; NumSgprs: 0
; NumVgprs: 0
; ScratchSize: 0
; MemoryBound: 0
; FloatMode: 240
; IeeeMode: 1
; LDSByteSize: 0 bytes/workgroup (compile time only)
; SGPRBlocks: 0
; VGPRBlocks: 0
; NumSGPRsForWavesPerEU: 1
; NumVGPRsForWavesPerEU: 1
; Occupancy: 16
; WaveLimiterHint : 0
; COMPUTE_PGM_RSRC2:SCRATCH_EN: 0
; COMPUTE_PGM_RSRC2:USER_SGPR: 15
; COMPUTE_PGM_RSRC2:TRAP_HANDLER: 0
; COMPUTE_PGM_RSRC2:TGID_X_EN: 1
; COMPUTE_PGM_RSRC2:TGID_Y_EN: 0
; COMPUTE_PGM_RSRC2:TGID_Z_EN: 0
; COMPUTE_PGM_RSRC2:TIDIG_COMP_CNT: 0
	.section	.text._ZN7rocprim17ROCPRIM_400000_NS6detail17trampoline_kernelINS0_14default_configENS1_25partition_config_selectorILNS1_17partition_subalgoE5ElNS0_10empty_typeEbEEZZNS1_14partition_implILS5_5ELb0ES3_mN6hipcub16HIPCUB_304000_NS21CountingInputIteratorIllEEPS6_NSA_22TransformInputIteratorIb7NonZeroIiEPilEENS0_5tupleIJPlS6_EEENSJ_IJSD_SD_EEES6_SK_JS6_EEE10hipError_tPvRmT3_T4_T5_T6_T7_T9_mT8_P12ihipStream_tbDpT10_ENKUlT_T0_E_clISt17integral_constantIbLb0EES16_EEDaS11_S12_EUlS11_E_NS1_11comp_targetILNS1_3genE5ELNS1_11target_archE942ELNS1_3gpuE9ELNS1_3repE0EEENS1_30default_config_static_selectorELNS0_4arch9wavefront6targetE0EEEvT1_,"axG",@progbits,_ZN7rocprim17ROCPRIM_400000_NS6detail17trampoline_kernelINS0_14default_configENS1_25partition_config_selectorILNS1_17partition_subalgoE5ElNS0_10empty_typeEbEEZZNS1_14partition_implILS5_5ELb0ES3_mN6hipcub16HIPCUB_304000_NS21CountingInputIteratorIllEEPS6_NSA_22TransformInputIteratorIb7NonZeroIiEPilEENS0_5tupleIJPlS6_EEENSJ_IJSD_SD_EEES6_SK_JS6_EEE10hipError_tPvRmT3_T4_T5_T6_T7_T9_mT8_P12ihipStream_tbDpT10_ENKUlT_T0_E_clISt17integral_constantIbLb0EES16_EEDaS11_S12_EUlS11_E_NS1_11comp_targetILNS1_3genE5ELNS1_11target_archE942ELNS1_3gpuE9ELNS1_3repE0EEENS1_30default_config_static_selectorELNS0_4arch9wavefront6targetE0EEEvT1_,comdat
	.protected	_ZN7rocprim17ROCPRIM_400000_NS6detail17trampoline_kernelINS0_14default_configENS1_25partition_config_selectorILNS1_17partition_subalgoE5ElNS0_10empty_typeEbEEZZNS1_14partition_implILS5_5ELb0ES3_mN6hipcub16HIPCUB_304000_NS21CountingInputIteratorIllEEPS6_NSA_22TransformInputIteratorIb7NonZeroIiEPilEENS0_5tupleIJPlS6_EEENSJ_IJSD_SD_EEES6_SK_JS6_EEE10hipError_tPvRmT3_T4_T5_T6_T7_T9_mT8_P12ihipStream_tbDpT10_ENKUlT_T0_E_clISt17integral_constantIbLb0EES16_EEDaS11_S12_EUlS11_E_NS1_11comp_targetILNS1_3genE5ELNS1_11target_archE942ELNS1_3gpuE9ELNS1_3repE0EEENS1_30default_config_static_selectorELNS0_4arch9wavefront6targetE0EEEvT1_ ; -- Begin function _ZN7rocprim17ROCPRIM_400000_NS6detail17trampoline_kernelINS0_14default_configENS1_25partition_config_selectorILNS1_17partition_subalgoE5ElNS0_10empty_typeEbEEZZNS1_14partition_implILS5_5ELb0ES3_mN6hipcub16HIPCUB_304000_NS21CountingInputIteratorIllEEPS6_NSA_22TransformInputIteratorIb7NonZeroIiEPilEENS0_5tupleIJPlS6_EEENSJ_IJSD_SD_EEES6_SK_JS6_EEE10hipError_tPvRmT3_T4_T5_T6_T7_T9_mT8_P12ihipStream_tbDpT10_ENKUlT_T0_E_clISt17integral_constantIbLb0EES16_EEDaS11_S12_EUlS11_E_NS1_11comp_targetILNS1_3genE5ELNS1_11target_archE942ELNS1_3gpuE9ELNS1_3repE0EEENS1_30default_config_static_selectorELNS0_4arch9wavefront6targetE0EEEvT1_
	.globl	_ZN7rocprim17ROCPRIM_400000_NS6detail17trampoline_kernelINS0_14default_configENS1_25partition_config_selectorILNS1_17partition_subalgoE5ElNS0_10empty_typeEbEEZZNS1_14partition_implILS5_5ELb0ES3_mN6hipcub16HIPCUB_304000_NS21CountingInputIteratorIllEEPS6_NSA_22TransformInputIteratorIb7NonZeroIiEPilEENS0_5tupleIJPlS6_EEENSJ_IJSD_SD_EEES6_SK_JS6_EEE10hipError_tPvRmT3_T4_T5_T6_T7_T9_mT8_P12ihipStream_tbDpT10_ENKUlT_T0_E_clISt17integral_constantIbLb0EES16_EEDaS11_S12_EUlS11_E_NS1_11comp_targetILNS1_3genE5ELNS1_11target_archE942ELNS1_3gpuE9ELNS1_3repE0EEENS1_30default_config_static_selectorELNS0_4arch9wavefront6targetE0EEEvT1_
	.p2align	8
	.type	_ZN7rocprim17ROCPRIM_400000_NS6detail17trampoline_kernelINS0_14default_configENS1_25partition_config_selectorILNS1_17partition_subalgoE5ElNS0_10empty_typeEbEEZZNS1_14partition_implILS5_5ELb0ES3_mN6hipcub16HIPCUB_304000_NS21CountingInputIteratorIllEEPS6_NSA_22TransformInputIteratorIb7NonZeroIiEPilEENS0_5tupleIJPlS6_EEENSJ_IJSD_SD_EEES6_SK_JS6_EEE10hipError_tPvRmT3_T4_T5_T6_T7_T9_mT8_P12ihipStream_tbDpT10_ENKUlT_T0_E_clISt17integral_constantIbLb0EES16_EEDaS11_S12_EUlS11_E_NS1_11comp_targetILNS1_3genE5ELNS1_11target_archE942ELNS1_3gpuE9ELNS1_3repE0EEENS1_30default_config_static_selectorELNS0_4arch9wavefront6targetE0EEEvT1_,@function
_ZN7rocprim17ROCPRIM_400000_NS6detail17trampoline_kernelINS0_14default_configENS1_25partition_config_selectorILNS1_17partition_subalgoE5ElNS0_10empty_typeEbEEZZNS1_14partition_implILS5_5ELb0ES3_mN6hipcub16HIPCUB_304000_NS21CountingInputIteratorIllEEPS6_NSA_22TransformInputIteratorIb7NonZeroIiEPilEENS0_5tupleIJPlS6_EEENSJ_IJSD_SD_EEES6_SK_JS6_EEE10hipError_tPvRmT3_T4_T5_T6_T7_T9_mT8_P12ihipStream_tbDpT10_ENKUlT_T0_E_clISt17integral_constantIbLb0EES16_EEDaS11_S12_EUlS11_E_NS1_11comp_targetILNS1_3genE5ELNS1_11target_archE942ELNS1_3gpuE9ELNS1_3repE0EEENS1_30default_config_static_selectorELNS0_4arch9wavefront6targetE0EEEvT1_: ; @_ZN7rocprim17ROCPRIM_400000_NS6detail17trampoline_kernelINS0_14default_configENS1_25partition_config_selectorILNS1_17partition_subalgoE5ElNS0_10empty_typeEbEEZZNS1_14partition_implILS5_5ELb0ES3_mN6hipcub16HIPCUB_304000_NS21CountingInputIteratorIllEEPS6_NSA_22TransformInputIteratorIb7NonZeroIiEPilEENS0_5tupleIJPlS6_EEENSJ_IJSD_SD_EEES6_SK_JS6_EEE10hipError_tPvRmT3_T4_T5_T6_T7_T9_mT8_P12ihipStream_tbDpT10_ENKUlT_T0_E_clISt17integral_constantIbLb0EES16_EEDaS11_S12_EUlS11_E_NS1_11comp_targetILNS1_3genE5ELNS1_11target_archE942ELNS1_3gpuE9ELNS1_3repE0EEENS1_30default_config_static_selectorELNS0_4arch9wavefront6targetE0EEEvT1_
; %bb.0:
	.section	.rodata,"a",@progbits
	.p2align	6, 0x0
	.amdhsa_kernel _ZN7rocprim17ROCPRIM_400000_NS6detail17trampoline_kernelINS0_14default_configENS1_25partition_config_selectorILNS1_17partition_subalgoE5ElNS0_10empty_typeEbEEZZNS1_14partition_implILS5_5ELb0ES3_mN6hipcub16HIPCUB_304000_NS21CountingInputIteratorIllEEPS6_NSA_22TransformInputIteratorIb7NonZeroIiEPilEENS0_5tupleIJPlS6_EEENSJ_IJSD_SD_EEES6_SK_JS6_EEE10hipError_tPvRmT3_T4_T5_T6_T7_T9_mT8_P12ihipStream_tbDpT10_ENKUlT_T0_E_clISt17integral_constantIbLb0EES16_EEDaS11_S12_EUlS11_E_NS1_11comp_targetILNS1_3genE5ELNS1_11target_archE942ELNS1_3gpuE9ELNS1_3repE0EEENS1_30default_config_static_selectorELNS0_4arch9wavefront6targetE0EEEvT1_
		.amdhsa_group_segment_fixed_size 0
		.amdhsa_private_segment_fixed_size 0
		.amdhsa_kernarg_size 120
		.amdhsa_user_sgpr_count 15
		.amdhsa_user_sgpr_dispatch_ptr 0
		.amdhsa_user_sgpr_queue_ptr 0
		.amdhsa_user_sgpr_kernarg_segment_ptr 1
		.amdhsa_user_sgpr_dispatch_id 0
		.amdhsa_user_sgpr_private_segment_size 0
		.amdhsa_wavefront_size32 1
		.amdhsa_uses_dynamic_stack 0
		.amdhsa_enable_private_segment 0
		.amdhsa_system_sgpr_workgroup_id_x 1
		.amdhsa_system_sgpr_workgroup_id_y 0
		.amdhsa_system_sgpr_workgroup_id_z 0
		.amdhsa_system_sgpr_workgroup_info 0
		.amdhsa_system_vgpr_workitem_id 0
		.amdhsa_next_free_vgpr 1
		.amdhsa_next_free_sgpr 1
		.amdhsa_reserve_vcc 0
		.amdhsa_float_round_mode_32 0
		.amdhsa_float_round_mode_16_64 0
		.amdhsa_float_denorm_mode_32 3
		.amdhsa_float_denorm_mode_16_64 3
		.amdhsa_dx10_clamp 1
		.amdhsa_ieee_mode 1
		.amdhsa_fp16_overflow 0
		.amdhsa_workgroup_processor_mode 1
		.amdhsa_memory_ordered 1
		.amdhsa_forward_progress 0
		.amdhsa_shared_vgpr_count 0
		.amdhsa_exception_fp_ieee_invalid_op 0
		.amdhsa_exception_fp_denorm_src 0
		.amdhsa_exception_fp_ieee_div_zero 0
		.amdhsa_exception_fp_ieee_overflow 0
		.amdhsa_exception_fp_ieee_underflow 0
		.amdhsa_exception_fp_ieee_inexact 0
		.amdhsa_exception_int_div_zero 0
	.end_amdhsa_kernel
	.section	.text._ZN7rocprim17ROCPRIM_400000_NS6detail17trampoline_kernelINS0_14default_configENS1_25partition_config_selectorILNS1_17partition_subalgoE5ElNS0_10empty_typeEbEEZZNS1_14partition_implILS5_5ELb0ES3_mN6hipcub16HIPCUB_304000_NS21CountingInputIteratorIllEEPS6_NSA_22TransformInputIteratorIb7NonZeroIiEPilEENS0_5tupleIJPlS6_EEENSJ_IJSD_SD_EEES6_SK_JS6_EEE10hipError_tPvRmT3_T4_T5_T6_T7_T9_mT8_P12ihipStream_tbDpT10_ENKUlT_T0_E_clISt17integral_constantIbLb0EES16_EEDaS11_S12_EUlS11_E_NS1_11comp_targetILNS1_3genE5ELNS1_11target_archE942ELNS1_3gpuE9ELNS1_3repE0EEENS1_30default_config_static_selectorELNS0_4arch9wavefront6targetE0EEEvT1_,"axG",@progbits,_ZN7rocprim17ROCPRIM_400000_NS6detail17trampoline_kernelINS0_14default_configENS1_25partition_config_selectorILNS1_17partition_subalgoE5ElNS0_10empty_typeEbEEZZNS1_14partition_implILS5_5ELb0ES3_mN6hipcub16HIPCUB_304000_NS21CountingInputIteratorIllEEPS6_NSA_22TransformInputIteratorIb7NonZeroIiEPilEENS0_5tupleIJPlS6_EEENSJ_IJSD_SD_EEES6_SK_JS6_EEE10hipError_tPvRmT3_T4_T5_T6_T7_T9_mT8_P12ihipStream_tbDpT10_ENKUlT_T0_E_clISt17integral_constantIbLb0EES16_EEDaS11_S12_EUlS11_E_NS1_11comp_targetILNS1_3genE5ELNS1_11target_archE942ELNS1_3gpuE9ELNS1_3repE0EEENS1_30default_config_static_selectorELNS0_4arch9wavefront6targetE0EEEvT1_,comdat
.Lfunc_end186:
	.size	_ZN7rocprim17ROCPRIM_400000_NS6detail17trampoline_kernelINS0_14default_configENS1_25partition_config_selectorILNS1_17partition_subalgoE5ElNS0_10empty_typeEbEEZZNS1_14partition_implILS5_5ELb0ES3_mN6hipcub16HIPCUB_304000_NS21CountingInputIteratorIllEEPS6_NSA_22TransformInputIteratorIb7NonZeroIiEPilEENS0_5tupleIJPlS6_EEENSJ_IJSD_SD_EEES6_SK_JS6_EEE10hipError_tPvRmT3_T4_T5_T6_T7_T9_mT8_P12ihipStream_tbDpT10_ENKUlT_T0_E_clISt17integral_constantIbLb0EES16_EEDaS11_S12_EUlS11_E_NS1_11comp_targetILNS1_3genE5ELNS1_11target_archE942ELNS1_3gpuE9ELNS1_3repE0EEENS1_30default_config_static_selectorELNS0_4arch9wavefront6targetE0EEEvT1_, .Lfunc_end186-_ZN7rocprim17ROCPRIM_400000_NS6detail17trampoline_kernelINS0_14default_configENS1_25partition_config_selectorILNS1_17partition_subalgoE5ElNS0_10empty_typeEbEEZZNS1_14partition_implILS5_5ELb0ES3_mN6hipcub16HIPCUB_304000_NS21CountingInputIteratorIllEEPS6_NSA_22TransformInputIteratorIb7NonZeroIiEPilEENS0_5tupleIJPlS6_EEENSJ_IJSD_SD_EEES6_SK_JS6_EEE10hipError_tPvRmT3_T4_T5_T6_T7_T9_mT8_P12ihipStream_tbDpT10_ENKUlT_T0_E_clISt17integral_constantIbLb0EES16_EEDaS11_S12_EUlS11_E_NS1_11comp_targetILNS1_3genE5ELNS1_11target_archE942ELNS1_3gpuE9ELNS1_3repE0EEENS1_30default_config_static_selectorELNS0_4arch9wavefront6targetE0EEEvT1_
                                        ; -- End function
	.section	.AMDGPU.csdata,"",@progbits
; Kernel info:
; codeLenInByte = 0
; NumSgprs: 0
; NumVgprs: 0
; ScratchSize: 0
; MemoryBound: 0
; FloatMode: 240
; IeeeMode: 1
; LDSByteSize: 0 bytes/workgroup (compile time only)
; SGPRBlocks: 0
; VGPRBlocks: 0
; NumSGPRsForWavesPerEU: 1
; NumVGPRsForWavesPerEU: 1
; Occupancy: 16
; WaveLimiterHint : 0
; COMPUTE_PGM_RSRC2:SCRATCH_EN: 0
; COMPUTE_PGM_RSRC2:USER_SGPR: 15
; COMPUTE_PGM_RSRC2:TRAP_HANDLER: 0
; COMPUTE_PGM_RSRC2:TGID_X_EN: 1
; COMPUTE_PGM_RSRC2:TGID_Y_EN: 0
; COMPUTE_PGM_RSRC2:TGID_Z_EN: 0
; COMPUTE_PGM_RSRC2:TIDIG_COMP_CNT: 0
	.section	.text._ZN7rocprim17ROCPRIM_400000_NS6detail17trampoline_kernelINS0_14default_configENS1_25partition_config_selectorILNS1_17partition_subalgoE5ElNS0_10empty_typeEbEEZZNS1_14partition_implILS5_5ELb0ES3_mN6hipcub16HIPCUB_304000_NS21CountingInputIteratorIllEEPS6_NSA_22TransformInputIteratorIb7NonZeroIiEPilEENS0_5tupleIJPlS6_EEENSJ_IJSD_SD_EEES6_SK_JS6_EEE10hipError_tPvRmT3_T4_T5_T6_T7_T9_mT8_P12ihipStream_tbDpT10_ENKUlT_T0_E_clISt17integral_constantIbLb0EES16_EEDaS11_S12_EUlS11_E_NS1_11comp_targetILNS1_3genE4ELNS1_11target_archE910ELNS1_3gpuE8ELNS1_3repE0EEENS1_30default_config_static_selectorELNS0_4arch9wavefront6targetE0EEEvT1_,"axG",@progbits,_ZN7rocprim17ROCPRIM_400000_NS6detail17trampoline_kernelINS0_14default_configENS1_25partition_config_selectorILNS1_17partition_subalgoE5ElNS0_10empty_typeEbEEZZNS1_14partition_implILS5_5ELb0ES3_mN6hipcub16HIPCUB_304000_NS21CountingInputIteratorIllEEPS6_NSA_22TransformInputIteratorIb7NonZeroIiEPilEENS0_5tupleIJPlS6_EEENSJ_IJSD_SD_EEES6_SK_JS6_EEE10hipError_tPvRmT3_T4_T5_T6_T7_T9_mT8_P12ihipStream_tbDpT10_ENKUlT_T0_E_clISt17integral_constantIbLb0EES16_EEDaS11_S12_EUlS11_E_NS1_11comp_targetILNS1_3genE4ELNS1_11target_archE910ELNS1_3gpuE8ELNS1_3repE0EEENS1_30default_config_static_selectorELNS0_4arch9wavefront6targetE0EEEvT1_,comdat
	.protected	_ZN7rocprim17ROCPRIM_400000_NS6detail17trampoline_kernelINS0_14default_configENS1_25partition_config_selectorILNS1_17partition_subalgoE5ElNS0_10empty_typeEbEEZZNS1_14partition_implILS5_5ELb0ES3_mN6hipcub16HIPCUB_304000_NS21CountingInputIteratorIllEEPS6_NSA_22TransformInputIteratorIb7NonZeroIiEPilEENS0_5tupleIJPlS6_EEENSJ_IJSD_SD_EEES6_SK_JS6_EEE10hipError_tPvRmT3_T4_T5_T6_T7_T9_mT8_P12ihipStream_tbDpT10_ENKUlT_T0_E_clISt17integral_constantIbLb0EES16_EEDaS11_S12_EUlS11_E_NS1_11comp_targetILNS1_3genE4ELNS1_11target_archE910ELNS1_3gpuE8ELNS1_3repE0EEENS1_30default_config_static_selectorELNS0_4arch9wavefront6targetE0EEEvT1_ ; -- Begin function _ZN7rocprim17ROCPRIM_400000_NS6detail17trampoline_kernelINS0_14default_configENS1_25partition_config_selectorILNS1_17partition_subalgoE5ElNS0_10empty_typeEbEEZZNS1_14partition_implILS5_5ELb0ES3_mN6hipcub16HIPCUB_304000_NS21CountingInputIteratorIllEEPS6_NSA_22TransformInputIteratorIb7NonZeroIiEPilEENS0_5tupleIJPlS6_EEENSJ_IJSD_SD_EEES6_SK_JS6_EEE10hipError_tPvRmT3_T4_T5_T6_T7_T9_mT8_P12ihipStream_tbDpT10_ENKUlT_T0_E_clISt17integral_constantIbLb0EES16_EEDaS11_S12_EUlS11_E_NS1_11comp_targetILNS1_3genE4ELNS1_11target_archE910ELNS1_3gpuE8ELNS1_3repE0EEENS1_30default_config_static_selectorELNS0_4arch9wavefront6targetE0EEEvT1_
	.globl	_ZN7rocprim17ROCPRIM_400000_NS6detail17trampoline_kernelINS0_14default_configENS1_25partition_config_selectorILNS1_17partition_subalgoE5ElNS0_10empty_typeEbEEZZNS1_14partition_implILS5_5ELb0ES3_mN6hipcub16HIPCUB_304000_NS21CountingInputIteratorIllEEPS6_NSA_22TransformInputIteratorIb7NonZeroIiEPilEENS0_5tupleIJPlS6_EEENSJ_IJSD_SD_EEES6_SK_JS6_EEE10hipError_tPvRmT3_T4_T5_T6_T7_T9_mT8_P12ihipStream_tbDpT10_ENKUlT_T0_E_clISt17integral_constantIbLb0EES16_EEDaS11_S12_EUlS11_E_NS1_11comp_targetILNS1_3genE4ELNS1_11target_archE910ELNS1_3gpuE8ELNS1_3repE0EEENS1_30default_config_static_selectorELNS0_4arch9wavefront6targetE0EEEvT1_
	.p2align	8
	.type	_ZN7rocprim17ROCPRIM_400000_NS6detail17trampoline_kernelINS0_14default_configENS1_25partition_config_selectorILNS1_17partition_subalgoE5ElNS0_10empty_typeEbEEZZNS1_14partition_implILS5_5ELb0ES3_mN6hipcub16HIPCUB_304000_NS21CountingInputIteratorIllEEPS6_NSA_22TransformInputIteratorIb7NonZeroIiEPilEENS0_5tupleIJPlS6_EEENSJ_IJSD_SD_EEES6_SK_JS6_EEE10hipError_tPvRmT3_T4_T5_T6_T7_T9_mT8_P12ihipStream_tbDpT10_ENKUlT_T0_E_clISt17integral_constantIbLb0EES16_EEDaS11_S12_EUlS11_E_NS1_11comp_targetILNS1_3genE4ELNS1_11target_archE910ELNS1_3gpuE8ELNS1_3repE0EEENS1_30default_config_static_selectorELNS0_4arch9wavefront6targetE0EEEvT1_,@function
_ZN7rocprim17ROCPRIM_400000_NS6detail17trampoline_kernelINS0_14default_configENS1_25partition_config_selectorILNS1_17partition_subalgoE5ElNS0_10empty_typeEbEEZZNS1_14partition_implILS5_5ELb0ES3_mN6hipcub16HIPCUB_304000_NS21CountingInputIteratorIllEEPS6_NSA_22TransformInputIteratorIb7NonZeroIiEPilEENS0_5tupleIJPlS6_EEENSJ_IJSD_SD_EEES6_SK_JS6_EEE10hipError_tPvRmT3_T4_T5_T6_T7_T9_mT8_P12ihipStream_tbDpT10_ENKUlT_T0_E_clISt17integral_constantIbLb0EES16_EEDaS11_S12_EUlS11_E_NS1_11comp_targetILNS1_3genE4ELNS1_11target_archE910ELNS1_3gpuE8ELNS1_3repE0EEENS1_30default_config_static_selectorELNS0_4arch9wavefront6targetE0EEEvT1_: ; @_ZN7rocprim17ROCPRIM_400000_NS6detail17trampoline_kernelINS0_14default_configENS1_25partition_config_selectorILNS1_17partition_subalgoE5ElNS0_10empty_typeEbEEZZNS1_14partition_implILS5_5ELb0ES3_mN6hipcub16HIPCUB_304000_NS21CountingInputIteratorIllEEPS6_NSA_22TransformInputIteratorIb7NonZeroIiEPilEENS0_5tupleIJPlS6_EEENSJ_IJSD_SD_EEES6_SK_JS6_EEE10hipError_tPvRmT3_T4_T5_T6_T7_T9_mT8_P12ihipStream_tbDpT10_ENKUlT_T0_E_clISt17integral_constantIbLb0EES16_EEDaS11_S12_EUlS11_E_NS1_11comp_targetILNS1_3genE4ELNS1_11target_archE910ELNS1_3gpuE8ELNS1_3repE0EEENS1_30default_config_static_selectorELNS0_4arch9wavefront6targetE0EEEvT1_
; %bb.0:
	.section	.rodata,"a",@progbits
	.p2align	6, 0x0
	.amdhsa_kernel _ZN7rocprim17ROCPRIM_400000_NS6detail17trampoline_kernelINS0_14default_configENS1_25partition_config_selectorILNS1_17partition_subalgoE5ElNS0_10empty_typeEbEEZZNS1_14partition_implILS5_5ELb0ES3_mN6hipcub16HIPCUB_304000_NS21CountingInputIteratorIllEEPS6_NSA_22TransformInputIteratorIb7NonZeroIiEPilEENS0_5tupleIJPlS6_EEENSJ_IJSD_SD_EEES6_SK_JS6_EEE10hipError_tPvRmT3_T4_T5_T6_T7_T9_mT8_P12ihipStream_tbDpT10_ENKUlT_T0_E_clISt17integral_constantIbLb0EES16_EEDaS11_S12_EUlS11_E_NS1_11comp_targetILNS1_3genE4ELNS1_11target_archE910ELNS1_3gpuE8ELNS1_3repE0EEENS1_30default_config_static_selectorELNS0_4arch9wavefront6targetE0EEEvT1_
		.amdhsa_group_segment_fixed_size 0
		.amdhsa_private_segment_fixed_size 0
		.amdhsa_kernarg_size 120
		.amdhsa_user_sgpr_count 15
		.amdhsa_user_sgpr_dispatch_ptr 0
		.amdhsa_user_sgpr_queue_ptr 0
		.amdhsa_user_sgpr_kernarg_segment_ptr 1
		.amdhsa_user_sgpr_dispatch_id 0
		.amdhsa_user_sgpr_private_segment_size 0
		.amdhsa_wavefront_size32 1
		.amdhsa_uses_dynamic_stack 0
		.amdhsa_enable_private_segment 0
		.amdhsa_system_sgpr_workgroup_id_x 1
		.amdhsa_system_sgpr_workgroup_id_y 0
		.amdhsa_system_sgpr_workgroup_id_z 0
		.amdhsa_system_sgpr_workgroup_info 0
		.amdhsa_system_vgpr_workitem_id 0
		.amdhsa_next_free_vgpr 1
		.amdhsa_next_free_sgpr 1
		.amdhsa_reserve_vcc 0
		.amdhsa_float_round_mode_32 0
		.amdhsa_float_round_mode_16_64 0
		.amdhsa_float_denorm_mode_32 3
		.amdhsa_float_denorm_mode_16_64 3
		.amdhsa_dx10_clamp 1
		.amdhsa_ieee_mode 1
		.amdhsa_fp16_overflow 0
		.amdhsa_workgroup_processor_mode 1
		.amdhsa_memory_ordered 1
		.amdhsa_forward_progress 0
		.amdhsa_shared_vgpr_count 0
		.amdhsa_exception_fp_ieee_invalid_op 0
		.amdhsa_exception_fp_denorm_src 0
		.amdhsa_exception_fp_ieee_div_zero 0
		.amdhsa_exception_fp_ieee_overflow 0
		.amdhsa_exception_fp_ieee_underflow 0
		.amdhsa_exception_fp_ieee_inexact 0
		.amdhsa_exception_int_div_zero 0
	.end_amdhsa_kernel
	.section	.text._ZN7rocprim17ROCPRIM_400000_NS6detail17trampoline_kernelINS0_14default_configENS1_25partition_config_selectorILNS1_17partition_subalgoE5ElNS0_10empty_typeEbEEZZNS1_14partition_implILS5_5ELb0ES3_mN6hipcub16HIPCUB_304000_NS21CountingInputIteratorIllEEPS6_NSA_22TransformInputIteratorIb7NonZeroIiEPilEENS0_5tupleIJPlS6_EEENSJ_IJSD_SD_EEES6_SK_JS6_EEE10hipError_tPvRmT3_T4_T5_T6_T7_T9_mT8_P12ihipStream_tbDpT10_ENKUlT_T0_E_clISt17integral_constantIbLb0EES16_EEDaS11_S12_EUlS11_E_NS1_11comp_targetILNS1_3genE4ELNS1_11target_archE910ELNS1_3gpuE8ELNS1_3repE0EEENS1_30default_config_static_selectorELNS0_4arch9wavefront6targetE0EEEvT1_,"axG",@progbits,_ZN7rocprim17ROCPRIM_400000_NS6detail17trampoline_kernelINS0_14default_configENS1_25partition_config_selectorILNS1_17partition_subalgoE5ElNS0_10empty_typeEbEEZZNS1_14partition_implILS5_5ELb0ES3_mN6hipcub16HIPCUB_304000_NS21CountingInputIteratorIllEEPS6_NSA_22TransformInputIteratorIb7NonZeroIiEPilEENS0_5tupleIJPlS6_EEENSJ_IJSD_SD_EEES6_SK_JS6_EEE10hipError_tPvRmT3_T4_T5_T6_T7_T9_mT8_P12ihipStream_tbDpT10_ENKUlT_T0_E_clISt17integral_constantIbLb0EES16_EEDaS11_S12_EUlS11_E_NS1_11comp_targetILNS1_3genE4ELNS1_11target_archE910ELNS1_3gpuE8ELNS1_3repE0EEENS1_30default_config_static_selectorELNS0_4arch9wavefront6targetE0EEEvT1_,comdat
.Lfunc_end187:
	.size	_ZN7rocprim17ROCPRIM_400000_NS6detail17trampoline_kernelINS0_14default_configENS1_25partition_config_selectorILNS1_17partition_subalgoE5ElNS0_10empty_typeEbEEZZNS1_14partition_implILS5_5ELb0ES3_mN6hipcub16HIPCUB_304000_NS21CountingInputIteratorIllEEPS6_NSA_22TransformInputIteratorIb7NonZeroIiEPilEENS0_5tupleIJPlS6_EEENSJ_IJSD_SD_EEES6_SK_JS6_EEE10hipError_tPvRmT3_T4_T5_T6_T7_T9_mT8_P12ihipStream_tbDpT10_ENKUlT_T0_E_clISt17integral_constantIbLb0EES16_EEDaS11_S12_EUlS11_E_NS1_11comp_targetILNS1_3genE4ELNS1_11target_archE910ELNS1_3gpuE8ELNS1_3repE0EEENS1_30default_config_static_selectorELNS0_4arch9wavefront6targetE0EEEvT1_, .Lfunc_end187-_ZN7rocprim17ROCPRIM_400000_NS6detail17trampoline_kernelINS0_14default_configENS1_25partition_config_selectorILNS1_17partition_subalgoE5ElNS0_10empty_typeEbEEZZNS1_14partition_implILS5_5ELb0ES3_mN6hipcub16HIPCUB_304000_NS21CountingInputIteratorIllEEPS6_NSA_22TransformInputIteratorIb7NonZeroIiEPilEENS0_5tupleIJPlS6_EEENSJ_IJSD_SD_EEES6_SK_JS6_EEE10hipError_tPvRmT3_T4_T5_T6_T7_T9_mT8_P12ihipStream_tbDpT10_ENKUlT_T0_E_clISt17integral_constantIbLb0EES16_EEDaS11_S12_EUlS11_E_NS1_11comp_targetILNS1_3genE4ELNS1_11target_archE910ELNS1_3gpuE8ELNS1_3repE0EEENS1_30default_config_static_selectorELNS0_4arch9wavefront6targetE0EEEvT1_
                                        ; -- End function
	.section	.AMDGPU.csdata,"",@progbits
; Kernel info:
; codeLenInByte = 0
; NumSgprs: 0
; NumVgprs: 0
; ScratchSize: 0
; MemoryBound: 0
; FloatMode: 240
; IeeeMode: 1
; LDSByteSize: 0 bytes/workgroup (compile time only)
; SGPRBlocks: 0
; VGPRBlocks: 0
; NumSGPRsForWavesPerEU: 1
; NumVGPRsForWavesPerEU: 1
; Occupancy: 15
; WaveLimiterHint : 0
; COMPUTE_PGM_RSRC2:SCRATCH_EN: 0
; COMPUTE_PGM_RSRC2:USER_SGPR: 15
; COMPUTE_PGM_RSRC2:TRAP_HANDLER: 0
; COMPUTE_PGM_RSRC2:TGID_X_EN: 1
; COMPUTE_PGM_RSRC2:TGID_Y_EN: 0
; COMPUTE_PGM_RSRC2:TGID_Z_EN: 0
; COMPUTE_PGM_RSRC2:TIDIG_COMP_CNT: 0
	.section	.text._ZN7rocprim17ROCPRIM_400000_NS6detail17trampoline_kernelINS0_14default_configENS1_25partition_config_selectorILNS1_17partition_subalgoE5ElNS0_10empty_typeEbEEZZNS1_14partition_implILS5_5ELb0ES3_mN6hipcub16HIPCUB_304000_NS21CountingInputIteratorIllEEPS6_NSA_22TransformInputIteratorIb7NonZeroIiEPilEENS0_5tupleIJPlS6_EEENSJ_IJSD_SD_EEES6_SK_JS6_EEE10hipError_tPvRmT3_T4_T5_T6_T7_T9_mT8_P12ihipStream_tbDpT10_ENKUlT_T0_E_clISt17integral_constantIbLb0EES16_EEDaS11_S12_EUlS11_E_NS1_11comp_targetILNS1_3genE3ELNS1_11target_archE908ELNS1_3gpuE7ELNS1_3repE0EEENS1_30default_config_static_selectorELNS0_4arch9wavefront6targetE0EEEvT1_,"axG",@progbits,_ZN7rocprim17ROCPRIM_400000_NS6detail17trampoline_kernelINS0_14default_configENS1_25partition_config_selectorILNS1_17partition_subalgoE5ElNS0_10empty_typeEbEEZZNS1_14partition_implILS5_5ELb0ES3_mN6hipcub16HIPCUB_304000_NS21CountingInputIteratorIllEEPS6_NSA_22TransformInputIteratorIb7NonZeroIiEPilEENS0_5tupleIJPlS6_EEENSJ_IJSD_SD_EEES6_SK_JS6_EEE10hipError_tPvRmT3_T4_T5_T6_T7_T9_mT8_P12ihipStream_tbDpT10_ENKUlT_T0_E_clISt17integral_constantIbLb0EES16_EEDaS11_S12_EUlS11_E_NS1_11comp_targetILNS1_3genE3ELNS1_11target_archE908ELNS1_3gpuE7ELNS1_3repE0EEENS1_30default_config_static_selectorELNS0_4arch9wavefront6targetE0EEEvT1_,comdat
	.protected	_ZN7rocprim17ROCPRIM_400000_NS6detail17trampoline_kernelINS0_14default_configENS1_25partition_config_selectorILNS1_17partition_subalgoE5ElNS0_10empty_typeEbEEZZNS1_14partition_implILS5_5ELb0ES3_mN6hipcub16HIPCUB_304000_NS21CountingInputIteratorIllEEPS6_NSA_22TransformInputIteratorIb7NonZeroIiEPilEENS0_5tupleIJPlS6_EEENSJ_IJSD_SD_EEES6_SK_JS6_EEE10hipError_tPvRmT3_T4_T5_T6_T7_T9_mT8_P12ihipStream_tbDpT10_ENKUlT_T0_E_clISt17integral_constantIbLb0EES16_EEDaS11_S12_EUlS11_E_NS1_11comp_targetILNS1_3genE3ELNS1_11target_archE908ELNS1_3gpuE7ELNS1_3repE0EEENS1_30default_config_static_selectorELNS0_4arch9wavefront6targetE0EEEvT1_ ; -- Begin function _ZN7rocprim17ROCPRIM_400000_NS6detail17trampoline_kernelINS0_14default_configENS1_25partition_config_selectorILNS1_17partition_subalgoE5ElNS0_10empty_typeEbEEZZNS1_14partition_implILS5_5ELb0ES3_mN6hipcub16HIPCUB_304000_NS21CountingInputIteratorIllEEPS6_NSA_22TransformInputIteratorIb7NonZeroIiEPilEENS0_5tupleIJPlS6_EEENSJ_IJSD_SD_EEES6_SK_JS6_EEE10hipError_tPvRmT3_T4_T5_T6_T7_T9_mT8_P12ihipStream_tbDpT10_ENKUlT_T0_E_clISt17integral_constantIbLb0EES16_EEDaS11_S12_EUlS11_E_NS1_11comp_targetILNS1_3genE3ELNS1_11target_archE908ELNS1_3gpuE7ELNS1_3repE0EEENS1_30default_config_static_selectorELNS0_4arch9wavefront6targetE0EEEvT1_
	.globl	_ZN7rocprim17ROCPRIM_400000_NS6detail17trampoline_kernelINS0_14default_configENS1_25partition_config_selectorILNS1_17partition_subalgoE5ElNS0_10empty_typeEbEEZZNS1_14partition_implILS5_5ELb0ES3_mN6hipcub16HIPCUB_304000_NS21CountingInputIteratorIllEEPS6_NSA_22TransformInputIteratorIb7NonZeroIiEPilEENS0_5tupleIJPlS6_EEENSJ_IJSD_SD_EEES6_SK_JS6_EEE10hipError_tPvRmT3_T4_T5_T6_T7_T9_mT8_P12ihipStream_tbDpT10_ENKUlT_T0_E_clISt17integral_constantIbLb0EES16_EEDaS11_S12_EUlS11_E_NS1_11comp_targetILNS1_3genE3ELNS1_11target_archE908ELNS1_3gpuE7ELNS1_3repE0EEENS1_30default_config_static_selectorELNS0_4arch9wavefront6targetE0EEEvT1_
	.p2align	8
	.type	_ZN7rocprim17ROCPRIM_400000_NS6detail17trampoline_kernelINS0_14default_configENS1_25partition_config_selectorILNS1_17partition_subalgoE5ElNS0_10empty_typeEbEEZZNS1_14partition_implILS5_5ELb0ES3_mN6hipcub16HIPCUB_304000_NS21CountingInputIteratorIllEEPS6_NSA_22TransformInputIteratorIb7NonZeroIiEPilEENS0_5tupleIJPlS6_EEENSJ_IJSD_SD_EEES6_SK_JS6_EEE10hipError_tPvRmT3_T4_T5_T6_T7_T9_mT8_P12ihipStream_tbDpT10_ENKUlT_T0_E_clISt17integral_constantIbLb0EES16_EEDaS11_S12_EUlS11_E_NS1_11comp_targetILNS1_3genE3ELNS1_11target_archE908ELNS1_3gpuE7ELNS1_3repE0EEENS1_30default_config_static_selectorELNS0_4arch9wavefront6targetE0EEEvT1_,@function
_ZN7rocprim17ROCPRIM_400000_NS6detail17trampoline_kernelINS0_14default_configENS1_25partition_config_selectorILNS1_17partition_subalgoE5ElNS0_10empty_typeEbEEZZNS1_14partition_implILS5_5ELb0ES3_mN6hipcub16HIPCUB_304000_NS21CountingInputIteratorIllEEPS6_NSA_22TransformInputIteratorIb7NonZeroIiEPilEENS0_5tupleIJPlS6_EEENSJ_IJSD_SD_EEES6_SK_JS6_EEE10hipError_tPvRmT3_T4_T5_T6_T7_T9_mT8_P12ihipStream_tbDpT10_ENKUlT_T0_E_clISt17integral_constantIbLb0EES16_EEDaS11_S12_EUlS11_E_NS1_11comp_targetILNS1_3genE3ELNS1_11target_archE908ELNS1_3gpuE7ELNS1_3repE0EEENS1_30default_config_static_selectorELNS0_4arch9wavefront6targetE0EEEvT1_: ; @_ZN7rocprim17ROCPRIM_400000_NS6detail17trampoline_kernelINS0_14default_configENS1_25partition_config_selectorILNS1_17partition_subalgoE5ElNS0_10empty_typeEbEEZZNS1_14partition_implILS5_5ELb0ES3_mN6hipcub16HIPCUB_304000_NS21CountingInputIteratorIllEEPS6_NSA_22TransformInputIteratorIb7NonZeroIiEPilEENS0_5tupleIJPlS6_EEENSJ_IJSD_SD_EEES6_SK_JS6_EEE10hipError_tPvRmT3_T4_T5_T6_T7_T9_mT8_P12ihipStream_tbDpT10_ENKUlT_T0_E_clISt17integral_constantIbLb0EES16_EEDaS11_S12_EUlS11_E_NS1_11comp_targetILNS1_3genE3ELNS1_11target_archE908ELNS1_3gpuE7ELNS1_3repE0EEENS1_30default_config_static_selectorELNS0_4arch9wavefront6targetE0EEEvT1_
; %bb.0:
	.section	.rodata,"a",@progbits
	.p2align	6, 0x0
	.amdhsa_kernel _ZN7rocprim17ROCPRIM_400000_NS6detail17trampoline_kernelINS0_14default_configENS1_25partition_config_selectorILNS1_17partition_subalgoE5ElNS0_10empty_typeEbEEZZNS1_14partition_implILS5_5ELb0ES3_mN6hipcub16HIPCUB_304000_NS21CountingInputIteratorIllEEPS6_NSA_22TransformInputIteratorIb7NonZeroIiEPilEENS0_5tupleIJPlS6_EEENSJ_IJSD_SD_EEES6_SK_JS6_EEE10hipError_tPvRmT3_T4_T5_T6_T7_T9_mT8_P12ihipStream_tbDpT10_ENKUlT_T0_E_clISt17integral_constantIbLb0EES16_EEDaS11_S12_EUlS11_E_NS1_11comp_targetILNS1_3genE3ELNS1_11target_archE908ELNS1_3gpuE7ELNS1_3repE0EEENS1_30default_config_static_selectorELNS0_4arch9wavefront6targetE0EEEvT1_
		.amdhsa_group_segment_fixed_size 0
		.amdhsa_private_segment_fixed_size 0
		.amdhsa_kernarg_size 120
		.amdhsa_user_sgpr_count 15
		.amdhsa_user_sgpr_dispatch_ptr 0
		.amdhsa_user_sgpr_queue_ptr 0
		.amdhsa_user_sgpr_kernarg_segment_ptr 1
		.amdhsa_user_sgpr_dispatch_id 0
		.amdhsa_user_sgpr_private_segment_size 0
		.amdhsa_wavefront_size32 1
		.amdhsa_uses_dynamic_stack 0
		.amdhsa_enable_private_segment 0
		.amdhsa_system_sgpr_workgroup_id_x 1
		.amdhsa_system_sgpr_workgroup_id_y 0
		.amdhsa_system_sgpr_workgroup_id_z 0
		.amdhsa_system_sgpr_workgroup_info 0
		.amdhsa_system_vgpr_workitem_id 0
		.amdhsa_next_free_vgpr 1
		.amdhsa_next_free_sgpr 1
		.amdhsa_reserve_vcc 0
		.amdhsa_float_round_mode_32 0
		.amdhsa_float_round_mode_16_64 0
		.amdhsa_float_denorm_mode_32 3
		.amdhsa_float_denorm_mode_16_64 3
		.amdhsa_dx10_clamp 1
		.amdhsa_ieee_mode 1
		.amdhsa_fp16_overflow 0
		.amdhsa_workgroup_processor_mode 1
		.amdhsa_memory_ordered 1
		.amdhsa_forward_progress 0
		.amdhsa_shared_vgpr_count 0
		.amdhsa_exception_fp_ieee_invalid_op 0
		.amdhsa_exception_fp_denorm_src 0
		.amdhsa_exception_fp_ieee_div_zero 0
		.amdhsa_exception_fp_ieee_overflow 0
		.amdhsa_exception_fp_ieee_underflow 0
		.amdhsa_exception_fp_ieee_inexact 0
		.amdhsa_exception_int_div_zero 0
	.end_amdhsa_kernel
	.section	.text._ZN7rocprim17ROCPRIM_400000_NS6detail17trampoline_kernelINS0_14default_configENS1_25partition_config_selectorILNS1_17partition_subalgoE5ElNS0_10empty_typeEbEEZZNS1_14partition_implILS5_5ELb0ES3_mN6hipcub16HIPCUB_304000_NS21CountingInputIteratorIllEEPS6_NSA_22TransformInputIteratorIb7NonZeroIiEPilEENS0_5tupleIJPlS6_EEENSJ_IJSD_SD_EEES6_SK_JS6_EEE10hipError_tPvRmT3_T4_T5_T6_T7_T9_mT8_P12ihipStream_tbDpT10_ENKUlT_T0_E_clISt17integral_constantIbLb0EES16_EEDaS11_S12_EUlS11_E_NS1_11comp_targetILNS1_3genE3ELNS1_11target_archE908ELNS1_3gpuE7ELNS1_3repE0EEENS1_30default_config_static_selectorELNS0_4arch9wavefront6targetE0EEEvT1_,"axG",@progbits,_ZN7rocprim17ROCPRIM_400000_NS6detail17trampoline_kernelINS0_14default_configENS1_25partition_config_selectorILNS1_17partition_subalgoE5ElNS0_10empty_typeEbEEZZNS1_14partition_implILS5_5ELb0ES3_mN6hipcub16HIPCUB_304000_NS21CountingInputIteratorIllEEPS6_NSA_22TransformInputIteratorIb7NonZeroIiEPilEENS0_5tupleIJPlS6_EEENSJ_IJSD_SD_EEES6_SK_JS6_EEE10hipError_tPvRmT3_T4_T5_T6_T7_T9_mT8_P12ihipStream_tbDpT10_ENKUlT_T0_E_clISt17integral_constantIbLb0EES16_EEDaS11_S12_EUlS11_E_NS1_11comp_targetILNS1_3genE3ELNS1_11target_archE908ELNS1_3gpuE7ELNS1_3repE0EEENS1_30default_config_static_selectorELNS0_4arch9wavefront6targetE0EEEvT1_,comdat
.Lfunc_end188:
	.size	_ZN7rocprim17ROCPRIM_400000_NS6detail17trampoline_kernelINS0_14default_configENS1_25partition_config_selectorILNS1_17partition_subalgoE5ElNS0_10empty_typeEbEEZZNS1_14partition_implILS5_5ELb0ES3_mN6hipcub16HIPCUB_304000_NS21CountingInputIteratorIllEEPS6_NSA_22TransformInputIteratorIb7NonZeroIiEPilEENS0_5tupleIJPlS6_EEENSJ_IJSD_SD_EEES6_SK_JS6_EEE10hipError_tPvRmT3_T4_T5_T6_T7_T9_mT8_P12ihipStream_tbDpT10_ENKUlT_T0_E_clISt17integral_constantIbLb0EES16_EEDaS11_S12_EUlS11_E_NS1_11comp_targetILNS1_3genE3ELNS1_11target_archE908ELNS1_3gpuE7ELNS1_3repE0EEENS1_30default_config_static_selectorELNS0_4arch9wavefront6targetE0EEEvT1_, .Lfunc_end188-_ZN7rocprim17ROCPRIM_400000_NS6detail17trampoline_kernelINS0_14default_configENS1_25partition_config_selectorILNS1_17partition_subalgoE5ElNS0_10empty_typeEbEEZZNS1_14partition_implILS5_5ELb0ES3_mN6hipcub16HIPCUB_304000_NS21CountingInputIteratorIllEEPS6_NSA_22TransformInputIteratorIb7NonZeroIiEPilEENS0_5tupleIJPlS6_EEENSJ_IJSD_SD_EEES6_SK_JS6_EEE10hipError_tPvRmT3_T4_T5_T6_T7_T9_mT8_P12ihipStream_tbDpT10_ENKUlT_T0_E_clISt17integral_constantIbLb0EES16_EEDaS11_S12_EUlS11_E_NS1_11comp_targetILNS1_3genE3ELNS1_11target_archE908ELNS1_3gpuE7ELNS1_3repE0EEENS1_30default_config_static_selectorELNS0_4arch9wavefront6targetE0EEEvT1_
                                        ; -- End function
	.section	.AMDGPU.csdata,"",@progbits
; Kernel info:
; codeLenInByte = 0
; NumSgprs: 0
; NumVgprs: 0
; ScratchSize: 0
; MemoryBound: 0
; FloatMode: 240
; IeeeMode: 1
; LDSByteSize: 0 bytes/workgroup (compile time only)
; SGPRBlocks: 0
; VGPRBlocks: 0
; NumSGPRsForWavesPerEU: 1
; NumVGPRsForWavesPerEU: 1
; Occupancy: 16
; WaveLimiterHint : 0
; COMPUTE_PGM_RSRC2:SCRATCH_EN: 0
; COMPUTE_PGM_RSRC2:USER_SGPR: 15
; COMPUTE_PGM_RSRC2:TRAP_HANDLER: 0
; COMPUTE_PGM_RSRC2:TGID_X_EN: 1
; COMPUTE_PGM_RSRC2:TGID_Y_EN: 0
; COMPUTE_PGM_RSRC2:TGID_Z_EN: 0
; COMPUTE_PGM_RSRC2:TIDIG_COMP_CNT: 0
	.section	.text._ZN7rocprim17ROCPRIM_400000_NS6detail17trampoline_kernelINS0_14default_configENS1_25partition_config_selectorILNS1_17partition_subalgoE5ElNS0_10empty_typeEbEEZZNS1_14partition_implILS5_5ELb0ES3_mN6hipcub16HIPCUB_304000_NS21CountingInputIteratorIllEEPS6_NSA_22TransformInputIteratorIb7NonZeroIiEPilEENS0_5tupleIJPlS6_EEENSJ_IJSD_SD_EEES6_SK_JS6_EEE10hipError_tPvRmT3_T4_T5_T6_T7_T9_mT8_P12ihipStream_tbDpT10_ENKUlT_T0_E_clISt17integral_constantIbLb0EES16_EEDaS11_S12_EUlS11_E_NS1_11comp_targetILNS1_3genE2ELNS1_11target_archE906ELNS1_3gpuE6ELNS1_3repE0EEENS1_30default_config_static_selectorELNS0_4arch9wavefront6targetE0EEEvT1_,"axG",@progbits,_ZN7rocprim17ROCPRIM_400000_NS6detail17trampoline_kernelINS0_14default_configENS1_25partition_config_selectorILNS1_17partition_subalgoE5ElNS0_10empty_typeEbEEZZNS1_14partition_implILS5_5ELb0ES3_mN6hipcub16HIPCUB_304000_NS21CountingInputIteratorIllEEPS6_NSA_22TransformInputIteratorIb7NonZeroIiEPilEENS0_5tupleIJPlS6_EEENSJ_IJSD_SD_EEES6_SK_JS6_EEE10hipError_tPvRmT3_T4_T5_T6_T7_T9_mT8_P12ihipStream_tbDpT10_ENKUlT_T0_E_clISt17integral_constantIbLb0EES16_EEDaS11_S12_EUlS11_E_NS1_11comp_targetILNS1_3genE2ELNS1_11target_archE906ELNS1_3gpuE6ELNS1_3repE0EEENS1_30default_config_static_selectorELNS0_4arch9wavefront6targetE0EEEvT1_,comdat
	.protected	_ZN7rocprim17ROCPRIM_400000_NS6detail17trampoline_kernelINS0_14default_configENS1_25partition_config_selectorILNS1_17partition_subalgoE5ElNS0_10empty_typeEbEEZZNS1_14partition_implILS5_5ELb0ES3_mN6hipcub16HIPCUB_304000_NS21CountingInputIteratorIllEEPS6_NSA_22TransformInputIteratorIb7NonZeroIiEPilEENS0_5tupleIJPlS6_EEENSJ_IJSD_SD_EEES6_SK_JS6_EEE10hipError_tPvRmT3_T4_T5_T6_T7_T9_mT8_P12ihipStream_tbDpT10_ENKUlT_T0_E_clISt17integral_constantIbLb0EES16_EEDaS11_S12_EUlS11_E_NS1_11comp_targetILNS1_3genE2ELNS1_11target_archE906ELNS1_3gpuE6ELNS1_3repE0EEENS1_30default_config_static_selectorELNS0_4arch9wavefront6targetE0EEEvT1_ ; -- Begin function _ZN7rocprim17ROCPRIM_400000_NS6detail17trampoline_kernelINS0_14default_configENS1_25partition_config_selectorILNS1_17partition_subalgoE5ElNS0_10empty_typeEbEEZZNS1_14partition_implILS5_5ELb0ES3_mN6hipcub16HIPCUB_304000_NS21CountingInputIteratorIllEEPS6_NSA_22TransformInputIteratorIb7NonZeroIiEPilEENS0_5tupleIJPlS6_EEENSJ_IJSD_SD_EEES6_SK_JS6_EEE10hipError_tPvRmT3_T4_T5_T6_T7_T9_mT8_P12ihipStream_tbDpT10_ENKUlT_T0_E_clISt17integral_constantIbLb0EES16_EEDaS11_S12_EUlS11_E_NS1_11comp_targetILNS1_3genE2ELNS1_11target_archE906ELNS1_3gpuE6ELNS1_3repE0EEENS1_30default_config_static_selectorELNS0_4arch9wavefront6targetE0EEEvT1_
	.globl	_ZN7rocprim17ROCPRIM_400000_NS6detail17trampoline_kernelINS0_14default_configENS1_25partition_config_selectorILNS1_17partition_subalgoE5ElNS0_10empty_typeEbEEZZNS1_14partition_implILS5_5ELb0ES3_mN6hipcub16HIPCUB_304000_NS21CountingInputIteratorIllEEPS6_NSA_22TransformInputIteratorIb7NonZeroIiEPilEENS0_5tupleIJPlS6_EEENSJ_IJSD_SD_EEES6_SK_JS6_EEE10hipError_tPvRmT3_T4_T5_T6_T7_T9_mT8_P12ihipStream_tbDpT10_ENKUlT_T0_E_clISt17integral_constantIbLb0EES16_EEDaS11_S12_EUlS11_E_NS1_11comp_targetILNS1_3genE2ELNS1_11target_archE906ELNS1_3gpuE6ELNS1_3repE0EEENS1_30default_config_static_selectorELNS0_4arch9wavefront6targetE0EEEvT1_
	.p2align	8
	.type	_ZN7rocprim17ROCPRIM_400000_NS6detail17trampoline_kernelINS0_14default_configENS1_25partition_config_selectorILNS1_17partition_subalgoE5ElNS0_10empty_typeEbEEZZNS1_14partition_implILS5_5ELb0ES3_mN6hipcub16HIPCUB_304000_NS21CountingInputIteratorIllEEPS6_NSA_22TransformInputIteratorIb7NonZeroIiEPilEENS0_5tupleIJPlS6_EEENSJ_IJSD_SD_EEES6_SK_JS6_EEE10hipError_tPvRmT3_T4_T5_T6_T7_T9_mT8_P12ihipStream_tbDpT10_ENKUlT_T0_E_clISt17integral_constantIbLb0EES16_EEDaS11_S12_EUlS11_E_NS1_11comp_targetILNS1_3genE2ELNS1_11target_archE906ELNS1_3gpuE6ELNS1_3repE0EEENS1_30default_config_static_selectorELNS0_4arch9wavefront6targetE0EEEvT1_,@function
_ZN7rocprim17ROCPRIM_400000_NS6detail17trampoline_kernelINS0_14default_configENS1_25partition_config_selectorILNS1_17partition_subalgoE5ElNS0_10empty_typeEbEEZZNS1_14partition_implILS5_5ELb0ES3_mN6hipcub16HIPCUB_304000_NS21CountingInputIteratorIllEEPS6_NSA_22TransformInputIteratorIb7NonZeroIiEPilEENS0_5tupleIJPlS6_EEENSJ_IJSD_SD_EEES6_SK_JS6_EEE10hipError_tPvRmT3_T4_T5_T6_T7_T9_mT8_P12ihipStream_tbDpT10_ENKUlT_T0_E_clISt17integral_constantIbLb0EES16_EEDaS11_S12_EUlS11_E_NS1_11comp_targetILNS1_3genE2ELNS1_11target_archE906ELNS1_3gpuE6ELNS1_3repE0EEENS1_30default_config_static_selectorELNS0_4arch9wavefront6targetE0EEEvT1_: ; @_ZN7rocprim17ROCPRIM_400000_NS6detail17trampoline_kernelINS0_14default_configENS1_25partition_config_selectorILNS1_17partition_subalgoE5ElNS0_10empty_typeEbEEZZNS1_14partition_implILS5_5ELb0ES3_mN6hipcub16HIPCUB_304000_NS21CountingInputIteratorIllEEPS6_NSA_22TransformInputIteratorIb7NonZeroIiEPilEENS0_5tupleIJPlS6_EEENSJ_IJSD_SD_EEES6_SK_JS6_EEE10hipError_tPvRmT3_T4_T5_T6_T7_T9_mT8_P12ihipStream_tbDpT10_ENKUlT_T0_E_clISt17integral_constantIbLb0EES16_EEDaS11_S12_EUlS11_E_NS1_11comp_targetILNS1_3genE2ELNS1_11target_archE906ELNS1_3gpuE6ELNS1_3repE0EEENS1_30default_config_static_selectorELNS0_4arch9wavefront6targetE0EEEvT1_
; %bb.0:
	.section	.rodata,"a",@progbits
	.p2align	6, 0x0
	.amdhsa_kernel _ZN7rocprim17ROCPRIM_400000_NS6detail17trampoline_kernelINS0_14default_configENS1_25partition_config_selectorILNS1_17partition_subalgoE5ElNS0_10empty_typeEbEEZZNS1_14partition_implILS5_5ELb0ES3_mN6hipcub16HIPCUB_304000_NS21CountingInputIteratorIllEEPS6_NSA_22TransformInputIteratorIb7NonZeroIiEPilEENS0_5tupleIJPlS6_EEENSJ_IJSD_SD_EEES6_SK_JS6_EEE10hipError_tPvRmT3_T4_T5_T6_T7_T9_mT8_P12ihipStream_tbDpT10_ENKUlT_T0_E_clISt17integral_constantIbLb0EES16_EEDaS11_S12_EUlS11_E_NS1_11comp_targetILNS1_3genE2ELNS1_11target_archE906ELNS1_3gpuE6ELNS1_3repE0EEENS1_30default_config_static_selectorELNS0_4arch9wavefront6targetE0EEEvT1_
		.amdhsa_group_segment_fixed_size 0
		.amdhsa_private_segment_fixed_size 0
		.amdhsa_kernarg_size 120
		.amdhsa_user_sgpr_count 15
		.amdhsa_user_sgpr_dispatch_ptr 0
		.amdhsa_user_sgpr_queue_ptr 0
		.amdhsa_user_sgpr_kernarg_segment_ptr 1
		.amdhsa_user_sgpr_dispatch_id 0
		.amdhsa_user_sgpr_private_segment_size 0
		.amdhsa_wavefront_size32 1
		.amdhsa_uses_dynamic_stack 0
		.amdhsa_enable_private_segment 0
		.amdhsa_system_sgpr_workgroup_id_x 1
		.amdhsa_system_sgpr_workgroup_id_y 0
		.amdhsa_system_sgpr_workgroup_id_z 0
		.amdhsa_system_sgpr_workgroup_info 0
		.amdhsa_system_vgpr_workitem_id 0
		.amdhsa_next_free_vgpr 1
		.amdhsa_next_free_sgpr 1
		.amdhsa_reserve_vcc 0
		.amdhsa_float_round_mode_32 0
		.amdhsa_float_round_mode_16_64 0
		.amdhsa_float_denorm_mode_32 3
		.amdhsa_float_denorm_mode_16_64 3
		.amdhsa_dx10_clamp 1
		.amdhsa_ieee_mode 1
		.amdhsa_fp16_overflow 0
		.amdhsa_workgroup_processor_mode 1
		.amdhsa_memory_ordered 1
		.amdhsa_forward_progress 0
		.amdhsa_shared_vgpr_count 0
		.amdhsa_exception_fp_ieee_invalid_op 0
		.amdhsa_exception_fp_denorm_src 0
		.amdhsa_exception_fp_ieee_div_zero 0
		.amdhsa_exception_fp_ieee_overflow 0
		.amdhsa_exception_fp_ieee_underflow 0
		.amdhsa_exception_fp_ieee_inexact 0
		.amdhsa_exception_int_div_zero 0
	.end_amdhsa_kernel
	.section	.text._ZN7rocprim17ROCPRIM_400000_NS6detail17trampoline_kernelINS0_14default_configENS1_25partition_config_selectorILNS1_17partition_subalgoE5ElNS0_10empty_typeEbEEZZNS1_14partition_implILS5_5ELb0ES3_mN6hipcub16HIPCUB_304000_NS21CountingInputIteratorIllEEPS6_NSA_22TransformInputIteratorIb7NonZeroIiEPilEENS0_5tupleIJPlS6_EEENSJ_IJSD_SD_EEES6_SK_JS6_EEE10hipError_tPvRmT3_T4_T5_T6_T7_T9_mT8_P12ihipStream_tbDpT10_ENKUlT_T0_E_clISt17integral_constantIbLb0EES16_EEDaS11_S12_EUlS11_E_NS1_11comp_targetILNS1_3genE2ELNS1_11target_archE906ELNS1_3gpuE6ELNS1_3repE0EEENS1_30default_config_static_selectorELNS0_4arch9wavefront6targetE0EEEvT1_,"axG",@progbits,_ZN7rocprim17ROCPRIM_400000_NS6detail17trampoline_kernelINS0_14default_configENS1_25partition_config_selectorILNS1_17partition_subalgoE5ElNS0_10empty_typeEbEEZZNS1_14partition_implILS5_5ELb0ES3_mN6hipcub16HIPCUB_304000_NS21CountingInputIteratorIllEEPS6_NSA_22TransformInputIteratorIb7NonZeroIiEPilEENS0_5tupleIJPlS6_EEENSJ_IJSD_SD_EEES6_SK_JS6_EEE10hipError_tPvRmT3_T4_T5_T6_T7_T9_mT8_P12ihipStream_tbDpT10_ENKUlT_T0_E_clISt17integral_constantIbLb0EES16_EEDaS11_S12_EUlS11_E_NS1_11comp_targetILNS1_3genE2ELNS1_11target_archE906ELNS1_3gpuE6ELNS1_3repE0EEENS1_30default_config_static_selectorELNS0_4arch9wavefront6targetE0EEEvT1_,comdat
.Lfunc_end189:
	.size	_ZN7rocprim17ROCPRIM_400000_NS6detail17trampoline_kernelINS0_14default_configENS1_25partition_config_selectorILNS1_17partition_subalgoE5ElNS0_10empty_typeEbEEZZNS1_14partition_implILS5_5ELb0ES3_mN6hipcub16HIPCUB_304000_NS21CountingInputIteratorIllEEPS6_NSA_22TransformInputIteratorIb7NonZeroIiEPilEENS0_5tupleIJPlS6_EEENSJ_IJSD_SD_EEES6_SK_JS6_EEE10hipError_tPvRmT3_T4_T5_T6_T7_T9_mT8_P12ihipStream_tbDpT10_ENKUlT_T0_E_clISt17integral_constantIbLb0EES16_EEDaS11_S12_EUlS11_E_NS1_11comp_targetILNS1_3genE2ELNS1_11target_archE906ELNS1_3gpuE6ELNS1_3repE0EEENS1_30default_config_static_selectorELNS0_4arch9wavefront6targetE0EEEvT1_, .Lfunc_end189-_ZN7rocprim17ROCPRIM_400000_NS6detail17trampoline_kernelINS0_14default_configENS1_25partition_config_selectorILNS1_17partition_subalgoE5ElNS0_10empty_typeEbEEZZNS1_14partition_implILS5_5ELb0ES3_mN6hipcub16HIPCUB_304000_NS21CountingInputIteratorIllEEPS6_NSA_22TransformInputIteratorIb7NonZeroIiEPilEENS0_5tupleIJPlS6_EEENSJ_IJSD_SD_EEES6_SK_JS6_EEE10hipError_tPvRmT3_T4_T5_T6_T7_T9_mT8_P12ihipStream_tbDpT10_ENKUlT_T0_E_clISt17integral_constantIbLb0EES16_EEDaS11_S12_EUlS11_E_NS1_11comp_targetILNS1_3genE2ELNS1_11target_archE906ELNS1_3gpuE6ELNS1_3repE0EEENS1_30default_config_static_selectorELNS0_4arch9wavefront6targetE0EEEvT1_
                                        ; -- End function
	.section	.AMDGPU.csdata,"",@progbits
; Kernel info:
; codeLenInByte = 0
; NumSgprs: 0
; NumVgprs: 0
; ScratchSize: 0
; MemoryBound: 0
; FloatMode: 240
; IeeeMode: 1
; LDSByteSize: 0 bytes/workgroup (compile time only)
; SGPRBlocks: 0
; VGPRBlocks: 0
; NumSGPRsForWavesPerEU: 1
; NumVGPRsForWavesPerEU: 1
; Occupancy: 16
; WaveLimiterHint : 0
; COMPUTE_PGM_RSRC2:SCRATCH_EN: 0
; COMPUTE_PGM_RSRC2:USER_SGPR: 15
; COMPUTE_PGM_RSRC2:TRAP_HANDLER: 0
; COMPUTE_PGM_RSRC2:TGID_X_EN: 1
; COMPUTE_PGM_RSRC2:TGID_Y_EN: 0
; COMPUTE_PGM_RSRC2:TGID_Z_EN: 0
; COMPUTE_PGM_RSRC2:TIDIG_COMP_CNT: 0
	.section	.text._ZN7rocprim17ROCPRIM_400000_NS6detail17trampoline_kernelINS0_14default_configENS1_25partition_config_selectorILNS1_17partition_subalgoE5ElNS0_10empty_typeEbEEZZNS1_14partition_implILS5_5ELb0ES3_mN6hipcub16HIPCUB_304000_NS21CountingInputIteratorIllEEPS6_NSA_22TransformInputIteratorIb7NonZeroIiEPilEENS0_5tupleIJPlS6_EEENSJ_IJSD_SD_EEES6_SK_JS6_EEE10hipError_tPvRmT3_T4_T5_T6_T7_T9_mT8_P12ihipStream_tbDpT10_ENKUlT_T0_E_clISt17integral_constantIbLb0EES16_EEDaS11_S12_EUlS11_E_NS1_11comp_targetILNS1_3genE10ELNS1_11target_archE1200ELNS1_3gpuE4ELNS1_3repE0EEENS1_30default_config_static_selectorELNS0_4arch9wavefront6targetE0EEEvT1_,"axG",@progbits,_ZN7rocprim17ROCPRIM_400000_NS6detail17trampoline_kernelINS0_14default_configENS1_25partition_config_selectorILNS1_17partition_subalgoE5ElNS0_10empty_typeEbEEZZNS1_14partition_implILS5_5ELb0ES3_mN6hipcub16HIPCUB_304000_NS21CountingInputIteratorIllEEPS6_NSA_22TransformInputIteratorIb7NonZeroIiEPilEENS0_5tupleIJPlS6_EEENSJ_IJSD_SD_EEES6_SK_JS6_EEE10hipError_tPvRmT3_T4_T5_T6_T7_T9_mT8_P12ihipStream_tbDpT10_ENKUlT_T0_E_clISt17integral_constantIbLb0EES16_EEDaS11_S12_EUlS11_E_NS1_11comp_targetILNS1_3genE10ELNS1_11target_archE1200ELNS1_3gpuE4ELNS1_3repE0EEENS1_30default_config_static_selectorELNS0_4arch9wavefront6targetE0EEEvT1_,comdat
	.protected	_ZN7rocprim17ROCPRIM_400000_NS6detail17trampoline_kernelINS0_14default_configENS1_25partition_config_selectorILNS1_17partition_subalgoE5ElNS0_10empty_typeEbEEZZNS1_14partition_implILS5_5ELb0ES3_mN6hipcub16HIPCUB_304000_NS21CountingInputIteratorIllEEPS6_NSA_22TransformInputIteratorIb7NonZeroIiEPilEENS0_5tupleIJPlS6_EEENSJ_IJSD_SD_EEES6_SK_JS6_EEE10hipError_tPvRmT3_T4_T5_T6_T7_T9_mT8_P12ihipStream_tbDpT10_ENKUlT_T0_E_clISt17integral_constantIbLb0EES16_EEDaS11_S12_EUlS11_E_NS1_11comp_targetILNS1_3genE10ELNS1_11target_archE1200ELNS1_3gpuE4ELNS1_3repE0EEENS1_30default_config_static_selectorELNS0_4arch9wavefront6targetE0EEEvT1_ ; -- Begin function _ZN7rocprim17ROCPRIM_400000_NS6detail17trampoline_kernelINS0_14default_configENS1_25partition_config_selectorILNS1_17partition_subalgoE5ElNS0_10empty_typeEbEEZZNS1_14partition_implILS5_5ELb0ES3_mN6hipcub16HIPCUB_304000_NS21CountingInputIteratorIllEEPS6_NSA_22TransformInputIteratorIb7NonZeroIiEPilEENS0_5tupleIJPlS6_EEENSJ_IJSD_SD_EEES6_SK_JS6_EEE10hipError_tPvRmT3_T4_T5_T6_T7_T9_mT8_P12ihipStream_tbDpT10_ENKUlT_T0_E_clISt17integral_constantIbLb0EES16_EEDaS11_S12_EUlS11_E_NS1_11comp_targetILNS1_3genE10ELNS1_11target_archE1200ELNS1_3gpuE4ELNS1_3repE0EEENS1_30default_config_static_selectorELNS0_4arch9wavefront6targetE0EEEvT1_
	.globl	_ZN7rocprim17ROCPRIM_400000_NS6detail17trampoline_kernelINS0_14default_configENS1_25partition_config_selectorILNS1_17partition_subalgoE5ElNS0_10empty_typeEbEEZZNS1_14partition_implILS5_5ELb0ES3_mN6hipcub16HIPCUB_304000_NS21CountingInputIteratorIllEEPS6_NSA_22TransformInputIteratorIb7NonZeroIiEPilEENS0_5tupleIJPlS6_EEENSJ_IJSD_SD_EEES6_SK_JS6_EEE10hipError_tPvRmT3_T4_T5_T6_T7_T9_mT8_P12ihipStream_tbDpT10_ENKUlT_T0_E_clISt17integral_constantIbLb0EES16_EEDaS11_S12_EUlS11_E_NS1_11comp_targetILNS1_3genE10ELNS1_11target_archE1200ELNS1_3gpuE4ELNS1_3repE0EEENS1_30default_config_static_selectorELNS0_4arch9wavefront6targetE0EEEvT1_
	.p2align	8
	.type	_ZN7rocprim17ROCPRIM_400000_NS6detail17trampoline_kernelINS0_14default_configENS1_25partition_config_selectorILNS1_17partition_subalgoE5ElNS0_10empty_typeEbEEZZNS1_14partition_implILS5_5ELb0ES3_mN6hipcub16HIPCUB_304000_NS21CountingInputIteratorIllEEPS6_NSA_22TransformInputIteratorIb7NonZeroIiEPilEENS0_5tupleIJPlS6_EEENSJ_IJSD_SD_EEES6_SK_JS6_EEE10hipError_tPvRmT3_T4_T5_T6_T7_T9_mT8_P12ihipStream_tbDpT10_ENKUlT_T0_E_clISt17integral_constantIbLb0EES16_EEDaS11_S12_EUlS11_E_NS1_11comp_targetILNS1_3genE10ELNS1_11target_archE1200ELNS1_3gpuE4ELNS1_3repE0EEENS1_30default_config_static_selectorELNS0_4arch9wavefront6targetE0EEEvT1_,@function
_ZN7rocprim17ROCPRIM_400000_NS6detail17trampoline_kernelINS0_14default_configENS1_25partition_config_selectorILNS1_17partition_subalgoE5ElNS0_10empty_typeEbEEZZNS1_14partition_implILS5_5ELb0ES3_mN6hipcub16HIPCUB_304000_NS21CountingInputIteratorIllEEPS6_NSA_22TransformInputIteratorIb7NonZeroIiEPilEENS0_5tupleIJPlS6_EEENSJ_IJSD_SD_EEES6_SK_JS6_EEE10hipError_tPvRmT3_T4_T5_T6_T7_T9_mT8_P12ihipStream_tbDpT10_ENKUlT_T0_E_clISt17integral_constantIbLb0EES16_EEDaS11_S12_EUlS11_E_NS1_11comp_targetILNS1_3genE10ELNS1_11target_archE1200ELNS1_3gpuE4ELNS1_3repE0EEENS1_30default_config_static_selectorELNS0_4arch9wavefront6targetE0EEEvT1_: ; @_ZN7rocprim17ROCPRIM_400000_NS6detail17trampoline_kernelINS0_14default_configENS1_25partition_config_selectorILNS1_17partition_subalgoE5ElNS0_10empty_typeEbEEZZNS1_14partition_implILS5_5ELb0ES3_mN6hipcub16HIPCUB_304000_NS21CountingInputIteratorIllEEPS6_NSA_22TransformInputIteratorIb7NonZeroIiEPilEENS0_5tupleIJPlS6_EEENSJ_IJSD_SD_EEES6_SK_JS6_EEE10hipError_tPvRmT3_T4_T5_T6_T7_T9_mT8_P12ihipStream_tbDpT10_ENKUlT_T0_E_clISt17integral_constantIbLb0EES16_EEDaS11_S12_EUlS11_E_NS1_11comp_targetILNS1_3genE10ELNS1_11target_archE1200ELNS1_3gpuE4ELNS1_3repE0EEENS1_30default_config_static_selectorELNS0_4arch9wavefront6targetE0EEEvT1_
; %bb.0:
	.section	.rodata,"a",@progbits
	.p2align	6, 0x0
	.amdhsa_kernel _ZN7rocprim17ROCPRIM_400000_NS6detail17trampoline_kernelINS0_14default_configENS1_25partition_config_selectorILNS1_17partition_subalgoE5ElNS0_10empty_typeEbEEZZNS1_14partition_implILS5_5ELb0ES3_mN6hipcub16HIPCUB_304000_NS21CountingInputIteratorIllEEPS6_NSA_22TransformInputIteratorIb7NonZeroIiEPilEENS0_5tupleIJPlS6_EEENSJ_IJSD_SD_EEES6_SK_JS6_EEE10hipError_tPvRmT3_T4_T5_T6_T7_T9_mT8_P12ihipStream_tbDpT10_ENKUlT_T0_E_clISt17integral_constantIbLb0EES16_EEDaS11_S12_EUlS11_E_NS1_11comp_targetILNS1_3genE10ELNS1_11target_archE1200ELNS1_3gpuE4ELNS1_3repE0EEENS1_30default_config_static_selectorELNS0_4arch9wavefront6targetE0EEEvT1_
		.amdhsa_group_segment_fixed_size 0
		.amdhsa_private_segment_fixed_size 0
		.amdhsa_kernarg_size 120
		.amdhsa_user_sgpr_count 15
		.amdhsa_user_sgpr_dispatch_ptr 0
		.amdhsa_user_sgpr_queue_ptr 0
		.amdhsa_user_sgpr_kernarg_segment_ptr 1
		.amdhsa_user_sgpr_dispatch_id 0
		.amdhsa_user_sgpr_private_segment_size 0
		.amdhsa_wavefront_size32 1
		.amdhsa_uses_dynamic_stack 0
		.amdhsa_enable_private_segment 0
		.amdhsa_system_sgpr_workgroup_id_x 1
		.amdhsa_system_sgpr_workgroup_id_y 0
		.amdhsa_system_sgpr_workgroup_id_z 0
		.amdhsa_system_sgpr_workgroup_info 0
		.amdhsa_system_vgpr_workitem_id 0
		.amdhsa_next_free_vgpr 1
		.amdhsa_next_free_sgpr 1
		.amdhsa_reserve_vcc 0
		.amdhsa_float_round_mode_32 0
		.amdhsa_float_round_mode_16_64 0
		.amdhsa_float_denorm_mode_32 3
		.amdhsa_float_denorm_mode_16_64 3
		.amdhsa_dx10_clamp 1
		.amdhsa_ieee_mode 1
		.amdhsa_fp16_overflow 0
		.amdhsa_workgroup_processor_mode 1
		.amdhsa_memory_ordered 1
		.amdhsa_forward_progress 0
		.amdhsa_shared_vgpr_count 0
		.amdhsa_exception_fp_ieee_invalid_op 0
		.amdhsa_exception_fp_denorm_src 0
		.amdhsa_exception_fp_ieee_div_zero 0
		.amdhsa_exception_fp_ieee_overflow 0
		.amdhsa_exception_fp_ieee_underflow 0
		.amdhsa_exception_fp_ieee_inexact 0
		.amdhsa_exception_int_div_zero 0
	.end_amdhsa_kernel
	.section	.text._ZN7rocprim17ROCPRIM_400000_NS6detail17trampoline_kernelINS0_14default_configENS1_25partition_config_selectorILNS1_17partition_subalgoE5ElNS0_10empty_typeEbEEZZNS1_14partition_implILS5_5ELb0ES3_mN6hipcub16HIPCUB_304000_NS21CountingInputIteratorIllEEPS6_NSA_22TransformInputIteratorIb7NonZeroIiEPilEENS0_5tupleIJPlS6_EEENSJ_IJSD_SD_EEES6_SK_JS6_EEE10hipError_tPvRmT3_T4_T5_T6_T7_T9_mT8_P12ihipStream_tbDpT10_ENKUlT_T0_E_clISt17integral_constantIbLb0EES16_EEDaS11_S12_EUlS11_E_NS1_11comp_targetILNS1_3genE10ELNS1_11target_archE1200ELNS1_3gpuE4ELNS1_3repE0EEENS1_30default_config_static_selectorELNS0_4arch9wavefront6targetE0EEEvT1_,"axG",@progbits,_ZN7rocprim17ROCPRIM_400000_NS6detail17trampoline_kernelINS0_14default_configENS1_25partition_config_selectorILNS1_17partition_subalgoE5ElNS0_10empty_typeEbEEZZNS1_14partition_implILS5_5ELb0ES3_mN6hipcub16HIPCUB_304000_NS21CountingInputIteratorIllEEPS6_NSA_22TransformInputIteratorIb7NonZeroIiEPilEENS0_5tupleIJPlS6_EEENSJ_IJSD_SD_EEES6_SK_JS6_EEE10hipError_tPvRmT3_T4_T5_T6_T7_T9_mT8_P12ihipStream_tbDpT10_ENKUlT_T0_E_clISt17integral_constantIbLb0EES16_EEDaS11_S12_EUlS11_E_NS1_11comp_targetILNS1_3genE10ELNS1_11target_archE1200ELNS1_3gpuE4ELNS1_3repE0EEENS1_30default_config_static_selectorELNS0_4arch9wavefront6targetE0EEEvT1_,comdat
.Lfunc_end190:
	.size	_ZN7rocprim17ROCPRIM_400000_NS6detail17trampoline_kernelINS0_14default_configENS1_25partition_config_selectorILNS1_17partition_subalgoE5ElNS0_10empty_typeEbEEZZNS1_14partition_implILS5_5ELb0ES3_mN6hipcub16HIPCUB_304000_NS21CountingInputIteratorIllEEPS6_NSA_22TransformInputIteratorIb7NonZeroIiEPilEENS0_5tupleIJPlS6_EEENSJ_IJSD_SD_EEES6_SK_JS6_EEE10hipError_tPvRmT3_T4_T5_T6_T7_T9_mT8_P12ihipStream_tbDpT10_ENKUlT_T0_E_clISt17integral_constantIbLb0EES16_EEDaS11_S12_EUlS11_E_NS1_11comp_targetILNS1_3genE10ELNS1_11target_archE1200ELNS1_3gpuE4ELNS1_3repE0EEENS1_30default_config_static_selectorELNS0_4arch9wavefront6targetE0EEEvT1_, .Lfunc_end190-_ZN7rocprim17ROCPRIM_400000_NS6detail17trampoline_kernelINS0_14default_configENS1_25partition_config_selectorILNS1_17partition_subalgoE5ElNS0_10empty_typeEbEEZZNS1_14partition_implILS5_5ELb0ES3_mN6hipcub16HIPCUB_304000_NS21CountingInputIteratorIllEEPS6_NSA_22TransformInputIteratorIb7NonZeroIiEPilEENS0_5tupleIJPlS6_EEENSJ_IJSD_SD_EEES6_SK_JS6_EEE10hipError_tPvRmT3_T4_T5_T6_T7_T9_mT8_P12ihipStream_tbDpT10_ENKUlT_T0_E_clISt17integral_constantIbLb0EES16_EEDaS11_S12_EUlS11_E_NS1_11comp_targetILNS1_3genE10ELNS1_11target_archE1200ELNS1_3gpuE4ELNS1_3repE0EEENS1_30default_config_static_selectorELNS0_4arch9wavefront6targetE0EEEvT1_
                                        ; -- End function
	.section	.AMDGPU.csdata,"",@progbits
; Kernel info:
; codeLenInByte = 0
; NumSgprs: 0
; NumVgprs: 0
; ScratchSize: 0
; MemoryBound: 0
; FloatMode: 240
; IeeeMode: 1
; LDSByteSize: 0 bytes/workgroup (compile time only)
; SGPRBlocks: 0
; VGPRBlocks: 0
; NumSGPRsForWavesPerEU: 1
; NumVGPRsForWavesPerEU: 1
; Occupancy: 16
; WaveLimiterHint : 0
; COMPUTE_PGM_RSRC2:SCRATCH_EN: 0
; COMPUTE_PGM_RSRC2:USER_SGPR: 15
; COMPUTE_PGM_RSRC2:TRAP_HANDLER: 0
; COMPUTE_PGM_RSRC2:TGID_X_EN: 1
; COMPUTE_PGM_RSRC2:TGID_Y_EN: 0
; COMPUTE_PGM_RSRC2:TGID_Z_EN: 0
; COMPUTE_PGM_RSRC2:TIDIG_COMP_CNT: 0
	.section	.text._ZN7rocprim17ROCPRIM_400000_NS6detail17trampoline_kernelINS0_14default_configENS1_25partition_config_selectorILNS1_17partition_subalgoE5ElNS0_10empty_typeEbEEZZNS1_14partition_implILS5_5ELb0ES3_mN6hipcub16HIPCUB_304000_NS21CountingInputIteratorIllEEPS6_NSA_22TransformInputIteratorIb7NonZeroIiEPilEENS0_5tupleIJPlS6_EEENSJ_IJSD_SD_EEES6_SK_JS6_EEE10hipError_tPvRmT3_T4_T5_T6_T7_T9_mT8_P12ihipStream_tbDpT10_ENKUlT_T0_E_clISt17integral_constantIbLb0EES16_EEDaS11_S12_EUlS11_E_NS1_11comp_targetILNS1_3genE9ELNS1_11target_archE1100ELNS1_3gpuE3ELNS1_3repE0EEENS1_30default_config_static_selectorELNS0_4arch9wavefront6targetE0EEEvT1_,"axG",@progbits,_ZN7rocprim17ROCPRIM_400000_NS6detail17trampoline_kernelINS0_14default_configENS1_25partition_config_selectorILNS1_17partition_subalgoE5ElNS0_10empty_typeEbEEZZNS1_14partition_implILS5_5ELb0ES3_mN6hipcub16HIPCUB_304000_NS21CountingInputIteratorIllEEPS6_NSA_22TransformInputIteratorIb7NonZeroIiEPilEENS0_5tupleIJPlS6_EEENSJ_IJSD_SD_EEES6_SK_JS6_EEE10hipError_tPvRmT3_T4_T5_T6_T7_T9_mT8_P12ihipStream_tbDpT10_ENKUlT_T0_E_clISt17integral_constantIbLb0EES16_EEDaS11_S12_EUlS11_E_NS1_11comp_targetILNS1_3genE9ELNS1_11target_archE1100ELNS1_3gpuE3ELNS1_3repE0EEENS1_30default_config_static_selectorELNS0_4arch9wavefront6targetE0EEEvT1_,comdat
	.protected	_ZN7rocprim17ROCPRIM_400000_NS6detail17trampoline_kernelINS0_14default_configENS1_25partition_config_selectorILNS1_17partition_subalgoE5ElNS0_10empty_typeEbEEZZNS1_14partition_implILS5_5ELb0ES3_mN6hipcub16HIPCUB_304000_NS21CountingInputIteratorIllEEPS6_NSA_22TransformInputIteratorIb7NonZeroIiEPilEENS0_5tupleIJPlS6_EEENSJ_IJSD_SD_EEES6_SK_JS6_EEE10hipError_tPvRmT3_T4_T5_T6_T7_T9_mT8_P12ihipStream_tbDpT10_ENKUlT_T0_E_clISt17integral_constantIbLb0EES16_EEDaS11_S12_EUlS11_E_NS1_11comp_targetILNS1_3genE9ELNS1_11target_archE1100ELNS1_3gpuE3ELNS1_3repE0EEENS1_30default_config_static_selectorELNS0_4arch9wavefront6targetE0EEEvT1_ ; -- Begin function _ZN7rocprim17ROCPRIM_400000_NS6detail17trampoline_kernelINS0_14default_configENS1_25partition_config_selectorILNS1_17partition_subalgoE5ElNS0_10empty_typeEbEEZZNS1_14partition_implILS5_5ELb0ES3_mN6hipcub16HIPCUB_304000_NS21CountingInputIteratorIllEEPS6_NSA_22TransformInputIteratorIb7NonZeroIiEPilEENS0_5tupleIJPlS6_EEENSJ_IJSD_SD_EEES6_SK_JS6_EEE10hipError_tPvRmT3_T4_T5_T6_T7_T9_mT8_P12ihipStream_tbDpT10_ENKUlT_T0_E_clISt17integral_constantIbLb0EES16_EEDaS11_S12_EUlS11_E_NS1_11comp_targetILNS1_3genE9ELNS1_11target_archE1100ELNS1_3gpuE3ELNS1_3repE0EEENS1_30default_config_static_selectorELNS0_4arch9wavefront6targetE0EEEvT1_
	.globl	_ZN7rocprim17ROCPRIM_400000_NS6detail17trampoline_kernelINS0_14default_configENS1_25partition_config_selectorILNS1_17partition_subalgoE5ElNS0_10empty_typeEbEEZZNS1_14partition_implILS5_5ELb0ES3_mN6hipcub16HIPCUB_304000_NS21CountingInputIteratorIllEEPS6_NSA_22TransformInputIteratorIb7NonZeroIiEPilEENS0_5tupleIJPlS6_EEENSJ_IJSD_SD_EEES6_SK_JS6_EEE10hipError_tPvRmT3_T4_T5_T6_T7_T9_mT8_P12ihipStream_tbDpT10_ENKUlT_T0_E_clISt17integral_constantIbLb0EES16_EEDaS11_S12_EUlS11_E_NS1_11comp_targetILNS1_3genE9ELNS1_11target_archE1100ELNS1_3gpuE3ELNS1_3repE0EEENS1_30default_config_static_selectorELNS0_4arch9wavefront6targetE0EEEvT1_
	.p2align	8
	.type	_ZN7rocprim17ROCPRIM_400000_NS6detail17trampoline_kernelINS0_14default_configENS1_25partition_config_selectorILNS1_17partition_subalgoE5ElNS0_10empty_typeEbEEZZNS1_14partition_implILS5_5ELb0ES3_mN6hipcub16HIPCUB_304000_NS21CountingInputIteratorIllEEPS6_NSA_22TransformInputIteratorIb7NonZeroIiEPilEENS0_5tupleIJPlS6_EEENSJ_IJSD_SD_EEES6_SK_JS6_EEE10hipError_tPvRmT3_T4_T5_T6_T7_T9_mT8_P12ihipStream_tbDpT10_ENKUlT_T0_E_clISt17integral_constantIbLb0EES16_EEDaS11_S12_EUlS11_E_NS1_11comp_targetILNS1_3genE9ELNS1_11target_archE1100ELNS1_3gpuE3ELNS1_3repE0EEENS1_30default_config_static_selectorELNS0_4arch9wavefront6targetE0EEEvT1_,@function
_ZN7rocprim17ROCPRIM_400000_NS6detail17trampoline_kernelINS0_14default_configENS1_25partition_config_selectorILNS1_17partition_subalgoE5ElNS0_10empty_typeEbEEZZNS1_14partition_implILS5_5ELb0ES3_mN6hipcub16HIPCUB_304000_NS21CountingInputIteratorIllEEPS6_NSA_22TransformInputIteratorIb7NonZeroIiEPilEENS0_5tupleIJPlS6_EEENSJ_IJSD_SD_EEES6_SK_JS6_EEE10hipError_tPvRmT3_T4_T5_T6_T7_T9_mT8_P12ihipStream_tbDpT10_ENKUlT_T0_E_clISt17integral_constantIbLb0EES16_EEDaS11_S12_EUlS11_E_NS1_11comp_targetILNS1_3genE9ELNS1_11target_archE1100ELNS1_3gpuE3ELNS1_3repE0EEENS1_30default_config_static_selectorELNS0_4arch9wavefront6targetE0EEEvT1_: ; @_ZN7rocprim17ROCPRIM_400000_NS6detail17trampoline_kernelINS0_14default_configENS1_25partition_config_selectorILNS1_17partition_subalgoE5ElNS0_10empty_typeEbEEZZNS1_14partition_implILS5_5ELb0ES3_mN6hipcub16HIPCUB_304000_NS21CountingInputIteratorIllEEPS6_NSA_22TransformInputIteratorIb7NonZeroIiEPilEENS0_5tupleIJPlS6_EEENSJ_IJSD_SD_EEES6_SK_JS6_EEE10hipError_tPvRmT3_T4_T5_T6_T7_T9_mT8_P12ihipStream_tbDpT10_ENKUlT_T0_E_clISt17integral_constantIbLb0EES16_EEDaS11_S12_EUlS11_E_NS1_11comp_targetILNS1_3genE9ELNS1_11target_archE1100ELNS1_3gpuE3ELNS1_3repE0EEENS1_30default_config_static_selectorELNS0_4arch9wavefront6targetE0EEEvT1_
; %bb.0:
	s_clause 0x4
	s_load_b128 s[8:11], s[0:1], 0x8
	s_load_b128 s[4:7], s[0:1], 0x48
	s_load_b32 s14, s[0:1], 0x70
	s_load_b64 s[2:3], s[0:1], 0x58
	s_load_b64 s[12:13], s[0:1], 0x20
	s_waitcnt lgkmcnt(0)
	s_add_u32 s18, s10, s8
	s_load_b64 s[6:7], s[6:7], 0x0
	s_mul_i32 s17, s14, 0x300
	s_addc_u32 s19, s11, s9
	s_add_i32 s14, s14, -1
	s_add_u32 s8, s10, s17
	s_addc_u32 s9, s11, 0
	s_cmp_eq_u32 s15, s14
	v_cmp_ge_u64_e64 s3, s[8:9], s[2:3]
	s_cselect_b32 s14, -1, 0
	s_mul_i32 s8, s15, 0x300
	s_mov_b32 s9, 0
	s_delay_alu instid0(VALU_DEP_1) | instskip(NEXT) | instid1(SALU_CYCLE_1)
	s_and_b32 s3, s14, s3
	s_xor_b32 s16, s3, -1
	s_mov_b32 s3, -1
	s_and_b32 vcc_lo, exec_lo, s16
	s_cbranch_vccz .LBB191_2
; %bb.1:
	s_add_u32 s3, s18, s8
	s_addc_u32 s20, s19, 0
	v_add_co_u32 v1, s3, s3, v0
	s_delay_alu instid0(VALU_DEP_1) | instskip(SKIP_1) | instid1(VALU_DEP_3)
	v_add_co_ci_u32_e64 v2, null, s20, 0, s3
	v_lshlrev_b32_e32 v13, 3, v0
	v_add_co_u32 v3, vcc_lo, 0x80, v1
	s_delay_alu instid0(VALU_DEP_3)
	v_add_co_ci_u32_e32 v4, vcc_lo, 0, v2, vcc_lo
	v_add_co_u32 v5, vcc_lo, 0x100, v1
	v_add_co_ci_u32_e32 v6, vcc_lo, 0, v2, vcc_lo
	v_add_co_u32 v7, vcc_lo, 0x180, v1
	;; [unrolled: 2-line block ×4, first 2 shown]
	v_add_co_ci_u32_e32 v12, vcc_lo, 0, v2, vcc_lo
	ds_store_2addr_stride64_b64 v13, v[1:2], v[3:4] offset1:2
	ds_store_2addr_stride64_b64 v13, v[5:6], v[7:8] offset0:4 offset1:6
	ds_store_2addr_stride64_b64 v13, v[9:10], v[11:12] offset0:8 offset1:10
	s_waitcnt lgkmcnt(0)
	s_mov_b32 s3, s9
	s_barrier
.LBB191_2:
	v_or_b32_e32 v17, 0x100, v0
	v_or_b32_e32 v16, 0x180, v0
	;; [unrolled: 1-line block ×4, first 2 shown]
	s_and_not1_b32 vcc_lo, exec_lo, s3
	s_cbranch_vccnz .LBB191_4
; %bb.3:
	v_or_b32_e32 v3, 0x80, v0
	s_add_u32 s3, s18, s8
	s_addc_u32 s18, s19, 0
	v_add_co_u32 v1, s19, s3, v0
	s_delay_alu instid0(VALU_DEP_1) | instskip(SKIP_1) | instid1(VALU_DEP_1)
	v_add_co_ci_u32_e64 v2, null, s18, 0, s19
	v_add_co_u32 v3, s19, s3, v3
	v_add_co_ci_u32_e64 v4, null, s18, 0, s19
	v_add_co_u32 v5, s19, s3, v17
	s_delay_alu instid0(VALU_DEP_1) | instskip(SKIP_1) | instid1(VALU_DEP_1)
	v_add_co_ci_u32_e64 v6, null, s18, 0, s19
	v_add_co_u32 v7, s19, s3, v16
	v_add_co_ci_u32_e64 v8, null, s18, 0, s19
	v_add_co_u32 v9, s19, s3, v14
	v_lshlrev_b32_e32 v15, 3, v0
	v_add_co_u32 v11, s3, s3, v13
	v_add_co_ci_u32_e64 v10, null, s18, 0, s19
	v_add_co_ci_u32_e64 v12, null, s18, 0, s3
	ds_store_2addr_stride64_b64 v15, v[1:2], v[3:4] offset1:2
	ds_store_2addr_stride64_b64 v15, v[5:6], v[7:8] offset0:4 offset1:6
	ds_store_2addr_stride64_b64 v15, v[9:10], v[11:12] offset0:8 offset1:10
	s_waitcnt lgkmcnt(0)
	s_barrier
.LBB191_4:
	v_mul_u32_u24_e32 v1, 6, v0
	s_waitcnt lgkmcnt(0)
	buffer_gl0_inv
	s_lshl_b64 s[18:19], s[10:11], 2
	v_lshlrev_b32_e32 v18, 2, v0
	s_add_u32 s3, s12, s18
	v_lshlrev_b32_e32 v15, 3, v1
	s_addc_u32 s11, s13, s19
	s_lshl_b64 s[8:9], s[8:9], 2
	ds_load_b128 v[9:12], v15
	ds_load_b128 v[5:8], v15 offset:16
	ds_load_b128 v[1:4], v15 offset:32
	s_add_u32 s12, s3, s8
	s_addc_u32 s13, s11, s9
	s_and_b32 vcc_lo, exec_lo, s16
	s_mov_b32 s3, -1
	s_waitcnt lgkmcnt(0)
	s_barrier
	buffer_gl0_inv
	s_cbranch_vccz .LBB191_6
; %bb.5:
	s_clause 0x5
	global_load_b32 v19, v18, s[12:13]
	global_load_b32 v20, v18, s[12:13] offset:512
	global_load_b32 v21, v18, s[12:13] offset:1024
	;; [unrolled: 1-line block ×5, first 2 shown]
	s_mov_b32 s3, 0
	s_waitcnt vmcnt(5)
	v_cmp_ne_u32_e32 vcc_lo, 0, v19
	v_cndmask_b32_e64 v19, 0, 1, vcc_lo
	s_waitcnt vmcnt(4)
	v_cmp_ne_u32_e32 vcc_lo, 0, v20
	v_cndmask_b32_e64 v20, 0, 1, vcc_lo
	;; [unrolled: 3-line block ×6, first 2 shown]
	ds_store_b8 v0, v19
	ds_store_b8 v0, v20 offset:128
	ds_store_b8 v0, v21 offset:256
	;; [unrolled: 1-line block ×5, first 2 shown]
	s_waitcnt lgkmcnt(0)
	s_barrier
.LBB191_6:
	s_load_b64 s[8:9], s[0:1], 0x68
	s_and_not1_b32 vcc_lo, exec_lo, s3
	s_cbranch_vccnz .LBB191_20
; %bb.7:
	s_add_i32 s17, s17, s10
	v_dual_mov_b32 v19, 0 :: v_dual_mov_b32 v20, 0
	s_sub_i32 s2, s2, s17
	s_mov_b32 s3, exec_lo
	s_addk_i32 s2, 0x300
	s_delay_alu instid0(SALU_CYCLE_1)
	v_cmpx_gt_u32_e64 s2, v0
	s_cbranch_execz .LBB191_9
; %bb.8:
	global_load_b32 v20, v18, s[12:13]
	s_waitcnt vmcnt(0)
	v_cmp_ne_u32_e32 vcc_lo, 0, v20
	v_cndmask_b32_e64 v20, 0, 1, vcc_lo
.LBB191_9:
	s_or_b32 exec_lo, exec_lo, s3
	v_or_b32_e32 v21, 0x80, v0
	s_mov_b32 s3, exec_lo
	s_delay_alu instid0(VALU_DEP_1)
	v_cmpx_gt_u32_e64 s2, v21
	s_cbranch_execz .LBB191_11
; %bb.10:
	global_load_b32 v19, v18, s[12:13] offset:512
	s_waitcnt vmcnt(0)
	v_cmp_ne_u32_e32 vcc_lo, 0, v19
	v_cndmask_b32_e64 v19, 0, 1, vcc_lo
.LBB191_11:
	s_or_b32 exec_lo, exec_lo, s3
	v_cmp_gt_u32_e32 vcc_lo, s2, v17
	v_mov_b32_e32 v17, 0
	v_mov_b32_e32 v21, 0
	s_and_saveexec_b32 s3, vcc_lo
	s_cbranch_execz .LBB191_13
; %bb.12:
	global_load_b32 v21, v18, s[12:13] offset:1024
	s_waitcnt vmcnt(0)
	v_cmp_ne_u32_e32 vcc_lo, 0, v21
	v_cndmask_b32_e64 v21, 0, 1, vcc_lo
.LBB191_13:
	s_or_b32 exec_lo, exec_lo, s3
	s_delay_alu instid0(SALU_CYCLE_1)
	s_mov_b32 s3, exec_lo
	v_cmpx_gt_u32_e64 s2, v16
	s_cbranch_execz .LBB191_15
; %bb.14:
	global_load_b32 v16, v18, s[12:13] offset:1536
	s_waitcnt vmcnt(0)
	v_cmp_ne_u32_e32 vcc_lo, 0, v16
	v_cndmask_b32_e64 v17, 0, 1, vcc_lo
.LBB191_15:
	s_or_b32 exec_lo, exec_lo, s3
	v_cmp_gt_u32_e32 vcc_lo, s2, v14
	v_mov_b32_e32 v14, 0
	v_mov_b32_e32 v16, 0
	s_and_saveexec_b32 s3, vcc_lo
	s_cbranch_execz .LBB191_17
; %bb.16:
	global_load_b32 v16, v18, s[12:13] offset:2048
	s_waitcnt vmcnt(0)
	v_cmp_ne_u32_e32 vcc_lo, 0, v16
	v_cndmask_b32_e64 v16, 0, 1, vcc_lo
.LBB191_17:
	s_or_b32 exec_lo, exec_lo, s3
	v_cmp_gt_u32_e32 vcc_lo, s2, v13
	s_and_saveexec_b32 s2, vcc_lo
	s_cbranch_execz .LBB191_19
; %bb.18:
	global_load_b32 v13, v18, s[12:13] offset:2560
	s_waitcnt vmcnt(0)
	v_cmp_ne_u32_e32 vcc_lo, 0, v13
	v_cndmask_b32_e64 v14, 0, 1, vcc_lo
.LBB191_19:
	s_or_b32 exec_lo, exec_lo, s2
	ds_store_b8 v0, v20
	ds_store_b8 v0, v19 offset:128
	ds_store_b8 v0, v21 offset:256
	;; [unrolled: 1-line block ×5, first 2 shown]
	s_waitcnt lgkmcnt(0)
	s_barrier
.LBB191_20:
	v_mad_i32_i24 v43, 0xffffffd6, v0, v15
	s_waitcnt lgkmcnt(0)
	buffer_gl0_inv
	v_mbcnt_lo_u32_b32 v42, -1, 0
	s_cmp_lg_u32 s15, 0
	s_mov_b32 s3, -1
	ds_load_u16 v36, v43
	ds_load_u16 v33, v43 offset:2
	ds_load_u16 v31, v43 offset:4
	v_mov_b32_e32 v14, 0
	v_and_b32_e32 v44, 15, v42
	s_waitcnt lgkmcnt(0)
	s_barrier
	buffer_gl0_inv
	v_and_b32_e32 v41, 0xff, v36
	v_lshrrev_b16 v34, 8, v36
	v_lshrrev_b16 v35, 8, v33
	v_and_b32_e32 v39, 0xff, v33
	v_lshrrev_b16 v32, 8, v31
	v_and_b32_e32 v37, 0xff, v31
	v_and_b32_e32 v40, 0xffff, v34
	;; [unrolled: 1-line block ×3, first 2 shown]
	s_delay_alu instid0(VALU_DEP_4) | instskip(NEXT) | instid1(VALU_DEP_3)
	v_and_b32_e32 v16, 0xffff, v32
	v_add_co_u32 v13, s2, v40, v41
	s_delay_alu instid0(VALU_DEP_1) | instskip(SKIP_1) | instid1(VALU_DEP_3)
	v_add_co_ci_u32_e64 v15, null, 0, 0, s2
	v_cmp_ne_u32_e64 s2, 0, v44
	v_add_co_u32 v13, vcc_lo, v13, v39
	s_delay_alu instid0(VALU_DEP_3) | instskip(NEXT) | instid1(VALU_DEP_2)
	v_add_co_ci_u32_e32 v15, vcc_lo, 0, v15, vcc_lo
	v_add_co_u32 v13, vcc_lo, v13, v38
	s_delay_alu instid0(VALU_DEP_2) | instskip(NEXT) | instid1(VALU_DEP_2)
	v_add_co_ci_u32_e32 v15, vcc_lo, 0, v15, vcc_lo
	v_add_co_u32 v13, vcc_lo, v13, v37
	s_delay_alu instid0(VALU_DEP_2) | instskip(NEXT) | instid1(VALU_DEP_2)
	v_add_co_ci_u32_e32 v15, vcc_lo, 0, v15, vcc_lo
	v_add_co_u32 v21, vcc_lo, v13, v16
	s_delay_alu instid0(VALU_DEP_2)
	v_add_co_ci_u32_e32 v22, vcc_lo, 0, v15, vcc_lo
	s_cbranch_scc0 .LBB191_84
; %bb.21:
	s_delay_alu instid0(VALU_DEP_2)
	v_mov_b32_e32 v15, v21
	v_mov_b32_dpp v13, v21 row_shr:1 row_mask:0xf bank_mask:0xf
	v_mov_b32_dpp v18, v14 row_shr:1 row_mask:0xf bank_mask:0xf
	v_dual_mov_b32 v17, v21 :: v_dual_mov_b32 v16, v22
	s_and_saveexec_b32 s3, s2
; %bb.22:
	s_delay_alu instid0(VALU_DEP_3) | instskip(SKIP_1) | instid1(VALU_DEP_2)
	v_add_co_u32 v17, vcc_lo, v21, v13
	v_add_co_ci_u32_e32 v14, vcc_lo, 0, v22, vcc_lo
	v_add_co_u32 v13, vcc_lo, 0, v17
	s_delay_alu instid0(VALU_DEP_2) | instskip(NEXT) | instid1(VALU_DEP_1)
	v_add_co_ci_u32_e32 v14, vcc_lo, v18, v14, vcc_lo
	v_dual_mov_b32 v16, v14 :: v_dual_mov_b32 v15, v13
; %bb.23:
	s_or_b32 exec_lo, exec_lo, s3
	v_mov_b32_dpp v13, v17 row_shr:2 row_mask:0xf bank_mask:0xf
	v_mov_b32_dpp v18, v14 row_shr:2 row_mask:0xf bank_mask:0xf
	s_mov_b32 s3, exec_lo
	v_cmpx_lt_u32_e32 1, v44
; %bb.24:
	s_delay_alu instid0(VALU_DEP_3) | instskip(SKIP_1) | instid1(VALU_DEP_2)
	v_add_co_u32 v17, vcc_lo, v15, v13
	v_add_co_ci_u32_e32 v14, vcc_lo, 0, v16, vcc_lo
	v_add_co_u32 v13, vcc_lo, 0, v17
	s_delay_alu instid0(VALU_DEP_2) | instskip(NEXT) | instid1(VALU_DEP_1)
	v_add_co_ci_u32_e32 v14, vcc_lo, v18, v14, vcc_lo
	v_dual_mov_b32 v16, v14 :: v_dual_mov_b32 v15, v13
; %bb.25:
	s_or_b32 exec_lo, exec_lo, s3
	v_mov_b32_dpp v13, v17 row_shr:4 row_mask:0xf bank_mask:0xf
	v_mov_b32_dpp v18, v14 row_shr:4 row_mask:0xf bank_mask:0xf
	s_mov_b32 s3, exec_lo
	v_cmpx_lt_u32_e32 3, v44
	;; [unrolled: 14-line block ×3, first 2 shown]
; %bb.28:
	s_delay_alu instid0(VALU_DEP_3) | instskip(SKIP_1) | instid1(VALU_DEP_2)
	v_add_co_u32 v17, vcc_lo, v15, v18
	v_add_co_ci_u32_e32 v14, vcc_lo, 0, v16, vcc_lo
	v_add_co_u32 v15, vcc_lo, 0, v17
	s_delay_alu instid0(VALU_DEP_2) | instskip(NEXT) | instid1(VALU_DEP_1)
	v_add_co_ci_u32_e32 v16, vcc_lo, v13, v14, vcc_lo
	v_mov_b32_e32 v14, v16
; %bb.29:
	s_or_b32 exec_lo, exec_lo, s3
	ds_swizzle_b32 v13, v17 offset:swizzle(BROADCAST,32,15)
	ds_swizzle_b32 v18, v14 offset:swizzle(BROADCAST,32,15)
	v_and_b32_e32 v19, 16, v42
	s_mov_b32 s3, exec_lo
	s_delay_alu instid0(VALU_DEP_1)
	v_cmpx_ne_u32_e32 0, v19
	s_cbranch_execz .LBB191_31
; %bb.30:
	s_waitcnt lgkmcnt(1)
	v_add_co_u32 v17, vcc_lo, v15, v13
	v_add_co_ci_u32_e32 v14, vcc_lo, 0, v16, vcc_lo
	s_delay_alu instid0(VALU_DEP_2) | instskip(SKIP_1) | instid1(VALU_DEP_2)
	v_add_co_u32 v13, vcc_lo, 0, v17
	s_waitcnt lgkmcnt(0)
	v_add_co_ci_u32_e32 v14, vcc_lo, v18, v14, vcc_lo
	s_delay_alu instid0(VALU_DEP_1)
	v_dual_mov_b32 v16, v14 :: v_dual_mov_b32 v15, v13
.LBB191_31:
	s_or_b32 exec_lo, exec_lo, s3
	s_waitcnt lgkmcnt(0)
	v_or_b32_e32 v18, 31, v0
	v_lshrrev_b32_e32 v13, 5, v0
	s_mov_b32 s3, exec_lo
	s_delay_alu instid0(VALU_DEP_2)
	v_cmpx_eq_u32_e64 v18, v0
	s_cbranch_execz .LBB191_33
; %bb.32:
	s_delay_alu instid0(VALU_DEP_2)
	v_lshlrev_b32_e32 v18, 3, v13
	ds_store_b64 v18, v[15:16]
.LBB191_33:
	s_or_b32 exec_lo, exec_lo, s3
	s_delay_alu instid0(SALU_CYCLE_1)
	s_mov_b32 s3, exec_lo
	s_waitcnt lgkmcnt(0)
	s_barrier
	buffer_gl0_inv
	v_cmpx_gt_u32_e32 4, v0
	s_cbranch_execz .LBB191_39
; %bb.34:
	v_lshlrev_b32_e32 v18, 3, v0
	s_mov_b32 s10, exec_lo
	ds_load_b64 v[15:16], v18
	s_waitcnt lgkmcnt(0)
	v_dual_mov_b32 v20, v15 :: v_dual_and_b32 v19, 3, v42
	v_mov_b32_dpp v24, v15 row_shr:1 row_mask:0xf bank_mask:0xf
	v_mov_b32_dpp v23, v16 row_shr:1 row_mask:0xf bank_mask:0xf
	s_delay_alu instid0(VALU_DEP_3)
	v_cmpx_ne_u32_e32 0, v19
; %bb.35:
	s_delay_alu instid0(VALU_DEP_3) | instskip(SKIP_1) | instid1(VALU_DEP_2)
	v_add_co_u32 v20, vcc_lo, v15, v24
	v_add_co_ci_u32_e32 v16, vcc_lo, 0, v16, vcc_lo
	v_add_co_u32 v15, vcc_lo, 0, v20
	s_delay_alu instid0(VALU_DEP_2)
	v_add_co_ci_u32_e32 v16, vcc_lo, v23, v16, vcc_lo
; %bb.36:
	s_or_b32 exec_lo, exec_lo, s10
	v_mov_b32_dpp v23, v20 row_shr:2 row_mask:0xf bank_mask:0xf
	s_delay_alu instid0(VALU_DEP_2)
	v_mov_b32_dpp v20, v16 row_shr:2 row_mask:0xf bank_mask:0xf
	s_mov_b32 s10, exec_lo
	v_cmpx_lt_u32_e32 1, v19
; %bb.37:
	s_delay_alu instid0(VALU_DEP_3) | instskip(SKIP_1) | instid1(VALU_DEP_2)
	v_add_co_u32 v15, vcc_lo, v15, v23
	v_add_co_ci_u32_e32 v16, vcc_lo, 0, v16, vcc_lo
	v_add_co_u32 v15, vcc_lo, v15, 0
	s_delay_alu instid0(VALU_DEP_2)
	v_add_co_ci_u32_e32 v16, vcc_lo, v16, v20, vcc_lo
; %bb.38:
	s_or_b32 exec_lo, exec_lo, s10
	ds_store_b64 v18, v[15:16]
.LBB191_39:
	s_or_b32 exec_lo, exec_lo, s3
	v_cmp_gt_u32_e32 vcc_lo, 32, v0
	s_mov_b32 s10, exec_lo
	s_waitcnt lgkmcnt(0)
	s_barrier
	buffer_gl0_inv
                                        ; implicit-def: $vgpr23_vgpr24
	v_cmpx_lt_u32_e32 31, v0
	s_cbranch_execz .LBB191_41
; %bb.40:
	v_lshl_add_u32 v13, v13, 3, -8
	ds_load_b64 v[23:24], v13
	s_waitcnt lgkmcnt(0)
	v_add_co_u32 v17, s3, v17, v23
	s_delay_alu instid0(VALU_DEP_1)
	v_add_co_ci_u32_e64 v14, s3, v14, v24, s3
.LBB191_41:
	s_or_b32 exec_lo, exec_lo, s10
	v_add_nc_u32_e32 v13, -1, v42
	s_delay_alu instid0(VALU_DEP_1) | instskip(NEXT) | instid1(VALU_DEP_1)
	v_cmp_gt_i32_e64 s3, 0, v13
	v_cndmask_b32_e64 v13, v13, v42, s3
	v_cmp_eq_u32_e64 s3, 0, v42
	s_delay_alu instid0(VALU_DEP_2)
	v_lshlrev_b32_e32 v13, 2, v13
	ds_bpermute_b32 v29, v13, v17
	ds_bpermute_b32 v30, v13, v14
	s_and_saveexec_b32 s10, vcc_lo
	s_cbranch_execz .LBB191_79
; %bb.42:
	v_mov_b32_e32 v16, 0
	ds_load_b64 v[13:14], v16 offset:24
	s_and_saveexec_b32 s11, s3
	s_cbranch_execz .LBB191_44
; %bb.43:
	s_add_i32 s12, s15, 32
	s_mov_b32 s13, 0
	s_delay_alu instid0(SALU_CYCLE_1) | instskip(NEXT) | instid1(SALU_CYCLE_1)
	s_lshl_b64 s[12:13], s[12:13], 4
	s_add_u32 s12, s8, s12
	s_addc_u32 s13, s9, s13
	s_delay_alu instid0(SALU_CYCLE_1)
	v_dual_mov_b32 v15, 1 :: v_dual_mov_b32 v18, s13
	v_mov_b32_e32 v17, s12
	s_waitcnt lgkmcnt(0)
	;;#ASMSTART
	global_store_dwordx4 v[17:18], v[13:16] off	
s_waitcnt vmcnt(0)
	;;#ASMEND
.LBB191_44:
	s_or_b32 exec_lo, exec_lo, s11
	v_xad_u32 v25, v42, -1, s15
	s_mov_b32 s12, 0
	s_mov_b32 s11, exec_lo
	s_delay_alu instid0(VALU_DEP_1) | instskip(NEXT) | instid1(VALU_DEP_1)
	v_add_nc_u32_e32 v15, 32, v25
	v_lshlrev_b64 v[15:16], 4, v[15:16]
	s_delay_alu instid0(VALU_DEP_1) | instskip(NEXT) | instid1(VALU_DEP_2)
	v_add_co_u32 v15, vcc_lo, s8, v15
	v_add_co_ci_u32_e32 v16, vcc_lo, s9, v16, vcc_lo
	;;#ASMSTART
	global_load_dwordx4 v[17:20], v[15:16] off glc	
s_waitcnt vmcnt(0)
	;;#ASMEND
	v_and_b32_e32 v20, 0xff, v18
	v_and_b32_e32 v26, 0xff00, v18
	;; [unrolled: 1-line block ×3, first 2 shown]
	v_or3_b32 v17, v17, 0, 0
	v_and_b32_e32 v18, 0xff000000, v18
	s_delay_alu instid0(VALU_DEP_4) | instskip(SKIP_1) | instid1(VALU_DEP_4)
	v_or3_b32 v20, 0, v20, v26
	v_and_b32_e32 v26, 0xff, v19
	v_or3_b32 v17, v17, 0, 0
	s_delay_alu instid0(VALU_DEP_3) | instskip(NEXT) | instid1(VALU_DEP_3)
	v_or3_b32 v18, v20, v27, v18
	v_cmpx_eq_u16_e32 0, v26
	s_cbranch_execz .LBB191_47
.LBB191_45:                             ; =>This Inner Loop Header: Depth=1
	;;#ASMSTART
	global_load_dwordx4 v[17:20], v[15:16] off glc	
s_waitcnt vmcnt(0)
	;;#ASMEND
	v_and_b32_e32 v20, 0xff, v19
	s_delay_alu instid0(VALU_DEP_1) | instskip(SKIP_1) | instid1(SALU_CYCLE_1)
	v_cmp_ne_u16_e32 vcc_lo, 0, v20
	s_or_b32 s12, vcc_lo, s12
	s_and_not1_b32 exec_lo, exec_lo, s12
	s_cbranch_execnz .LBB191_45
; %bb.46:
	s_or_b32 exec_lo, exec_lo, s12
.LBB191_47:
	s_delay_alu instid0(SALU_CYCLE_1)
	s_or_b32 exec_lo, exec_lo, s11
	v_cmp_ne_u32_e32 vcc_lo, 31, v42
	v_and_b32_e32 v16, 0xff, v19
	v_lshlrev_b32_e64 v46, v42, -1
	s_mov_b32 s11, exec_lo
	v_add_co_ci_u32_e32 v15, vcc_lo, 0, v42, vcc_lo
	s_delay_alu instid0(VALU_DEP_3) | instskip(NEXT) | instid1(VALU_DEP_2)
	v_cmp_eq_u16_e32 vcc_lo, 2, v16
	v_dual_mov_b32 v16, v17 :: v_dual_lshlrev_b32 v45, 2, v15
	v_and_or_b32 v15, vcc_lo, v46, 0x80000000
	ds_bpermute_b32 v26, v45, v17
	ds_bpermute_b32 v20, v45, v18
	v_ctz_i32_b32_e32 v15, v15
	s_delay_alu instid0(VALU_DEP_1)
	v_cmpx_lt_u32_e64 v42, v15
	s_cbranch_execz .LBB191_49
; %bb.48:
	s_waitcnt lgkmcnt(1)
	v_add_co_u32 v16, vcc_lo, v17, v26
	v_add_co_ci_u32_e32 v18, vcc_lo, 0, v18, vcc_lo
	s_delay_alu instid0(VALU_DEP_2) | instskip(SKIP_1) | instid1(VALU_DEP_2)
	v_add_co_u32 v17, vcc_lo, 0, v16
	s_waitcnt lgkmcnt(0)
	v_add_co_ci_u32_e32 v18, vcc_lo, v20, v18, vcc_lo
.LBB191_49:
	s_or_b32 exec_lo, exec_lo, s11
	v_cmp_gt_u32_e32 vcc_lo, 30, v42
	v_add_nc_u32_e32 v48, 2, v42
	s_mov_b32 s11, exec_lo
	s_waitcnt lgkmcnt(0)
	v_cndmask_b32_e64 v20, 0, 1, vcc_lo
	s_delay_alu instid0(VALU_DEP_1) | instskip(NEXT) | instid1(VALU_DEP_1)
	v_lshlrev_b32_e32 v20, 1, v20
	v_add_lshl_u32 v47, v20, v42, 2
	ds_bpermute_b32 v26, v47, v16
	ds_bpermute_b32 v20, v47, v18
	v_cmpx_le_u32_e64 v48, v15
	s_cbranch_execz .LBB191_51
; %bb.50:
	s_waitcnt lgkmcnt(1)
	v_add_co_u32 v16, vcc_lo, v17, v26
	v_add_co_ci_u32_e32 v18, vcc_lo, 0, v18, vcc_lo
	s_delay_alu instid0(VALU_DEP_2) | instskip(SKIP_1) | instid1(VALU_DEP_2)
	v_add_co_u32 v17, vcc_lo, 0, v16
	s_waitcnt lgkmcnt(0)
	v_add_co_ci_u32_e32 v18, vcc_lo, v20, v18, vcc_lo
.LBB191_51:
	s_or_b32 exec_lo, exec_lo, s11
	v_cmp_gt_u32_e32 vcc_lo, 28, v42
	v_add_nc_u32_e32 v50, 4, v42
	s_mov_b32 s11, exec_lo
	s_waitcnt lgkmcnt(0)
	v_cndmask_b32_e64 v20, 0, 1, vcc_lo
	s_delay_alu instid0(VALU_DEP_1) | instskip(NEXT) | instid1(VALU_DEP_1)
	v_lshlrev_b32_e32 v20, 2, v20
	v_add_lshl_u32 v49, v20, v42, 2
	ds_bpermute_b32 v26, v49, v16
	ds_bpermute_b32 v20, v49, v18
	v_cmpx_le_u32_e64 v50, v15
	;; [unrolled: 22-line block ×4, first 2 shown]
	s_cbranch_execz .LBB191_57
; %bb.56:
	s_waitcnt lgkmcnt(1)
	v_add_co_u32 v15, vcc_lo, v17, v20
	v_add_co_ci_u32_e32 v18, vcc_lo, 0, v18, vcc_lo
	s_delay_alu instid0(VALU_DEP_2) | instskip(SKIP_1) | instid1(VALU_DEP_2)
	v_add_co_u32 v17, vcc_lo, v15, 0
	s_waitcnt lgkmcnt(0)
	v_add_co_ci_u32_e32 v18, vcc_lo, v18, v16, vcc_lo
.LBB191_57:
	s_or_b32 exec_lo, exec_lo, s11
	v_mov_b32_e32 v26, 0
	s_branch .LBB191_59
.LBB191_58:                             ;   in Loop: Header=BB191_59 Depth=1
	s_or_b32 exec_lo, exec_lo, s11
	v_add_co_u32 v17, vcc_lo, v17, v15
	v_subrev_nc_u32_e32 v25, 32, v25
	v_add_co_ci_u32_e32 v18, vcc_lo, v18, v16, vcc_lo
.LBB191_59:                             ; =>This Loop Header: Depth=1
                                        ;     Child Loop BB191_62 Depth 2
	v_and_b32_e32 v15, 0xff, v19
	s_delay_alu instid0(VALU_DEP_1) | instskip(SKIP_2) | instid1(VALU_DEP_1)
	v_cmp_ne_u16_e32 vcc_lo, 2, v15
	v_cndmask_b32_e64 v15, 0, 1, vcc_lo
	;;#ASMSTART
	;;#ASMEND
	v_cmp_ne_u32_e32 vcc_lo, 0, v15
	s_waitcnt lgkmcnt(0)
	v_dual_mov_b32 v15, v17 :: v_dual_mov_b32 v16, v18
	s_cmp_lg_u32 vcc_lo, exec_lo
	s_cbranch_scc1 .LBB191_74
; %bb.60:                               ;   in Loop: Header=BB191_59 Depth=1
	v_lshlrev_b64 v[17:18], 4, v[25:26]
	s_mov_b32 s11, exec_lo
	s_delay_alu instid0(VALU_DEP_1) | instskip(NEXT) | instid1(VALU_DEP_2)
	v_add_co_u32 v27, vcc_lo, s8, v17
	v_add_co_ci_u32_e32 v28, vcc_lo, s9, v18, vcc_lo
	;;#ASMSTART
	global_load_dwordx4 v[17:20], v[27:28] off glc	
s_waitcnt vmcnt(0)
	;;#ASMEND
	v_and_b32_e32 v20, 0xff, v18
	v_and_b32_e32 v55, 0xff00, v18
	;; [unrolled: 1-line block ×3, first 2 shown]
	v_or3_b32 v17, v17, 0, 0
	v_and_b32_e32 v18, 0xff000000, v18
	s_delay_alu instid0(VALU_DEP_4) | instskip(SKIP_1) | instid1(VALU_DEP_4)
	v_or3_b32 v20, 0, v20, v55
	v_and_b32_e32 v55, 0xff, v19
	v_or3_b32 v17, v17, 0, 0
	s_delay_alu instid0(VALU_DEP_3) | instskip(NEXT) | instid1(VALU_DEP_3)
	v_or3_b32 v18, v20, v56, v18
	v_cmpx_eq_u16_e32 0, v55
	s_cbranch_execz .LBB191_64
; %bb.61:                               ;   in Loop: Header=BB191_59 Depth=1
	s_mov_b32 s12, 0
.LBB191_62:                             ;   Parent Loop BB191_59 Depth=1
                                        ; =>  This Inner Loop Header: Depth=2
	;;#ASMSTART
	global_load_dwordx4 v[17:20], v[27:28] off glc	
s_waitcnt vmcnt(0)
	;;#ASMEND
	v_and_b32_e32 v20, 0xff, v19
	s_delay_alu instid0(VALU_DEP_1) | instskip(SKIP_1) | instid1(SALU_CYCLE_1)
	v_cmp_ne_u16_e32 vcc_lo, 0, v20
	s_or_b32 s12, vcc_lo, s12
	s_and_not1_b32 exec_lo, exec_lo, s12
	s_cbranch_execnz .LBB191_62
; %bb.63:                               ;   in Loop: Header=BB191_59 Depth=1
	s_or_b32 exec_lo, exec_lo, s12
.LBB191_64:                             ;   in Loop: Header=BB191_59 Depth=1
	s_delay_alu instid0(SALU_CYCLE_1)
	s_or_b32 exec_lo, exec_lo, s11
	v_dual_mov_b32 v27, v17 :: v_dual_and_b32 v20, 0xff, v19
	ds_bpermute_b32 v55, v45, v17
	ds_bpermute_b32 v28, v45, v18
	s_mov_b32 s11, exec_lo
	v_cmp_eq_u16_e32 vcc_lo, 2, v20
	v_and_or_b32 v20, vcc_lo, v46, 0x80000000
	s_delay_alu instid0(VALU_DEP_1) | instskip(NEXT) | instid1(VALU_DEP_1)
	v_ctz_i32_b32_e32 v20, v20
	v_cmpx_lt_u32_e64 v42, v20
	s_cbranch_execz .LBB191_66
; %bb.65:                               ;   in Loop: Header=BB191_59 Depth=1
	s_waitcnt lgkmcnt(1)
	v_add_co_u32 v27, vcc_lo, v17, v55
	v_add_co_ci_u32_e32 v18, vcc_lo, 0, v18, vcc_lo
	s_delay_alu instid0(VALU_DEP_2) | instskip(SKIP_1) | instid1(VALU_DEP_2)
	v_add_co_u32 v17, vcc_lo, 0, v27
	s_waitcnt lgkmcnt(0)
	v_add_co_ci_u32_e32 v18, vcc_lo, v28, v18, vcc_lo
.LBB191_66:                             ;   in Loop: Header=BB191_59 Depth=1
	s_or_b32 exec_lo, exec_lo, s11
	s_waitcnt lgkmcnt(1)
	ds_bpermute_b32 v55, v47, v27
	s_waitcnt lgkmcnt(1)
	ds_bpermute_b32 v28, v47, v18
	s_mov_b32 s11, exec_lo
	v_cmpx_le_u32_e64 v48, v20
	s_cbranch_execz .LBB191_68
; %bb.67:                               ;   in Loop: Header=BB191_59 Depth=1
	s_waitcnt lgkmcnt(1)
	v_add_co_u32 v27, vcc_lo, v17, v55
	v_add_co_ci_u32_e32 v18, vcc_lo, 0, v18, vcc_lo
	s_delay_alu instid0(VALU_DEP_2) | instskip(SKIP_1) | instid1(VALU_DEP_2)
	v_add_co_u32 v17, vcc_lo, 0, v27
	s_waitcnt lgkmcnt(0)
	v_add_co_ci_u32_e32 v18, vcc_lo, v28, v18, vcc_lo
.LBB191_68:                             ;   in Loop: Header=BB191_59 Depth=1
	s_or_b32 exec_lo, exec_lo, s11
	s_waitcnt lgkmcnt(1)
	ds_bpermute_b32 v55, v49, v27
	s_waitcnt lgkmcnt(1)
	ds_bpermute_b32 v28, v49, v18
	s_mov_b32 s11, exec_lo
	v_cmpx_le_u32_e64 v50, v20
	;; [unrolled: 17-line block ×3, first 2 shown]
	s_cbranch_execz .LBB191_72
; %bb.71:                               ;   in Loop: Header=BB191_59 Depth=1
	s_waitcnt lgkmcnt(1)
	v_add_co_u32 v27, vcc_lo, v17, v55
	v_add_co_ci_u32_e32 v18, vcc_lo, 0, v18, vcc_lo
	s_delay_alu instid0(VALU_DEP_2) | instskip(SKIP_1) | instid1(VALU_DEP_2)
	v_add_co_u32 v17, vcc_lo, 0, v27
	s_waitcnt lgkmcnt(0)
	v_add_co_ci_u32_e32 v18, vcc_lo, v28, v18, vcc_lo
.LBB191_72:                             ;   in Loop: Header=BB191_59 Depth=1
	s_or_b32 exec_lo, exec_lo, s11
	s_waitcnt lgkmcnt(0)
	ds_bpermute_b32 v28, v53, v27
	ds_bpermute_b32 v27, v53, v18
	s_mov_b32 s11, exec_lo
	v_cmpx_le_u32_e64 v54, v20
	s_cbranch_execz .LBB191_58
; %bb.73:                               ;   in Loop: Header=BB191_59 Depth=1
	s_waitcnt lgkmcnt(1)
	v_add_co_u32 v17, vcc_lo, v17, v28
	v_add_co_ci_u32_e32 v18, vcc_lo, 0, v18, vcc_lo
	s_delay_alu instid0(VALU_DEP_2) | instskip(SKIP_1) | instid1(VALU_DEP_2)
	v_add_co_u32 v17, vcc_lo, v17, 0
	s_waitcnt lgkmcnt(0)
	v_add_co_ci_u32_e32 v18, vcc_lo, v18, v27, vcc_lo
	s_branch .LBB191_58
.LBB191_74:                             ;   in Loop: Header=BB191_59 Depth=1
                                        ; implicit-def: $vgpr17_vgpr18
	s_cbranch_execz .LBB191_59
; %bb.75:
	s_and_saveexec_b32 s11, s3
	s_cbranch_execz .LBB191_77
; %bb.76:
	s_add_i32 s12, s15, 32
	s_mov_b32 s13, 0
	v_add_co_u32 v17, vcc_lo, v15, v13
	s_lshl_b64 s[12:13], s[12:13], 4
	v_dual_mov_b32 v19, 2 :: v_dual_mov_b32 v20, 0
	s_add_u32 s12, s8, s12
	s_addc_u32 s13, s9, s13
	v_add_co_ci_u32_e32 v18, vcc_lo, v16, v14, vcc_lo
	v_dual_mov_b32 v26, s13 :: v_dual_mov_b32 v25, s12
	;;#ASMSTART
	global_store_dwordx4 v[25:26], v[17:20] off	
s_waitcnt vmcnt(0)
	;;#ASMEND
	ds_store_b128 v20, v[13:16] offset:6144
.LBB191_77:
	s_or_b32 exec_lo, exec_lo, s11
	v_cmp_eq_u32_e32 vcc_lo, 0, v0
	s_and_b32 exec_lo, exec_lo, vcc_lo
	s_cbranch_execz .LBB191_79
; %bb.78:
	v_mov_b32_e32 v13, 0
	ds_store_b64 v13, v[15:16] offset:24
.LBB191_79:
	s_or_b32 exec_lo, exec_lo, s10
	s_waitcnt lgkmcnt(1)
	v_cndmask_b32_e64 v16, v29, v23, s3
	v_cmp_ne_u32_e32 vcc_lo, 0, v0
	v_mov_b32_e32 v15, 0
	s_waitcnt lgkmcnt(0)
	s_barrier
	buffer_gl0_inv
	v_cndmask_b32_e32 v16, 0, v16, vcc_lo
	ds_load_b64 v[13:14], v15 offset:24
	v_cndmask_b32_e64 v17, v30, v24, s3
	s_waitcnt lgkmcnt(0)
	s_barrier
	buffer_gl0_inv
	v_cndmask_b32_e32 v17, 0, v17, vcc_lo
	v_add_co_u32 v29, vcc_lo, v13, v16
	s_delay_alu instid0(VALU_DEP_2) | instskip(SKIP_3) | instid1(VALU_DEP_2)
	v_add_co_ci_u32_e32 v30, vcc_lo, v14, v17, vcc_lo
	ds_load_b128 v[13:16], v15 offset:6144
	v_add_co_u32 v27, vcc_lo, v29, v41
	v_add_co_ci_u32_e32 v28, vcc_lo, 0, v30, vcc_lo
	v_add_co_u32 v25, vcc_lo, v27, v40
	s_delay_alu instid0(VALU_DEP_2) | instskip(NEXT) | instid1(VALU_DEP_2)
	v_add_co_ci_u32_e32 v26, vcc_lo, 0, v28, vcc_lo
	v_add_co_u32 v23, vcc_lo, v25, v39
	s_delay_alu instid0(VALU_DEP_2) | instskip(NEXT) | instid1(VALU_DEP_2)
	;; [unrolled: 3-line block ×3, first 2 shown]
	v_add_co_ci_u32_e32 v20, vcc_lo, 0, v24, vcc_lo
	v_add_co_u32 v17, vcc_lo, v19, v37
	s_delay_alu instid0(VALU_DEP_2)
	v_add_co_ci_u32_e32 v18, vcc_lo, 0, v20, vcc_lo
	s_load_b64 s[10:11], s[0:1], 0x30
.LBB191_80:
	s_waitcnt lgkmcnt(0)
	v_cmp_gt_u64_e32 vcc_lo, 0x81, v[13:14]
	s_mov_b32 s0, -1
	s_cbranch_vccnz .LBB191_108
.LBB191_81:
	s_and_b32 vcc_lo, exec_lo, s0
	s_cbranch_vccnz .LBB191_127
.LBB191_82:
	v_cmp_eq_u32_e32 vcc_lo, 0, v0
	s_and_b32 s0, vcc_lo, s14
	s_delay_alu instid0(SALU_CYCLE_1)
	s_and_saveexec_b32 s1, s0
	s_cbranch_execnz .LBB191_143
.LBB191_83:
	s_nop 0
	s_sendmsg sendmsg(MSG_DEALLOC_VGPRS)
	s_endpgm
.LBB191_84:
                                        ; kill: def $vgpr13_vgpr14 killed $sgpr0_sgpr1 killed $exec
                                        ; implicit-def: $vgpr17_vgpr18
                                        ; implicit-def: $vgpr19_vgpr20
                                        ; implicit-def: $vgpr23_vgpr24
                                        ; implicit-def: $vgpr25_vgpr26
                                        ; implicit-def: $vgpr27_vgpr28
                                        ; implicit-def: $vgpr29_vgpr30
                                        ; implicit-def: $vgpr15_vgpr16
	s_load_b64 s[10:11], s[0:1], 0x30
	s_and_b32 vcc_lo, exec_lo, s3
	s_cbranch_vccz .LBB191_80
; %bb.85:
	s_waitcnt lgkmcnt(0)
	v_dual_mov_b32 v14, 0 :: v_dual_mov_b32 v15, v21
	v_mov_b32_dpp v16, v21 row_shr:1 row_mask:0xf bank_mask:0xf
	s_delay_alu instid0(VALU_DEP_2)
	v_mov_b32_dpp v13, v14 row_shr:1 row_mask:0xf bank_mask:0xf
	s_and_saveexec_b32 s0, s2
; %bb.86:
	s_delay_alu instid0(VALU_DEP_2) | instskip(SKIP_1) | instid1(VALU_DEP_2)
	v_add_co_u32 v15, vcc_lo, v21, v16
	v_add_co_ci_u32_e32 v14, vcc_lo, 0, v22, vcc_lo
	v_add_co_u32 v21, vcc_lo, 0, v15
	s_delay_alu instid0(VALU_DEP_2) | instskip(NEXT) | instid1(VALU_DEP_1)
	v_add_co_ci_u32_e32 v22, vcc_lo, v13, v14, vcc_lo
	v_mov_b32_e32 v14, v22
; %bb.87:
	s_or_b32 exec_lo, exec_lo, s0
	v_mov_b32_dpp v13, v15 row_shr:2 row_mask:0xf bank_mask:0xf
	s_delay_alu instid0(VALU_DEP_2)
	v_mov_b32_dpp v16, v14 row_shr:2 row_mask:0xf bank_mask:0xf
	s_mov_b32 s0, exec_lo
	v_cmpx_lt_u32_e32 1, v44
; %bb.88:
	s_delay_alu instid0(VALU_DEP_3) | instskip(SKIP_1) | instid1(VALU_DEP_2)
	v_add_co_u32 v15, vcc_lo, v21, v13
	v_add_co_ci_u32_e32 v14, vcc_lo, 0, v22, vcc_lo
	v_add_co_u32 v13, vcc_lo, 0, v15
	s_delay_alu instid0(VALU_DEP_2) | instskip(NEXT) | instid1(VALU_DEP_1)
	v_add_co_ci_u32_e32 v14, vcc_lo, v16, v14, vcc_lo
	v_dual_mov_b32 v22, v14 :: v_dual_mov_b32 v21, v13
; %bb.89:
	s_or_b32 exec_lo, exec_lo, s0
	v_mov_b32_dpp v13, v15 row_shr:4 row_mask:0xf bank_mask:0xf
	v_mov_b32_dpp v16, v14 row_shr:4 row_mask:0xf bank_mask:0xf
	s_mov_b32 s0, exec_lo
	v_cmpx_lt_u32_e32 3, v44
; %bb.90:
	s_delay_alu instid0(VALU_DEP_3) | instskip(SKIP_1) | instid1(VALU_DEP_2)
	v_add_co_u32 v15, vcc_lo, v21, v13
	v_add_co_ci_u32_e32 v14, vcc_lo, 0, v22, vcc_lo
	v_add_co_u32 v13, vcc_lo, 0, v15
	s_delay_alu instid0(VALU_DEP_2) | instskip(NEXT) | instid1(VALU_DEP_1)
	v_add_co_ci_u32_e32 v14, vcc_lo, v16, v14, vcc_lo
	v_dual_mov_b32 v22, v14 :: v_dual_mov_b32 v21, v13
; %bb.91:
	s_or_b32 exec_lo, exec_lo, s0
	v_mov_b32_dpp v16, v15 row_shr:8 row_mask:0xf bank_mask:0xf
	v_mov_b32_dpp v13, v14 row_shr:8 row_mask:0xf bank_mask:0xf
	s_mov_b32 s0, exec_lo
	v_cmpx_lt_u32_e32 7, v44
; %bb.92:
	s_delay_alu instid0(VALU_DEP_3) | instskip(SKIP_1) | instid1(VALU_DEP_2)
	v_add_co_u32 v15, vcc_lo, v21, v16
	v_add_co_ci_u32_e32 v14, vcc_lo, 0, v22, vcc_lo
	v_add_co_u32 v21, vcc_lo, 0, v15
	s_delay_alu instid0(VALU_DEP_2) | instskip(NEXT) | instid1(VALU_DEP_1)
	v_add_co_ci_u32_e32 v22, vcc_lo, v13, v14, vcc_lo
	v_mov_b32_e32 v14, v22
; %bb.93:
	s_or_b32 exec_lo, exec_lo, s0
	ds_swizzle_b32 v15, v15 offset:swizzle(BROADCAST,32,15)
	ds_swizzle_b32 v13, v14 offset:swizzle(BROADCAST,32,15)
	v_and_b32_e32 v14, 16, v42
	s_mov_b32 s0, exec_lo
	s_delay_alu instid0(VALU_DEP_1)
	v_cmpx_ne_u32_e32 0, v14
	s_cbranch_execz .LBB191_95
; %bb.94:
	s_waitcnt lgkmcnt(1)
	v_add_co_u32 v14, vcc_lo, v21, v15
	v_add_co_ci_u32_e32 v15, vcc_lo, 0, v22, vcc_lo
	s_delay_alu instid0(VALU_DEP_2) | instskip(SKIP_1) | instid1(VALU_DEP_2)
	v_add_co_u32 v21, vcc_lo, v14, 0
	s_waitcnt lgkmcnt(0)
	v_add_co_ci_u32_e32 v22, vcc_lo, v15, v13, vcc_lo
.LBB191_95:
	s_or_b32 exec_lo, exec_lo, s0
	s_waitcnt lgkmcnt(0)
	v_or_b32_e32 v13, 31, v0
	v_lshrrev_b32_e32 v15, 5, v0
	s_mov_b32 s0, exec_lo
	s_delay_alu instid0(VALU_DEP_2)
	v_cmpx_eq_u32_e64 v13, v0
	s_cbranch_execz .LBB191_97
; %bb.96:
	s_delay_alu instid0(VALU_DEP_2)
	v_lshlrev_b32_e32 v13, 3, v15
	ds_store_b64 v13, v[21:22]
.LBB191_97:
	s_or_b32 exec_lo, exec_lo, s0
	s_delay_alu instid0(SALU_CYCLE_1)
	s_mov_b32 s0, exec_lo
	s_waitcnt lgkmcnt(0)
	s_barrier
	buffer_gl0_inv
	v_cmpx_gt_u32_e32 4, v0
	s_cbranch_execz .LBB191_103
; %bb.98:
	v_lshlrev_b32_e32 v13, 1, v0
	s_mov_b32 s1, exec_lo
	s_delay_alu instid0(VALU_DEP_1)
	v_add_nc_u32_e32 v16, v43, v13
	ds_load_b64 v[13:14], v16
	s_waitcnt lgkmcnt(0)
	v_dual_mov_b32 v18, v13 :: v_dual_and_b32 v17, 3, v42
	v_mov_b32_dpp v20, v13 row_shr:1 row_mask:0xf bank_mask:0xf
	v_mov_b32_dpp v19, v14 row_shr:1 row_mask:0xf bank_mask:0xf
	s_delay_alu instid0(VALU_DEP_3)
	v_cmpx_ne_u32_e32 0, v17
; %bb.99:
	s_delay_alu instid0(VALU_DEP_3) | instskip(SKIP_1) | instid1(VALU_DEP_2)
	v_add_co_u32 v18, vcc_lo, v13, v20
	v_add_co_ci_u32_e32 v14, vcc_lo, 0, v14, vcc_lo
	v_add_co_u32 v13, vcc_lo, 0, v18
	s_delay_alu instid0(VALU_DEP_2)
	v_add_co_ci_u32_e32 v14, vcc_lo, v19, v14, vcc_lo
; %bb.100:
	s_or_b32 exec_lo, exec_lo, s1
	v_mov_b32_dpp v19, v18 row_shr:2 row_mask:0xf bank_mask:0xf
	s_delay_alu instid0(VALU_DEP_2)
	v_mov_b32_dpp v18, v14 row_shr:2 row_mask:0xf bank_mask:0xf
	s_mov_b32 s1, exec_lo
	v_cmpx_lt_u32_e32 1, v17
; %bb.101:
	s_delay_alu instid0(VALU_DEP_3) | instskip(SKIP_1) | instid1(VALU_DEP_2)
	v_add_co_u32 v13, vcc_lo, v13, v19
	v_add_co_ci_u32_e32 v14, vcc_lo, 0, v14, vcc_lo
	v_add_co_u32 v13, vcc_lo, v13, 0
	s_delay_alu instid0(VALU_DEP_2)
	v_add_co_ci_u32_e32 v14, vcc_lo, v14, v18, vcc_lo
; %bb.102:
	s_or_b32 exec_lo, exec_lo, s1
	ds_store_b64 v16, v[13:14]
.LBB191_103:
	s_or_b32 exec_lo, exec_lo, s0
	v_mov_b32_e32 v17, 0
	v_mov_b32_e32 v18, 0
	s_mov_b32 s0, exec_lo
	s_waitcnt lgkmcnt(0)
	s_barrier
	buffer_gl0_inv
	v_cmpx_lt_u32_e32 31, v0
	s_cbranch_execz .LBB191_105
; %bb.104:
	v_lshl_add_u32 v13, v15, 3, -8
	ds_load_b64 v[17:18], v13
.LBB191_105:
	s_or_b32 exec_lo, exec_lo, s0
	v_dual_mov_b32 v16, 0 :: v_dual_add_nc_u32 v13, -1, v42
	s_delay_alu instid0(VALU_DEP_1) | instskip(SKIP_4) | instid1(VALU_DEP_3)
	v_cmp_gt_i32_e32 vcc_lo, 0, v13
	v_cndmask_b32_e32 v13, v13, v42, vcc_lo
	s_waitcnt lgkmcnt(0)
	v_add_co_u32 v14, vcc_lo, v17, v21
	v_add_co_ci_u32_e32 v15, vcc_lo, v18, v22, vcc_lo
	v_lshlrev_b32_e32 v13, 2, v13
	v_cmp_eq_u32_e32 vcc_lo, 0, v0
	ds_bpermute_b32 v19, v13, v14
	ds_bpermute_b32 v20, v13, v15
	ds_load_b64 v[13:14], v16 offset:24
	s_and_saveexec_b32 s0, vcc_lo
	s_cbranch_execz .LBB191_107
; %bb.106:
	s_add_u32 s2, s8, 0x200
	s_addc_u32 s3, s9, 0
	s_delay_alu instid0(SALU_CYCLE_1)
	v_dual_mov_b32 v15, 2 :: v_dual_mov_b32 v22, s3
	v_mov_b32_e32 v21, s2
	s_waitcnt lgkmcnt(0)
	;;#ASMSTART
	global_store_dwordx4 v[21:22], v[13:16] off	
s_waitcnt vmcnt(0)
	;;#ASMEND
.LBB191_107:
	s_or_b32 exec_lo, exec_lo, s0
	v_cmp_eq_u32_e64 s0, 0, v42
	s_waitcnt lgkmcnt(0)
	s_barrier
	buffer_gl0_inv
	v_cndmask_b32_e64 v15, v19, v17, s0
	v_cndmask_b32_e64 v16, v20, v18, s0
	s_delay_alu instid0(VALU_DEP_2) | instskip(NEXT) | instid1(VALU_DEP_2)
	v_cndmask_b32_e64 v29, v15, 0, vcc_lo
	v_cndmask_b32_e64 v30, v16, 0, vcc_lo
	v_mov_b32_e32 v15, 0
	v_mov_b32_e32 v16, 0
	s_delay_alu instid0(VALU_DEP_4) | instskip(NEXT) | instid1(VALU_DEP_4)
	v_add_co_u32 v27, vcc_lo, v29, v41
	v_add_co_ci_u32_e32 v28, vcc_lo, 0, v30, vcc_lo
	s_delay_alu instid0(VALU_DEP_2) | instskip(NEXT) | instid1(VALU_DEP_2)
	v_add_co_u32 v25, vcc_lo, v27, v40
	v_add_co_ci_u32_e32 v26, vcc_lo, 0, v28, vcc_lo
	s_delay_alu instid0(VALU_DEP_2) | instskip(NEXT) | instid1(VALU_DEP_2)
	;; [unrolled: 3-line block ×4, first 2 shown]
	v_add_co_u32 v17, vcc_lo, v19, v37
	v_add_co_ci_u32_e32 v18, vcc_lo, 0, v20, vcc_lo
	v_cmp_gt_u64_e32 vcc_lo, 0x81, v[13:14]
	s_mov_b32 s0, -1
	s_cbranch_vccz .LBB191_81
.LBB191_108:
	v_add_co_u32 v21, vcc_lo, v15, v13
	v_add_co_ci_u32_e32 v22, vcc_lo, v16, v14, vcc_lo
	s_delay_alu instid0(VALU_DEP_1) | instskip(SKIP_1) | instid1(SALU_CYCLE_1)
	v_cmp_lt_u64_e32 vcc_lo, v[29:30], v[21:22]
	s_or_b32 s1, s16, vcc_lo
	s_and_saveexec_b32 s0, s1
	s_cbranch_execz .LBB191_111
; %bb.109:
	v_and_b32_e32 v37, 1, v36
	s_delay_alu instid0(VALU_DEP_1)
	v_cmp_eq_u32_e32 vcc_lo, 1, v37
	s_and_b32 exec_lo, exec_lo, vcc_lo
	s_cbranch_execz .LBB191_111
; %bb.110:
	v_lshlrev_b64 v[37:38], 3, v[29:30]
	s_lshl_b64 s[2:3], s[6:7], 3
	s_delay_alu instid0(SALU_CYCLE_1) | instskip(SKIP_1) | instid1(VALU_DEP_1)
	s_add_u32 s1, s10, s2
	s_addc_u32 s2, s11, s3
	v_add_co_u32 v37, vcc_lo, s1, v37
	s_delay_alu instid0(VALU_DEP_2)
	v_add_co_ci_u32_e32 v38, vcc_lo, s2, v38, vcc_lo
	global_store_b64 v[37:38], v[9:10], off
.LBB191_111:
	s_or_b32 exec_lo, exec_lo, s0
	v_cmp_lt_u64_e32 vcc_lo, v[27:28], v[21:22]
	s_or_b32 s1, s16, vcc_lo
	s_delay_alu instid0(SALU_CYCLE_1)
	s_and_saveexec_b32 s0, s1
	s_cbranch_execz .LBB191_114
; %bb.112:
	v_and_b32_e32 v30, 1, v34
	s_delay_alu instid0(VALU_DEP_1)
	v_cmp_eq_u32_e32 vcc_lo, 1, v30
	s_and_b32 exec_lo, exec_lo, vcc_lo
	s_cbranch_execz .LBB191_114
; %bb.113:
	v_lshlrev_b64 v[37:38], 3, v[27:28]
	s_lshl_b64 s[2:3], s[6:7], 3
	s_delay_alu instid0(SALU_CYCLE_1) | instskip(SKIP_1) | instid1(VALU_DEP_1)
	s_add_u32 s1, s10, s2
	s_addc_u32 s2, s11, s3
	v_add_co_u32 v37, vcc_lo, s1, v37
	s_delay_alu instid0(VALU_DEP_2)
	v_add_co_ci_u32_e32 v38, vcc_lo, s2, v38, vcc_lo
	global_store_b64 v[37:38], v[11:12], off
.LBB191_114:
	s_or_b32 exec_lo, exec_lo, s0
	v_cmp_lt_u64_e32 vcc_lo, v[25:26], v[21:22]
	s_or_b32 s1, s16, vcc_lo
	s_delay_alu instid0(SALU_CYCLE_1)
	;; [unrolled: 23-line block ×5, first 2 shown]
	s_and_saveexec_b32 s0, s1
	s_cbranch_execz .LBB191_126
; %bb.124:
	v_and_b32_e32 v20, 1, v32
	s_delay_alu instid0(VALU_DEP_1)
	v_cmp_eq_u32_e32 vcc_lo, 1, v20
	s_and_b32 exec_lo, exec_lo, vcc_lo
	s_cbranch_execz .LBB191_126
; %bb.125:
	v_lshlrev_b64 v[20:21], 3, v[17:18]
	s_lshl_b64 s[2:3], s[6:7], 3
	s_delay_alu instid0(SALU_CYCLE_1) | instskip(SKIP_1) | instid1(VALU_DEP_1)
	s_add_u32 s1, s10, s2
	s_addc_u32 s2, s11, s3
	v_add_co_u32 v20, vcc_lo, s1, v20
	s_delay_alu instid0(VALU_DEP_2)
	v_add_co_ci_u32_e32 v21, vcc_lo, s2, v21, vcc_lo
	global_store_b64 v[20:21], v[3:4], off
.LBB191_126:
	s_or_b32 exec_lo, exec_lo, s0
	s_branch .LBB191_82
.LBB191_127:
	v_and_b32_e32 v18, 1, v36
	s_mov_b32 s0, exec_lo
	s_delay_alu instid0(VALU_DEP_1)
	v_cmpx_eq_u32_e32 1, v18
	s_cbranch_execz .LBB191_129
; %bb.128:
	v_sub_nc_u32_e32 v18, v29, v15
	s_delay_alu instid0(VALU_DEP_1)
	v_lshlrev_b32_e32 v18, 3, v18
	ds_store_b64 v18, v[9:10]
.LBB191_129:
	s_or_b32 exec_lo, exec_lo, s0
	v_and_b32_e32 v9, 1, v34
	s_mov_b32 s0, exec_lo
	s_delay_alu instid0(VALU_DEP_1)
	v_cmpx_eq_u32_e32 1, v9
	s_cbranch_execz .LBB191_131
; %bb.130:
	v_sub_nc_u32_e32 v9, v27, v15
	s_delay_alu instid0(VALU_DEP_1)
	v_lshlrev_b32_e32 v9, 3, v9
	ds_store_b64 v9, v[11:12]
.LBB191_131:
	s_or_b32 exec_lo, exec_lo, s0
	;; [unrolled: 12-line block ×6, first 2 shown]
	v_mov_b32_e32 v3, 0
	s_mov_b32 s1, exec_lo
	s_waitcnt lgkmcnt(0)
	s_waitcnt_vscnt null, 0x0
	s_barrier
	buffer_gl0_inv
	v_mov_b32_e32 v1, v3
	s_delay_alu instid0(VALU_DEP_1)
	v_cmpx_gt_u64_e64 v[13:14], v[0:1]
	s_cbranch_execz .LBB191_142
; %bb.140:
	v_lshlrev_b64 v[4:5], 3, v[15:16]
	s_lshl_b64 s[2:3], s[6:7], 3
	v_or_b32_e32 v2, 0x80, v0
	s_delay_alu instid0(VALU_DEP_2) | instskip(NEXT) | instid1(VALU_DEP_3)
	v_add_co_u32 v4, vcc_lo, s10, v4
	v_add_co_ci_u32_e32 v5, vcc_lo, s11, v5, vcc_lo
	s_delay_alu instid0(VALU_DEP_2) | instskip(NEXT) | instid1(VALU_DEP_2)
	v_add_co_u32 v6, vcc_lo, v4, s2
	v_add_co_ci_u32_e32 v7, vcc_lo, s3, v5, vcc_lo
	v_dual_mov_b32 v5, v1 :: v_dual_mov_b32 v4, v0
	s_mov_b32 s2, 0
	.p2align	6
.LBB191_141:                            ; =>This Inner Loop Header: Depth=1
	s_delay_alu instid0(VALU_DEP_1) | instskip(NEXT) | instid1(VALU_DEP_2)
	v_lshlrev_b32_e32 v1, 3, v4
	v_lshlrev_b64 v[10:11], 3, v[4:5]
	v_dual_mov_b32 v5, v3 :: v_dual_mov_b32 v4, v2
	v_cmp_le_u64_e32 vcc_lo, v[13:14], v[2:3]
	v_add_nc_u32_e32 v2, 0x80, v2
	ds_load_b64 v[8:9], v1
	v_add_co_u32 v10, s0, v6, v10
	s_delay_alu instid0(VALU_DEP_1)
	v_add_co_ci_u32_e64 v11, s0, v7, v11, s0
	s_or_b32 s2, vcc_lo, s2
	s_waitcnt lgkmcnt(0)
	global_store_b64 v[10:11], v[8:9], off
	s_and_not1_b32 exec_lo, exec_lo, s2
	s_cbranch_execnz .LBB191_141
.LBB191_142:
	s_or_b32 exec_lo, exec_lo, s1
	v_cmp_eq_u32_e32 vcc_lo, 0, v0
	s_and_b32 s0, vcc_lo, s14
	s_delay_alu instid0(SALU_CYCLE_1)
	s_and_saveexec_b32 s1, s0
	s_cbranch_execz .LBB191_83
.LBB191_143:
	v_add_co_u32 v0, vcc_lo, v15, v13
	v_add_co_ci_u32_e32 v1, vcc_lo, v16, v14, vcc_lo
	v_mov_b32_e32 v2, 0
	s_delay_alu instid0(VALU_DEP_3) | instskip(NEXT) | instid1(VALU_DEP_3)
	v_add_co_u32 v0, vcc_lo, v0, s6
	v_add_co_ci_u32_e32 v1, vcc_lo, s7, v1, vcc_lo
	global_store_b64 v2, v[0:1], s[4:5]
	s_nop 0
	s_sendmsg sendmsg(MSG_DEALLOC_VGPRS)
	s_endpgm
	.section	.rodata,"a",@progbits
	.p2align	6, 0x0
	.amdhsa_kernel _ZN7rocprim17ROCPRIM_400000_NS6detail17trampoline_kernelINS0_14default_configENS1_25partition_config_selectorILNS1_17partition_subalgoE5ElNS0_10empty_typeEbEEZZNS1_14partition_implILS5_5ELb0ES3_mN6hipcub16HIPCUB_304000_NS21CountingInputIteratorIllEEPS6_NSA_22TransformInputIteratorIb7NonZeroIiEPilEENS0_5tupleIJPlS6_EEENSJ_IJSD_SD_EEES6_SK_JS6_EEE10hipError_tPvRmT3_T4_T5_T6_T7_T9_mT8_P12ihipStream_tbDpT10_ENKUlT_T0_E_clISt17integral_constantIbLb0EES16_EEDaS11_S12_EUlS11_E_NS1_11comp_targetILNS1_3genE9ELNS1_11target_archE1100ELNS1_3gpuE3ELNS1_3repE0EEENS1_30default_config_static_selectorELNS0_4arch9wavefront6targetE0EEEvT1_
		.amdhsa_group_segment_fixed_size 6160
		.amdhsa_private_segment_fixed_size 0
		.amdhsa_kernarg_size 120
		.amdhsa_user_sgpr_count 15
		.amdhsa_user_sgpr_dispatch_ptr 0
		.amdhsa_user_sgpr_queue_ptr 0
		.amdhsa_user_sgpr_kernarg_segment_ptr 1
		.amdhsa_user_sgpr_dispatch_id 0
		.amdhsa_user_sgpr_private_segment_size 0
		.amdhsa_wavefront_size32 1
		.amdhsa_uses_dynamic_stack 0
		.amdhsa_enable_private_segment 0
		.amdhsa_system_sgpr_workgroup_id_x 1
		.amdhsa_system_sgpr_workgroup_id_y 0
		.amdhsa_system_sgpr_workgroup_id_z 0
		.amdhsa_system_sgpr_workgroup_info 0
		.amdhsa_system_vgpr_workitem_id 0
		.amdhsa_next_free_vgpr 57
		.amdhsa_next_free_sgpr 21
		.amdhsa_reserve_vcc 1
		.amdhsa_float_round_mode_32 0
		.amdhsa_float_round_mode_16_64 0
		.amdhsa_float_denorm_mode_32 3
		.amdhsa_float_denorm_mode_16_64 3
		.amdhsa_dx10_clamp 1
		.amdhsa_ieee_mode 1
		.amdhsa_fp16_overflow 0
		.amdhsa_workgroup_processor_mode 1
		.amdhsa_memory_ordered 1
		.amdhsa_forward_progress 0
		.amdhsa_shared_vgpr_count 0
		.amdhsa_exception_fp_ieee_invalid_op 0
		.amdhsa_exception_fp_denorm_src 0
		.amdhsa_exception_fp_ieee_div_zero 0
		.amdhsa_exception_fp_ieee_overflow 0
		.amdhsa_exception_fp_ieee_underflow 0
		.amdhsa_exception_fp_ieee_inexact 0
		.amdhsa_exception_int_div_zero 0
	.end_amdhsa_kernel
	.section	.text._ZN7rocprim17ROCPRIM_400000_NS6detail17trampoline_kernelINS0_14default_configENS1_25partition_config_selectorILNS1_17partition_subalgoE5ElNS0_10empty_typeEbEEZZNS1_14partition_implILS5_5ELb0ES3_mN6hipcub16HIPCUB_304000_NS21CountingInputIteratorIllEEPS6_NSA_22TransformInputIteratorIb7NonZeroIiEPilEENS0_5tupleIJPlS6_EEENSJ_IJSD_SD_EEES6_SK_JS6_EEE10hipError_tPvRmT3_T4_T5_T6_T7_T9_mT8_P12ihipStream_tbDpT10_ENKUlT_T0_E_clISt17integral_constantIbLb0EES16_EEDaS11_S12_EUlS11_E_NS1_11comp_targetILNS1_3genE9ELNS1_11target_archE1100ELNS1_3gpuE3ELNS1_3repE0EEENS1_30default_config_static_selectorELNS0_4arch9wavefront6targetE0EEEvT1_,"axG",@progbits,_ZN7rocprim17ROCPRIM_400000_NS6detail17trampoline_kernelINS0_14default_configENS1_25partition_config_selectorILNS1_17partition_subalgoE5ElNS0_10empty_typeEbEEZZNS1_14partition_implILS5_5ELb0ES3_mN6hipcub16HIPCUB_304000_NS21CountingInputIteratorIllEEPS6_NSA_22TransformInputIteratorIb7NonZeroIiEPilEENS0_5tupleIJPlS6_EEENSJ_IJSD_SD_EEES6_SK_JS6_EEE10hipError_tPvRmT3_T4_T5_T6_T7_T9_mT8_P12ihipStream_tbDpT10_ENKUlT_T0_E_clISt17integral_constantIbLb0EES16_EEDaS11_S12_EUlS11_E_NS1_11comp_targetILNS1_3genE9ELNS1_11target_archE1100ELNS1_3gpuE3ELNS1_3repE0EEENS1_30default_config_static_selectorELNS0_4arch9wavefront6targetE0EEEvT1_,comdat
.Lfunc_end191:
	.size	_ZN7rocprim17ROCPRIM_400000_NS6detail17trampoline_kernelINS0_14default_configENS1_25partition_config_selectorILNS1_17partition_subalgoE5ElNS0_10empty_typeEbEEZZNS1_14partition_implILS5_5ELb0ES3_mN6hipcub16HIPCUB_304000_NS21CountingInputIteratorIllEEPS6_NSA_22TransformInputIteratorIb7NonZeroIiEPilEENS0_5tupleIJPlS6_EEENSJ_IJSD_SD_EEES6_SK_JS6_EEE10hipError_tPvRmT3_T4_T5_T6_T7_T9_mT8_P12ihipStream_tbDpT10_ENKUlT_T0_E_clISt17integral_constantIbLb0EES16_EEDaS11_S12_EUlS11_E_NS1_11comp_targetILNS1_3genE9ELNS1_11target_archE1100ELNS1_3gpuE3ELNS1_3repE0EEENS1_30default_config_static_selectorELNS0_4arch9wavefront6targetE0EEEvT1_, .Lfunc_end191-_ZN7rocprim17ROCPRIM_400000_NS6detail17trampoline_kernelINS0_14default_configENS1_25partition_config_selectorILNS1_17partition_subalgoE5ElNS0_10empty_typeEbEEZZNS1_14partition_implILS5_5ELb0ES3_mN6hipcub16HIPCUB_304000_NS21CountingInputIteratorIllEEPS6_NSA_22TransformInputIteratorIb7NonZeroIiEPilEENS0_5tupleIJPlS6_EEENSJ_IJSD_SD_EEES6_SK_JS6_EEE10hipError_tPvRmT3_T4_T5_T6_T7_T9_mT8_P12ihipStream_tbDpT10_ENKUlT_T0_E_clISt17integral_constantIbLb0EES16_EEDaS11_S12_EUlS11_E_NS1_11comp_targetILNS1_3genE9ELNS1_11target_archE1100ELNS1_3gpuE3ELNS1_3repE0EEENS1_30default_config_static_selectorELNS0_4arch9wavefront6targetE0EEEvT1_
                                        ; -- End function
	.section	.AMDGPU.csdata,"",@progbits
; Kernel info:
; codeLenInByte = 6348
; NumSgprs: 23
; NumVgprs: 57
; ScratchSize: 0
; MemoryBound: 0
; FloatMode: 240
; IeeeMode: 1
; LDSByteSize: 6160 bytes/workgroup (compile time only)
; SGPRBlocks: 2
; VGPRBlocks: 7
; NumSGPRsForWavesPerEU: 23
; NumVGPRsForWavesPerEU: 57
; Occupancy: 16
; WaveLimiterHint : 1
; COMPUTE_PGM_RSRC2:SCRATCH_EN: 0
; COMPUTE_PGM_RSRC2:USER_SGPR: 15
; COMPUTE_PGM_RSRC2:TRAP_HANDLER: 0
; COMPUTE_PGM_RSRC2:TGID_X_EN: 1
; COMPUTE_PGM_RSRC2:TGID_Y_EN: 0
; COMPUTE_PGM_RSRC2:TGID_Z_EN: 0
; COMPUTE_PGM_RSRC2:TIDIG_COMP_CNT: 0
	.section	.text._ZN7rocprim17ROCPRIM_400000_NS6detail17trampoline_kernelINS0_14default_configENS1_25partition_config_selectorILNS1_17partition_subalgoE5ElNS0_10empty_typeEbEEZZNS1_14partition_implILS5_5ELb0ES3_mN6hipcub16HIPCUB_304000_NS21CountingInputIteratorIllEEPS6_NSA_22TransformInputIteratorIb7NonZeroIiEPilEENS0_5tupleIJPlS6_EEENSJ_IJSD_SD_EEES6_SK_JS6_EEE10hipError_tPvRmT3_T4_T5_T6_T7_T9_mT8_P12ihipStream_tbDpT10_ENKUlT_T0_E_clISt17integral_constantIbLb0EES16_EEDaS11_S12_EUlS11_E_NS1_11comp_targetILNS1_3genE8ELNS1_11target_archE1030ELNS1_3gpuE2ELNS1_3repE0EEENS1_30default_config_static_selectorELNS0_4arch9wavefront6targetE0EEEvT1_,"axG",@progbits,_ZN7rocprim17ROCPRIM_400000_NS6detail17trampoline_kernelINS0_14default_configENS1_25partition_config_selectorILNS1_17partition_subalgoE5ElNS0_10empty_typeEbEEZZNS1_14partition_implILS5_5ELb0ES3_mN6hipcub16HIPCUB_304000_NS21CountingInputIteratorIllEEPS6_NSA_22TransformInputIteratorIb7NonZeroIiEPilEENS0_5tupleIJPlS6_EEENSJ_IJSD_SD_EEES6_SK_JS6_EEE10hipError_tPvRmT3_T4_T5_T6_T7_T9_mT8_P12ihipStream_tbDpT10_ENKUlT_T0_E_clISt17integral_constantIbLb0EES16_EEDaS11_S12_EUlS11_E_NS1_11comp_targetILNS1_3genE8ELNS1_11target_archE1030ELNS1_3gpuE2ELNS1_3repE0EEENS1_30default_config_static_selectorELNS0_4arch9wavefront6targetE0EEEvT1_,comdat
	.protected	_ZN7rocprim17ROCPRIM_400000_NS6detail17trampoline_kernelINS0_14default_configENS1_25partition_config_selectorILNS1_17partition_subalgoE5ElNS0_10empty_typeEbEEZZNS1_14partition_implILS5_5ELb0ES3_mN6hipcub16HIPCUB_304000_NS21CountingInputIteratorIllEEPS6_NSA_22TransformInputIteratorIb7NonZeroIiEPilEENS0_5tupleIJPlS6_EEENSJ_IJSD_SD_EEES6_SK_JS6_EEE10hipError_tPvRmT3_T4_T5_T6_T7_T9_mT8_P12ihipStream_tbDpT10_ENKUlT_T0_E_clISt17integral_constantIbLb0EES16_EEDaS11_S12_EUlS11_E_NS1_11comp_targetILNS1_3genE8ELNS1_11target_archE1030ELNS1_3gpuE2ELNS1_3repE0EEENS1_30default_config_static_selectorELNS0_4arch9wavefront6targetE0EEEvT1_ ; -- Begin function _ZN7rocprim17ROCPRIM_400000_NS6detail17trampoline_kernelINS0_14default_configENS1_25partition_config_selectorILNS1_17partition_subalgoE5ElNS0_10empty_typeEbEEZZNS1_14partition_implILS5_5ELb0ES3_mN6hipcub16HIPCUB_304000_NS21CountingInputIteratorIllEEPS6_NSA_22TransformInputIteratorIb7NonZeroIiEPilEENS0_5tupleIJPlS6_EEENSJ_IJSD_SD_EEES6_SK_JS6_EEE10hipError_tPvRmT3_T4_T5_T6_T7_T9_mT8_P12ihipStream_tbDpT10_ENKUlT_T0_E_clISt17integral_constantIbLb0EES16_EEDaS11_S12_EUlS11_E_NS1_11comp_targetILNS1_3genE8ELNS1_11target_archE1030ELNS1_3gpuE2ELNS1_3repE0EEENS1_30default_config_static_selectorELNS0_4arch9wavefront6targetE0EEEvT1_
	.globl	_ZN7rocprim17ROCPRIM_400000_NS6detail17trampoline_kernelINS0_14default_configENS1_25partition_config_selectorILNS1_17partition_subalgoE5ElNS0_10empty_typeEbEEZZNS1_14partition_implILS5_5ELb0ES3_mN6hipcub16HIPCUB_304000_NS21CountingInputIteratorIllEEPS6_NSA_22TransformInputIteratorIb7NonZeroIiEPilEENS0_5tupleIJPlS6_EEENSJ_IJSD_SD_EEES6_SK_JS6_EEE10hipError_tPvRmT3_T4_T5_T6_T7_T9_mT8_P12ihipStream_tbDpT10_ENKUlT_T0_E_clISt17integral_constantIbLb0EES16_EEDaS11_S12_EUlS11_E_NS1_11comp_targetILNS1_3genE8ELNS1_11target_archE1030ELNS1_3gpuE2ELNS1_3repE0EEENS1_30default_config_static_selectorELNS0_4arch9wavefront6targetE0EEEvT1_
	.p2align	8
	.type	_ZN7rocprim17ROCPRIM_400000_NS6detail17trampoline_kernelINS0_14default_configENS1_25partition_config_selectorILNS1_17partition_subalgoE5ElNS0_10empty_typeEbEEZZNS1_14partition_implILS5_5ELb0ES3_mN6hipcub16HIPCUB_304000_NS21CountingInputIteratorIllEEPS6_NSA_22TransformInputIteratorIb7NonZeroIiEPilEENS0_5tupleIJPlS6_EEENSJ_IJSD_SD_EEES6_SK_JS6_EEE10hipError_tPvRmT3_T4_T5_T6_T7_T9_mT8_P12ihipStream_tbDpT10_ENKUlT_T0_E_clISt17integral_constantIbLb0EES16_EEDaS11_S12_EUlS11_E_NS1_11comp_targetILNS1_3genE8ELNS1_11target_archE1030ELNS1_3gpuE2ELNS1_3repE0EEENS1_30default_config_static_selectorELNS0_4arch9wavefront6targetE0EEEvT1_,@function
_ZN7rocprim17ROCPRIM_400000_NS6detail17trampoline_kernelINS0_14default_configENS1_25partition_config_selectorILNS1_17partition_subalgoE5ElNS0_10empty_typeEbEEZZNS1_14partition_implILS5_5ELb0ES3_mN6hipcub16HIPCUB_304000_NS21CountingInputIteratorIllEEPS6_NSA_22TransformInputIteratorIb7NonZeroIiEPilEENS0_5tupleIJPlS6_EEENSJ_IJSD_SD_EEES6_SK_JS6_EEE10hipError_tPvRmT3_T4_T5_T6_T7_T9_mT8_P12ihipStream_tbDpT10_ENKUlT_T0_E_clISt17integral_constantIbLb0EES16_EEDaS11_S12_EUlS11_E_NS1_11comp_targetILNS1_3genE8ELNS1_11target_archE1030ELNS1_3gpuE2ELNS1_3repE0EEENS1_30default_config_static_selectorELNS0_4arch9wavefront6targetE0EEEvT1_: ; @_ZN7rocprim17ROCPRIM_400000_NS6detail17trampoline_kernelINS0_14default_configENS1_25partition_config_selectorILNS1_17partition_subalgoE5ElNS0_10empty_typeEbEEZZNS1_14partition_implILS5_5ELb0ES3_mN6hipcub16HIPCUB_304000_NS21CountingInputIteratorIllEEPS6_NSA_22TransformInputIteratorIb7NonZeroIiEPilEENS0_5tupleIJPlS6_EEENSJ_IJSD_SD_EEES6_SK_JS6_EEE10hipError_tPvRmT3_T4_T5_T6_T7_T9_mT8_P12ihipStream_tbDpT10_ENKUlT_T0_E_clISt17integral_constantIbLb0EES16_EEDaS11_S12_EUlS11_E_NS1_11comp_targetILNS1_3genE8ELNS1_11target_archE1030ELNS1_3gpuE2ELNS1_3repE0EEENS1_30default_config_static_selectorELNS0_4arch9wavefront6targetE0EEEvT1_
; %bb.0:
	.section	.rodata,"a",@progbits
	.p2align	6, 0x0
	.amdhsa_kernel _ZN7rocprim17ROCPRIM_400000_NS6detail17trampoline_kernelINS0_14default_configENS1_25partition_config_selectorILNS1_17partition_subalgoE5ElNS0_10empty_typeEbEEZZNS1_14partition_implILS5_5ELb0ES3_mN6hipcub16HIPCUB_304000_NS21CountingInputIteratorIllEEPS6_NSA_22TransformInputIteratorIb7NonZeroIiEPilEENS0_5tupleIJPlS6_EEENSJ_IJSD_SD_EEES6_SK_JS6_EEE10hipError_tPvRmT3_T4_T5_T6_T7_T9_mT8_P12ihipStream_tbDpT10_ENKUlT_T0_E_clISt17integral_constantIbLb0EES16_EEDaS11_S12_EUlS11_E_NS1_11comp_targetILNS1_3genE8ELNS1_11target_archE1030ELNS1_3gpuE2ELNS1_3repE0EEENS1_30default_config_static_selectorELNS0_4arch9wavefront6targetE0EEEvT1_
		.amdhsa_group_segment_fixed_size 0
		.amdhsa_private_segment_fixed_size 0
		.amdhsa_kernarg_size 120
		.amdhsa_user_sgpr_count 15
		.amdhsa_user_sgpr_dispatch_ptr 0
		.amdhsa_user_sgpr_queue_ptr 0
		.amdhsa_user_sgpr_kernarg_segment_ptr 1
		.amdhsa_user_sgpr_dispatch_id 0
		.amdhsa_user_sgpr_private_segment_size 0
		.amdhsa_wavefront_size32 1
		.amdhsa_uses_dynamic_stack 0
		.amdhsa_enable_private_segment 0
		.amdhsa_system_sgpr_workgroup_id_x 1
		.amdhsa_system_sgpr_workgroup_id_y 0
		.amdhsa_system_sgpr_workgroup_id_z 0
		.amdhsa_system_sgpr_workgroup_info 0
		.amdhsa_system_vgpr_workitem_id 0
		.amdhsa_next_free_vgpr 1
		.amdhsa_next_free_sgpr 1
		.amdhsa_reserve_vcc 0
		.amdhsa_float_round_mode_32 0
		.amdhsa_float_round_mode_16_64 0
		.amdhsa_float_denorm_mode_32 3
		.amdhsa_float_denorm_mode_16_64 3
		.amdhsa_dx10_clamp 1
		.amdhsa_ieee_mode 1
		.amdhsa_fp16_overflow 0
		.amdhsa_workgroup_processor_mode 1
		.amdhsa_memory_ordered 1
		.amdhsa_forward_progress 0
		.amdhsa_shared_vgpr_count 0
		.amdhsa_exception_fp_ieee_invalid_op 0
		.amdhsa_exception_fp_denorm_src 0
		.amdhsa_exception_fp_ieee_div_zero 0
		.amdhsa_exception_fp_ieee_overflow 0
		.amdhsa_exception_fp_ieee_underflow 0
		.amdhsa_exception_fp_ieee_inexact 0
		.amdhsa_exception_int_div_zero 0
	.end_amdhsa_kernel
	.section	.text._ZN7rocprim17ROCPRIM_400000_NS6detail17trampoline_kernelINS0_14default_configENS1_25partition_config_selectorILNS1_17partition_subalgoE5ElNS0_10empty_typeEbEEZZNS1_14partition_implILS5_5ELb0ES3_mN6hipcub16HIPCUB_304000_NS21CountingInputIteratorIllEEPS6_NSA_22TransformInputIteratorIb7NonZeroIiEPilEENS0_5tupleIJPlS6_EEENSJ_IJSD_SD_EEES6_SK_JS6_EEE10hipError_tPvRmT3_T4_T5_T6_T7_T9_mT8_P12ihipStream_tbDpT10_ENKUlT_T0_E_clISt17integral_constantIbLb0EES16_EEDaS11_S12_EUlS11_E_NS1_11comp_targetILNS1_3genE8ELNS1_11target_archE1030ELNS1_3gpuE2ELNS1_3repE0EEENS1_30default_config_static_selectorELNS0_4arch9wavefront6targetE0EEEvT1_,"axG",@progbits,_ZN7rocprim17ROCPRIM_400000_NS6detail17trampoline_kernelINS0_14default_configENS1_25partition_config_selectorILNS1_17partition_subalgoE5ElNS0_10empty_typeEbEEZZNS1_14partition_implILS5_5ELb0ES3_mN6hipcub16HIPCUB_304000_NS21CountingInputIteratorIllEEPS6_NSA_22TransformInputIteratorIb7NonZeroIiEPilEENS0_5tupleIJPlS6_EEENSJ_IJSD_SD_EEES6_SK_JS6_EEE10hipError_tPvRmT3_T4_T5_T6_T7_T9_mT8_P12ihipStream_tbDpT10_ENKUlT_T0_E_clISt17integral_constantIbLb0EES16_EEDaS11_S12_EUlS11_E_NS1_11comp_targetILNS1_3genE8ELNS1_11target_archE1030ELNS1_3gpuE2ELNS1_3repE0EEENS1_30default_config_static_selectorELNS0_4arch9wavefront6targetE0EEEvT1_,comdat
.Lfunc_end192:
	.size	_ZN7rocprim17ROCPRIM_400000_NS6detail17trampoline_kernelINS0_14default_configENS1_25partition_config_selectorILNS1_17partition_subalgoE5ElNS0_10empty_typeEbEEZZNS1_14partition_implILS5_5ELb0ES3_mN6hipcub16HIPCUB_304000_NS21CountingInputIteratorIllEEPS6_NSA_22TransformInputIteratorIb7NonZeroIiEPilEENS0_5tupleIJPlS6_EEENSJ_IJSD_SD_EEES6_SK_JS6_EEE10hipError_tPvRmT3_T4_T5_T6_T7_T9_mT8_P12ihipStream_tbDpT10_ENKUlT_T0_E_clISt17integral_constantIbLb0EES16_EEDaS11_S12_EUlS11_E_NS1_11comp_targetILNS1_3genE8ELNS1_11target_archE1030ELNS1_3gpuE2ELNS1_3repE0EEENS1_30default_config_static_selectorELNS0_4arch9wavefront6targetE0EEEvT1_, .Lfunc_end192-_ZN7rocprim17ROCPRIM_400000_NS6detail17trampoline_kernelINS0_14default_configENS1_25partition_config_selectorILNS1_17partition_subalgoE5ElNS0_10empty_typeEbEEZZNS1_14partition_implILS5_5ELb0ES3_mN6hipcub16HIPCUB_304000_NS21CountingInputIteratorIllEEPS6_NSA_22TransformInputIteratorIb7NonZeroIiEPilEENS0_5tupleIJPlS6_EEENSJ_IJSD_SD_EEES6_SK_JS6_EEE10hipError_tPvRmT3_T4_T5_T6_T7_T9_mT8_P12ihipStream_tbDpT10_ENKUlT_T0_E_clISt17integral_constantIbLb0EES16_EEDaS11_S12_EUlS11_E_NS1_11comp_targetILNS1_3genE8ELNS1_11target_archE1030ELNS1_3gpuE2ELNS1_3repE0EEENS1_30default_config_static_selectorELNS0_4arch9wavefront6targetE0EEEvT1_
                                        ; -- End function
	.section	.AMDGPU.csdata,"",@progbits
; Kernel info:
; codeLenInByte = 0
; NumSgprs: 0
; NumVgprs: 0
; ScratchSize: 0
; MemoryBound: 0
; FloatMode: 240
; IeeeMode: 1
; LDSByteSize: 0 bytes/workgroup (compile time only)
; SGPRBlocks: 0
; VGPRBlocks: 0
; NumSGPRsForWavesPerEU: 1
; NumVGPRsForWavesPerEU: 1
; Occupancy: 16
; WaveLimiterHint : 0
; COMPUTE_PGM_RSRC2:SCRATCH_EN: 0
; COMPUTE_PGM_RSRC2:USER_SGPR: 15
; COMPUTE_PGM_RSRC2:TRAP_HANDLER: 0
; COMPUTE_PGM_RSRC2:TGID_X_EN: 1
; COMPUTE_PGM_RSRC2:TGID_Y_EN: 0
; COMPUTE_PGM_RSRC2:TGID_Z_EN: 0
; COMPUTE_PGM_RSRC2:TIDIG_COMP_CNT: 0
	.section	.text._ZN7rocprim17ROCPRIM_400000_NS6detail17trampoline_kernelINS0_14default_configENS1_25partition_config_selectorILNS1_17partition_subalgoE5ElNS0_10empty_typeEbEEZZNS1_14partition_implILS5_5ELb0ES3_mN6hipcub16HIPCUB_304000_NS21CountingInputIteratorIllEEPS6_NSA_22TransformInputIteratorIb7NonZeroIiEPilEENS0_5tupleIJPlS6_EEENSJ_IJSD_SD_EEES6_SK_JS6_EEE10hipError_tPvRmT3_T4_T5_T6_T7_T9_mT8_P12ihipStream_tbDpT10_ENKUlT_T0_E_clISt17integral_constantIbLb1EES16_EEDaS11_S12_EUlS11_E_NS1_11comp_targetILNS1_3genE0ELNS1_11target_archE4294967295ELNS1_3gpuE0ELNS1_3repE0EEENS1_30default_config_static_selectorELNS0_4arch9wavefront6targetE0EEEvT1_,"axG",@progbits,_ZN7rocprim17ROCPRIM_400000_NS6detail17trampoline_kernelINS0_14default_configENS1_25partition_config_selectorILNS1_17partition_subalgoE5ElNS0_10empty_typeEbEEZZNS1_14partition_implILS5_5ELb0ES3_mN6hipcub16HIPCUB_304000_NS21CountingInputIteratorIllEEPS6_NSA_22TransformInputIteratorIb7NonZeroIiEPilEENS0_5tupleIJPlS6_EEENSJ_IJSD_SD_EEES6_SK_JS6_EEE10hipError_tPvRmT3_T4_T5_T6_T7_T9_mT8_P12ihipStream_tbDpT10_ENKUlT_T0_E_clISt17integral_constantIbLb1EES16_EEDaS11_S12_EUlS11_E_NS1_11comp_targetILNS1_3genE0ELNS1_11target_archE4294967295ELNS1_3gpuE0ELNS1_3repE0EEENS1_30default_config_static_selectorELNS0_4arch9wavefront6targetE0EEEvT1_,comdat
	.protected	_ZN7rocprim17ROCPRIM_400000_NS6detail17trampoline_kernelINS0_14default_configENS1_25partition_config_selectorILNS1_17partition_subalgoE5ElNS0_10empty_typeEbEEZZNS1_14partition_implILS5_5ELb0ES3_mN6hipcub16HIPCUB_304000_NS21CountingInputIteratorIllEEPS6_NSA_22TransformInputIteratorIb7NonZeroIiEPilEENS0_5tupleIJPlS6_EEENSJ_IJSD_SD_EEES6_SK_JS6_EEE10hipError_tPvRmT3_T4_T5_T6_T7_T9_mT8_P12ihipStream_tbDpT10_ENKUlT_T0_E_clISt17integral_constantIbLb1EES16_EEDaS11_S12_EUlS11_E_NS1_11comp_targetILNS1_3genE0ELNS1_11target_archE4294967295ELNS1_3gpuE0ELNS1_3repE0EEENS1_30default_config_static_selectorELNS0_4arch9wavefront6targetE0EEEvT1_ ; -- Begin function _ZN7rocprim17ROCPRIM_400000_NS6detail17trampoline_kernelINS0_14default_configENS1_25partition_config_selectorILNS1_17partition_subalgoE5ElNS0_10empty_typeEbEEZZNS1_14partition_implILS5_5ELb0ES3_mN6hipcub16HIPCUB_304000_NS21CountingInputIteratorIllEEPS6_NSA_22TransformInputIteratorIb7NonZeroIiEPilEENS0_5tupleIJPlS6_EEENSJ_IJSD_SD_EEES6_SK_JS6_EEE10hipError_tPvRmT3_T4_T5_T6_T7_T9_mT8_P12ihipStream_tbDpT10_ENKUlT_T0_E_clISt17integral_constantIbLb1EES16_EEDaS11_S12_EUlS11_E_NS1_11comp_targetILNS1_3genE0ELNS1_11target_archE4294967295ELNS1_3gpuE0ELNS1_3repE0EEENS1_30default_config_static_selectorELNS0_4arch9wavefront6targetE0EEEvT1_
	.globl	_ZN7rocprim17ROCPRIM_400000_NS6detail17trampoline_kernelINS0_14default_configENS1_25partition_config_selectorILNS1_17partition_subalgoE5ElNS0_10empty_typeEbEEZZNS1_14partition_implILS5_5ELb0ES3_mN6hipcub16HIPCUB_304000_NS21CountingInputIteratorIllEEPS6_NSA_22TransformInputIteratorIb7NonZeroIiEPilEENS0_5tupleIJPlS6_EEENSJ_IJSD_SD_EEES6_SK_JS6_EEE10hipError_tPvRmT3_T4_T5_T6_T7_T9_mT8_P12ihipStream_tbDpT10_ENKUlT_T0_E_clISt17integral_constantIbLb1EES16_EEDaS11_S12_EUlS11_E_NS1_11comp_targetILNS1_3genE0ELNS1_11target_archE4294967295ELNS1_3gpuE0ELNS1_3repE0EEENS1_30default_config_static_selectorELNS0_4arch9wavefront6targetE0EEEvT1_
	.p2align	8
	.type	_ZN7rocprim17ROCPRIM_400000_NS6detail17trampoline_kernelINS0_14default_configENS1_25partition_config_selectorILNS1_17partition_subalgoE5ElNS0_10empty_typeEbEEZZNS1_14partition_implILS5_5ELb0ES3_mN6hipcub16HIPCUB_304000_NS21CountingInputIteratorIllEEPS6_NSA_22TransformInputIteratorIb7NonZeroIiEPilEENS0_5tupleIJPlS6_EEENSJ_IJSD_SD_EEES6_SK_JS6_EEE10hipError_tPvRmT3_T4_T5_T6_T7_T9_mT8_P12ihipStream_tbDpT10_ENKUlT_T0_E_clISt17integral_constantIbLb1EES16_EEDaS11_S12_EUlS11_E_NS1_11comp_targetILNS1_3genE0ELNS1_11target_archE4294967295ELNS1_3gpuE0ELNS1_3repE0EEENS1_30default_config_static_selectorELNS0_4arch9wavefront6targetE0EEEvT1_,@function
_ZN7rocprim17ROCPRIM_400000_NS6detail17trampoline_kernelINS0_14default_configENS1_25partition_config_selectorILNS1_17partition_subalgoE5ElNS0_10empty_typeEbEEZZNS1_14partition_implILS5_5ELb0ES3_mN6hipcub16HIPCUB_304000_NS21CountingInputIteratorIllEEPS6_NSA_22TransformInputIteratorIb7NonZeroIiEPilEENS0_5tupleIJPlS6_EEENSJ_IJSD_SD_EEES6_SK_JS6_EEE10hipError_tPvRmT3_T4_T5_T6_T7_T9_mT8_P12ihipStream_tbDpT10_ENKUlT_T0_E_clISt17integral_constantIbLb1EES16_EEDaS11_S12_EUlS11_E_NS1_11comp_targetILNS1_3genE0ELNS1_11target_archE4294967295ELNS1_3gpuE0ELNS1_3repE0EEENS1_30default_config_static_selectorELNS0_4arch9wavefront6targetE0EEEvT1_: ; @_ZN7rocprim17ROCPRIM_400000_NS6detail17trampoline_kernelINS0_14default_configENS1_25partition_config_selectorILNS1_17partition_subalgoE5ElNS0_10empty_typeEbEEZZNS1_14partition_implILS5_5ELb0ES3_mN6hipcub16HIPCUB_304000_NS21CountingInputIteratorIllEEPS6_NSA_22TransformInputIteratorIb7NonZeroIiEPilEENS0_5tupleIJPlS6_EEENSJ_IJSD_SD_EEES6_SK_JS6_EEE10hipError_tPvRmT3_T4_T5_T6_T7_T9_mT8_P12ihipStream_tbDpT10_ENKUlT_T0_E_clISt17integral_constantIbLb1EES16_EEDaS11_S12_EUlS11_E_NS1_11comp_targetILNS1_3genE0ELNS1_11target_archE4294967295ELNS1_3gpuE0ELNS1_3repE0EEENS1_30default_config_static_selectorELNS0_4arch9wavefront6targetE0EEEvT1_
; %bb.0:
	.section	.rodata,"a",@progbits
	.p2align	6, 0x0
	.amdhsa_kernel _ZN7rocprim17ROCPRIM_400000_NS6detail17trampoline_kernelINS0_14default_configENS1_25partition_config_selectorILNS1_17partition_subalgoE5ElNS0_10empty_typeEbEEZZNS1_14partition_implILS5_5ELb0ES3_mN6hipcub16HIPCUB_304000_NS21CountingInputIteratorIllEEPS6_NSA_22TransformInputIteratorIb7NonZeroIiEPilEENS0_5tupleIJPlS6_EEENSJ_IJSD_SD_EEES6_SK_JS6_EEE10hipError_tPvRmT3_T4_T5_T6_T7_T9_mT8_P12ihipStream_tbDpT10_ENKUlT_T0_E_clISt17integral_constantIbLb1EES16_EEDaS11_S12_EUlS11_E_NS1_11comp_targetILNS1_3genE0ELNS1_11target_archE4294967295ELNS1_3gpuE0ELNS1_3repE0EEENS1_30default_config_static_selectorELNS0_4arch9wavefront6targetE0EEEvT1_
		.amdhsa_group_segment_fixed_size 0
		.amdhsa_private_segment_fixed_size 0
		.amdhsa_kernarg_size 136
		.amdhsa_user_sgpr_count 15
		.amdhsa_user_sgpr_dispatch_ptr 0
		.amdhsa_user_sgpr_queue_ptr 0
		.amdhsa_user_sgpr_kernarg_segment_ptr 1
		.amdhsa_user_sgpr_dispatch_id 0
		.amdhsa_user_sgpr_private_segment_size 0
		.amdhsa_wavefront_size32 1
		.amdhsa_uses_dynamic_stack 0
		.amdhsa_enable_private_segment 0
		.amdhsa_system_sgpr_workgroup_id_x 1
		.amdhsa_system_sgpr_workgroup_id_y 0
		.amdhsa_system_sgpr_workgroup_id_z 0
		.amdhsa_system_sgpr_workgroup_info 0
		.amdhsa_system_vgpr_workitem_id 0
		.amdhsa_next_free_vgpr 1
		.amdhsa_next_free_sgpr 1
		.amdhsa_reserve_vcc 0
		.amdhsa_float_round_mode_32 0
		.amdhsa_float_round_mode_16_64 0
		.amdhsa_float_denorm_mode_32 3
		.amdhsa_float_denorm_mode_16_64 3
		.amdhsa_dx10_clamp 1
		.amdhsa_ieee_mode 1
		.amdhsa_fp16_overflow 0
		.amdhsa_workgroup_processor_mode 1
		.amdhsa_memory_ordered 1
		.amdhsa_forward_progress 0
		.amdhsa_shared_vgpr_count 0
		.amdhsa_exception_fp_ieee_invalid_op 0
		.amdhsa_exception_fp_denorm_src 0
		.amdhsa_exception_fp_ieee_div_zero 0
		.amdhsa_exception_fp_ieee_overflow 0
		.amdhsa_exception_fp_ieee_underflow 0
		.amdhsa_exception_fp_ieee_inexact 0
		.amdhsa_exception_int_div_zero 0
	.end_amdhsa_kernel
	.section	.text._ZN7rocprim17ROCPRIM_400000_NS6detail17trampoline_kernelINS0_14default_configENS1_25partition_config_selectorILNS1_17partition_subalgoE5ElNS0_10empty_typeEbEEZZNS1_14partition_implILS5_5ELb0ES3_mN6hipcub16HIPCUB_304000_NS21CountingInputIteratorIllEEPS6_NSA_22TransformInputIteratorIb7NonZeroIiEPilEENS0_5tupleIJPlS6_EEENSJ_IJSD_SD_EEES6_SK_JS6_EEE10hipError_tPvRmT3_T4_T5_T6_T7_T9_mT8_P12ihipStream_tbDpT10_ENKUlT_T0_E_clISt17integral_constantIbLb1EES16_EEDaS11_S12_EUlS11_E_NS1_11comp_targetILNS1_3genE0ELNS1_11target_archE4294967295ELNS1_3gpuE0ELNS1_3repE0EEENS1_30default_config_static_selectorELNS0_4arch9wavefront6targetE0EEEvT1_,"axG",@progbits,_ZN7rocprim17ROCPRIM_400000_NS6detail17trampoline_kernelINS0_14default_configENS1_25partition_config_selectorILNS1_17partition_subalgoE5ElNS0_10empty_typeEbEEZZNS1_14partition_implILS5_5ELb0ES3_mN6hipcub16HIPCUB_304000_NS21CountingInputIteratorIllEEPS6_NSA_22TransformInputIteratorIb7NonZeroIiEPilEENS0_5tupleIJPlS6_EEENSJ_IJSD_SD_EEES6_SK_JS6_EEE10hipError_tPvRmT3_T4_T5_T6_T7_T9_mT8_P12ihipStream_tbDpT10_ENKUlT_T0_E_clISt17integral_constantIbLb1EES16_EEDaS11_S12_EUlS11_E_NS1_11comp_targetILNS1_3genE0ELNS1_11target_archE4294967295ELNS1_3gpuE0ELNS1_3repE0EEENS1_30default_config_static_selectorELNS0_4arch9wavefront6targetE0EEEvT1_,comdat
.Lfunc_end193:
	.size	_ZN7rocprim17ROCPRIM_400000_NS6detail17trampoline_kernelINS0_14default_configENS1_25partition_config_selectorILNS1_17partition_subalgoE5ElNS0_10empty_typeEbEEZZNS1_14partition_implILS5_5ELb0ES3_mN6hipcub16HIPCUB_304000_NS21CountingInputIteratorIllEEPS6_NSA_22TransformInputIteratorIb7NonZeroIiEPilEENS0_5tupleIJPlS6_EEENSJ_IJSD_SD_EEES6_SK_JS6_EEE10hipError_tPvRmT3_T4_T5_T6_T7_T9_mT8_P12ihipStream_tbDpT10_ENKUlT_T0_E_clISt17integral_constantIbLb1EES16_EEDaS11_S12_EUlS11_E_NS1_11comp_targetILNS1_3genE0ELNS1_11target_archE4294967295ELNS1_3gpuE0ELNS1_3repE0EEENS1_30default_config_static_selectorELNS0_4arch9wavefront6targetE0EEEvT1_, .Lfunc_end193-_ZN7rocprim17ROCPRIM_400000_NS6detail17trampoline_kernelINS0_14default_configENS1_25partition_config_selectorILNS1_17partition_subalgoE5ElNS0_10empty_typeEbEEZZNS1_14partition_implILS5_5ELb0ES3_mN6hipcub16HIPCUB_304000_NS21CountingInputIteratorIllEEPS6_NSA_22TransformInputIteratorIb7NonZeroIiEPilEENS0_5tupleIJPlS6_EEENSJ_IJSD_SD_EEES6_SK_JS6_EEE10hipError_tPvRmT3_T4_T5_T6_T7_T9_mT8_P12ihipStream_tbDpT10_ENKUlT_T0_E_clISt17integral_constantIbLb1EES16_EEDaS11_S12_EUlS11_E_NS1_11comp_targetILNS1_3genE0ELNS1_11target_archE4294967295ELNS1_3gpuE0ELNS1_3repE0EEENS1_30default_config_static_selectorELNS0_4arch9wavefront6targetE0EEEvT1_
                                        ; -- End function
	.section	.AMDGPU.csdata,"",@progbits
; Kernel info:
; codeLenInByte = 0
; NumSgprs: 0
; NumVgprs: 0
; ScratchSize: 0
; MemoryBound: 0
; FloatMode: 240
; IeeeMode: 1
; LDSByteSize: 0 bytes/workgroup (compile time only)
; SGPRBlocks: 0
; VGPRBlocks: 0
; NumSGPRsForWavesPerEU: 1
; NumVGPRsForWavesPerEU: 1
; Occupancy: 16
; WaveLimiterHint : 0
; COMPUTE_PGM_RSRC2:SCRATCH_EN: 0
; COMPUTE_PGM_RSRC2:USER_SGPR: 15
; COMPUTE_PGM_RSRC2:TRAP_HANDLER: 0
; COMPUTE_PGM_RSRC2:TGID_X_EN: 1
; COMPUTE_PGM_RSRC2:TGID_Y_EN: 0
; COMPUTE_PGM_RSRC2:TGID_Z_EN: 0
; COMPUTE_PGM_RSRC2:TIDIG_COMP_CNT: 0
	.section	.text._ZN7rocprim17ROCPRIM_400000_NS6detail17trampoline_kernelINS0_14default_configENS1_25partition_config_selectorILNS1_17partition_subalgoE5ElNS0_10empty_typeEbEEZZNS1_14partition_implILS5_5ELb0ES3_mN6hipcub16HIPCUB_304000_NS21CountingInputIteratorIllEEPS6_NSA_22TransformInputIteratorIb7NonZeroIiEPilEENS0_5tupleIJPlS6_EEENSJ_IJSD_SD_EEES6_SK_JS6_EEE10hipError_tPvRmT3_T4_T5_T6_T7_T9_mT8_P12ihipStream_tbDpT10_ENKUlT_T0_E_clISt17integral_constantIbLb1EES16_EEDaS11_S12_EUlS11_E_NS1_11comp_targetILNS1_3genE5ELNS1_11target_archE942ELNS1_3gpuE9ELNS1_3repE0EEENS1_30default_config_static_selectorELNS0_4arch9wavefront6targetE0EEEvT1_,"axG",@progbits,_ZN7rocprim17ROCPRIM_400000_NS6detail17trampoline_kernelINS0_14default_configENS1_25partition_config_selectorILNS1_17partition_subalgoE5ElNS0_10empty_typeEbEEZZNS1_14partition_implILS5_5ELb0ES3_mN6hipcub16HIPCUB_304000_NS21CountingInputIteratorIllEEPS6_NSA_22TransformInputIteratorIb7NonZeroIiEPilEENS0_5tupleIJPlS6_EEENSJ_IJSD_SD_EEES6_SK_JS6_EEE10hipError_tPvRmT3_T4_T5_T6_T7_T9_mT8_P12ihipStream_tbDpT10_ENKUlT_T0_E_clISt17integral_constantIbLb1EES16_EEDaS11_S12_EUlS11_E_NS1_11comp_targetILNS1_3genE5ELNS1_11target_archE942ELNS1_3gpuE9ELNS1_3repE0EEENS1_30default_config_static_selectorELNS0_4arch9wavefront6targetE0EEEvT1_,comdat
	.protected	_ZN7rocprim17ROCPRIM_400000_NS6detail17trampoline_kernelINS0_14default_configENS1_25partition_config_selectorILNS1_17partition_subalgoE5ElNS0_10empty_typeEbEEZZNS1_14partition_implILS5_5ELb0ES3_mN6hipcub16HIPCUB_304000_NS21CountingInputIteratorIllEEPS6_NSA_22TransformInputIteratorIb7NonZeroIiEPilEENS0_5tupleIJPlS6_EEENSJ_IJSD_SD_EEES6_SK_JS6_EEE10hipError_tPvRmT3_T4_T5_T6_T7_T9_mT8_P12ihipStream_tbDpT10_ENKUlT_T0_E_clISt17integral_constantIbLb1EES16_EEDaS11_S12_EUlS11_E_NS1_11comp_targetILNS1_3genE5ELNS1_11target_archE942ELNS1_3gpuE9ELNS1_3repE0EEENS1_30default_config_static_selectorELNS0_4arch9wavefront6targetE0EEEvT1_ ; -- Begin function _ZN7rocprim17ROCPRIM_400000_NS6detail17trampoline_kernelINS0_14default_configENS1_25partition_config_selectorILNS1_17partition_subalgoE5ElNS0_10empty_typeEbEEZZNS1_14partition_implILS5_5ELb0ES3_mN6hipcub16HIPCUB_304000_NS21CountingInputIteratorIllEEPS6_NSA_22TransformInputIteratorIb7NonZeroIiEPilEENS0_5tupleIJPlS6_EEENSJ_IJSD_SD_EEES6_SK_JS6_EEE10hipError_tPvRmT3_T4_T5_T6_T7_T9_mT8_P12ihipStream_tbDpT10_ENKUlT_T0_E_clISt17integral_constantIbLb1EES16_EEDaS11_S12_EUlS11_E_NS1_11comp_targetILNS1_3genE5ELNS1_11target_archE942ELNS1_3gpuE9ELNS1_3repE0EEENS1_30default_config_static_selectorELNS0_4arch9wavefront6targetE0EEEvT1_
	.globl	_ZN7rocprim17ROCPRIM_400000_NS6detail17trampoline_kernelINS0_14default_configENS1_25partition_config_selectorILNS1_17partition_subalgoE5ElNS0_10empty_typeEbEEZZNS1_14partition_implILS5_5ELb0ES3_mN6hipcub16HIPCUB_304000_NS21CountingInputIteratorIllEEPS6_NSA_22TransformInputIteratorIb7NonZeroIiEPilEENS0_5tupleIJPlS6_EEENSJ_IJSD_SD_EEES6_SK_JS6_EEE10hipError_tPvRmT3_T4_T5_T6_T7_T9_mT8_P12ihipStream_tbDpT10_ENKUlT_T0_E_clISt17integral_constantIbLb1EES16_EEDaS11_S12_EUlS11_E_NS1_11comp_targetILNS1_3genE5ELNS1_11target_archE942ELNS1_3gpuE9ELNS1_3repE0EEENS1_30default_config_static_selectorELNS0_4arch9wavefront6targetE0EEEvT1_
	.p2align	8
	.type	_ZN7rocprim17ROCPRIM_400000_NS6detail17trampoline_kernelINS0_14default_configENS1_25partition_config_selectorILNS1_17partition_subalgoE5ElNS0_10empty_typeEbEEZZNS1_14partition_implILS5_5ELb0ES3_mN6hipcub16HIPCUB_304000_NS21CountingInputIteratorIllEEPS6_NSA_22TransformInputIteratorIb7NonZeroIiEPilEENS0_5tupleIJPlS6_EEENSJ_IJSD_SD_EEES6_SK_JS6_EEE10hipError_tPvRmT3_T4_T5_T6_T7_T9_mT8_P12ihipStream_tbDpT10_ENKUlT_T0_E_clISt17integral_constantIbLb1EES16_EEDaS11_S12_EUlS11_E_NS1_11comp_targetILNS1_3genE5ELNS1_11target_archE942ELNS1_3gpuE9ELNS1_3repE0EEENS1_30default_config_static_selectorELNS0_4arch9wavefront6targetE0EEEvT1_,@function
_ZN7rocprim17ROCPRIM_400000_NS6detail17trampoline_kernelINS0_14default_configENS1_25partition_config_selectorILNS1_17partition_subalgoE5ElNS0_10empty_typeEbEEZZNS1_14partition_implILS5_5ELb0ES3_mN6hipcub16HIPCUB_304000_NS21CountingInputIteratorIllEEPS6_NSA_22TransformInputIteratorIb7NonZeroIiEPilEENS0_5tupleIJPlS6_EEENSJ_IJSD_SD_EEES6_SK_JS6_EEE10hipError_tPvRmT3_T4_T5_T6_T7_T9_mT8_P12ihipStream_tbDpT10_ENKUlT_T0_E_clISt17integral_constantIbLb1EES16_EEDaS11_S12_EUlS11_E_NS1_11comp_targetILNS1_3genE5ELNS1_11target_archE942ELNS1_3gpuE9ELNS1_3repE0EEENS1_30default_config_static_selectorELNS0_4arch9wavefront6targetE0EEEvT1_: ; @_ZN7rocprim17ROCPRIM_400000_NS6detail17trampoline_kernelINS0_14default_configENS1_25partition_config_selectorILNS1_17partition_subalgoE5ElNS0_10empty_typeEbEEZZNS1_14partition_implILS5_5ELb0ES3_mN6hipcub16HIPCUB_304000_NS21CountingInputIteratorIllEEPS6_NSA_22TransformInputIteratorIb7NonZeroIiEPilEENS0_5tupleIJPlS6_EEENSJ_IJSD_SD_EEES6_SK_JS6_EEE10hipError_tPvRmT3_T4_T5_T6_T7_T9_mT8_P12ihipStream_tbDpT10_ENKUlT_T0_E_clISt17integral_constantIbLb1EES16_EEDaS11_S12_EUlS11_E_NS1_11comp_targetILNS1_3genE5ELNS1_11target_archE942ELNS1_3gpuE9ELNS1_3repE0EEENS1_30default_config_static_selectorELNS0_4arch9wavefront6targetE0EEEvT1_
; %bb.0:
	.section	.rodata,"a",@progbits
	.p2align	6, 0x0
	.amdhsa_kernel _ZN7rocprim17ROCPRIM_400000_NS6detail17trampoline_kernelINS0_14default_configENS1_25partition_config_selectorILNS1_17partition_subalgoE5ElNS0_10empty_typeEbEEZZNS1_14partition_implILS5_5ELb0ES3_mN6hipcub16HIPCUB_304000_NS21CountingInputIteratorIllEEPS6_NSA_22TransformInputIteratorIb7NonZeroIiEPilEENS0_5tupleIJPlS6_EEENSJ_IJSD_SD_EEES6_SK_JS6_EEE10hipError_tPvRmT3_T4_T5_T6_T7_T9_mT8_P12ihipStream_tbDpT10_ENKUlT_T0_E_clISt17integral_constantIbLb1EES16_EEDaS11_S12_EUlS11_E_NS1_11comp_targetILNS1_3genE5ELNS1_11target_archE942ELNS1_3gpuE9ELNS1_3repE0EEENS1_30default_config_static_selectorELNS0_4arch9wavefront6targetE0EEEvT1_
		.amdhsa_group_segment_fixed_size 0
		.amdhsa_private_segment_fixed_size 0
		.amdhsa_kernarg_size 136
		.amdhsa_user_sgpr_count 15
		.amdhsa_user_sgpr_dispatch_ptr 0
		.amdhsa_user_sgpr_queue_ptr 0
		.amdhsa_user_sgpr_kernarg_segment_ptr 1
		.amdhsa_user_sgpr_dispatch_id 0
		.amdhsa_user_sgpr_private_segment_size 0
		.amdhsa_wavefront_size32 1
		.amdhsa_uses_dynamic_stack 0
		.amdhsa_enable_private_segment 0
		.amdhsa_system_sgpr_workgroup_id_x 1
		.amdhsa_system_sgpr_workgroup_id_y 0
		.amdhsa_system_sgpr_workgroup_id_z 0
		.amdhsa_system_sgpr_workgroup_info 0
		.amdhsa_system_vgpr_workitem_id 0
		.amdhsa_next_free_vgpr 1
		.amdhsa_next_free_sgpr 1
		.amdhsa_reserve_vcc 0
		.amdhsa_float_round_mode_32 0
		.amdhsa_float_round_mode_16_64 0
		.amdhsa_float_denorm_mode_32 3
		.amdhsa_float_denorm_mode_16_64 3
		.amdhsa_dx10_clamp 1
		.amdhsa_ieee_mode 1
		.amdhsa_fp16_overflow 0
		.amdhsa_workgroup_processor_mode 1
		.amdhsa_memory_ordered 1
		.amdhsa_forward_progress 0
		.amdhsa_shared_vgpr_count 0
		.amdhsa_exception_fp_ieee_invalid_op 0
		.amdhsa_exception_fp_denorm_src 0
		.amdhsa_exception_fp_ieee_div_zero 0
		.amdhsa_exception_fp_ieee_overflow 0
		.amdhsa_exception_fp_ieee_underflow 0
		.amdhsa_exception_fp_ieee_inexact 0
		.amdhsa_exception_int_div_zero 0
	.end_amdhsa_kernel
	.section	.text._ZN7rocprim17ROCPRIM_400000_NS6detail17trampoline_kernelINS0_14default_configENS1_25partition_config_selectorILNS1_17partition_subalgoE5ElNS0_10empty_typeEbEEZZNS1_14partition_implILS5_5ELb0ES3_mN6hipcub16HIPCUB_304000_NS21CountingInputIteratorIllEEPS6_NSA_22TransformInputIteratorIb7NonZeroIiEPilEENS0_5tupleIJPlS6_EEENSJ_IJSD_SD_EEES6_SK_JS6_EEE10hipError_tPvRmT3_T4_T5_T6_T7_T9_mT8_P12ihipStream_tbDpT10_ENKUlT_T0_E_clISt17integral_constantIbLb1EES16_EEDaS11_S12_EUlS11_E_NS1_11comp_targetILNS1_3genE5ELNS1_11target_archE942ELNS1_3gpuE9ELNS1_3repE0EEENS1_30default_config_static_selectorELNS0_4arch9wavefront6targetE0EEEvT1_,"axG",@progbits,_ZN7rocprim17ROCPRIM_400000_NS6detail17trampoline_kernelINS0_14default_configENS1_25partition_config_selectorILNS1_17partition_subalgoE5ElNS0_10empty_typeEbEEZZNS1_14partition_implILS5_5ELb0ES3_mN6hipcub16HIPCUB_304000_NS21CountingInputIteratorIllEEPS6_NSA_22TransformInputIteratorIb7NonZeroIiEPilEENS0_5tupleIJPlS6_EEENSJ_IJSD_SD_EEES6_SK_JS6_EEE10hipError_tPvRmT3_T4_T5_T6_T7_T9_mT8_P12ihipStream_tbDpT10_ENKUlT_T0_E_clISt17integral_constantIbLb1EES16_EEDaS11_S12_EUlS11_E_NS1_11comp_targetILNS1_3genE5ELNS1_11target_archE942ELNS1_3gpuE9ELNS1_3repE0EEENS1_30default_config_static_selectorELNS0_4arch9wavefront6targetE0EEEvT1_,comdat
.Lfunc_end194:
	.size	_ZN7rocprim17ROCPRIM_400000_NS6detail17trampoline_kernelINS0_14default_configENS1_25partition_config_selectorILNS1_17partition_subalgoE5ElNS0_10empty_typeEbEEZZNS1_14partition_implILS5_5ELb0ES3_mN6hipcub16HIPCUB_304000_NS21CountingInputIteratorIllEEPS6_NSA_22TransformInputIteratorIb7NonZeroIiEPilEENS0_5tupleIJPlS6_EEENSJ_IJSD_SD_EEES6_SK_JS6_EEE10hipError_tPvRmT3_T4_T5_T6_T7_T9_mT8_P12ihipStream_tbDpT10_ENKUlT_T0_E_clISt17integral_constantIbLb1EES16_EEDaS11_S12_EUlS11_E_NS1_11comp_targetILNS1_3genE5ELNS1_11target_archE942ELNS1_3gpuE9ELNS1_3repE0EEENS1_30default_config_static_selectorELNS0_4arch9wavefront6targetE0EEEvT1_, .Lfunc_end194-_ZN7rocprim17ROCPRIM_400000_NS6detail17trampoline_kernelINS0_14default_configENS1_25partition_config_selectorILNS1_17partition_subalgoE5ElNS0_10empty_typeEbEEZZNS1_14partition_implILS5_5ELb0ES3_mN6hipcub16HIPCUB_304000_NS21CountingInputIteratorIllEEPS6_NSA_22TransformInputIteratorIb7NonZeroIiEPilEENS0_5tupleIJPlS6_EEENSJ_IJSD_SD_EEES6_SK_JS6_EEE10hipError_tPvRmT3_T4_T5_T6_T7_T9_mT8_P12ihipStream_tbDpT10_ENKUlT_T0_E_clISt17integral_constantIbLb1EES16_EEDaS11_S12_EUlS11_E_NS1_11comp_targetILNS1_3genE5ELNS1_11target_archE942ELNS1_3gpuE9ELNS1_3repE0EEENS1_30default_config_static_selectorELNS0_4arch9wavefront6targetE0EEEvT1_
                                        ; -- End function
	.section	.AMDGPU.csdata,"",@progbits
; Kernel info:
; codeLenInByte = 0
; NumSgprs: 0
; NumVgprs: 0
; ScratchSize: 0
; MemoryBound: 0
; FloatMode: 240
; IeeeMode: 1
; LDSByteSize: 0 bytes/workgroup (compile time only)
; SGPRBlocks: 0
; VGPRBlocks: 0
; NumSGPRsForWavesPerEU: 1
; NumVGPRsForWavesPerEU: 1
; Occupancy: 16
; WaveLimiterHint : 0
; COMPUTE_PGM_RSRC2:SCRATCH_EN: 0
; COMPUTE_PGM_RSRC2:USER_SGPR: 15
; COMPUTE_PGM_RSRC2:TRAP_HANDLER: 0
; COMPUTE_PGM_RSRC2:TGID_X_EN: 1
; COMPUTE_PGM_RSRC2:TGID_Y_EN: 0
; COMPUTE_PGM_RSRC2:TGID_Z_EN: 0
; COMPUTE_PGM_RSRC2:TIDIG_COMP_CNT: 0
	.section	.text._ZN7rocprim17ROCPRIM_400000_NS6detail17trampoline_kernelINS0_14default_configENS1_25partition_config_selectorILNS1_17partition_subalgoE5ElNS0_10empty_typeEbEEZZNS1_14partition_implILS5_5ELb0ES3_mN6hipcub16HIPCUB_304000_NS21CountingInputIteratorIllEEPS6_NSA_22TransformInputIteratorIb7NonZeroIiEPilEENS0_5tupleIJPlS6_EEENSJ_IJSD_SD_EEES6_SK_JS6_EEE10hipError_tPvRmT3_T4_T5_T6_T7_T9_mT8_P12ihipStream_tbDpT10_ENKUlT_T0_E_clISt17integral_constantIbLb1EES16_EEDaS11_S12_EUlS11_E_NS1_11comp_targetILNS1_3genE4ELNS1_11target_archE910ELNS1_3gpuE8ELNS1_3repE0EEENS1_30default_config_static_selectorELNS0_4arch9wavefront6targetE0EEEvT1_,"axG",@progbits,_ZN7rocprim17ROCPRIM_400000_NS6detail17trampoline_kernelINS0_14default_configENS1_25partition_config_selectorILNS1_17partition_subalgoE5ElNS0_10empty_typeEbEEZZNS1_14partition_implILS5_5ELb0ES3_mN6hipcub16HIPCUB_304000_NS21CountingInputIteratorIllEEPS6_NSA_22TransformInputIteratorIb7NonZeroIiEPilEENS0_5tupleIJPlS6_EEENSJ_IJSD_SD_EEES6_SK_JS6_EEE10hipError_tPvRmT3_T4_T5_T6_T7_T9_mT8_P12ihipStream_tbDpT10_ENKUlT_T0_E_clISt17integral_constantIbLb1EES16_EEDaS11_S12_EUlS11_E_NS1_11comp_targetILNS1_3genE4ELNS1_11target_archE910ELNS1_3gpuE8ELNS1_3repE0EEENS1_30default_config_static_selectorELNS0_4arch9wavefront6targetE0EEEvT1_,comdat
	.protected	_ZN7rocprim17ROCPRIM_400000_NS6detail17trampoline_kernelINS0_14default_configENS1_25partition_config_selectorILNS1_17partition_subalgoE5ElNS0_10empty_typeEbEEZZNS1_14partition_implILS5_5ELb0ES3_mN6hipcub16HIPCUB_304000_NS21CountingInputIteratorIllEEPS6_NSA_22TransformInputIteratorIb7NonZeroIiEPilEENS0_5tupleIJPlS6_EEENSJ_IJSD_SD_EEES6_SK_JS6_EEE10hipError_tPvRmT3_T4_T5_T6_T7_T9_mT8_P12ihipStream_tbDpT10_ENKUlT_T0_E_clISt17integral_constantIbLb1EES16_EEDaS11_S12_EUlS11_E_NS1_11comp_targetILNS1_3genE4ELNS1_11target_archE910ELNS1_3gpuE8ELNS1_3repE0EEENS1_30default_config_static_selectorELNS0_4arch9wavefront6targetE0EEEvT1_ ; -- Begin function _ZN7rocprim17ROCPRIM_400000_NS6detail17trampoline_kernelINS0_14default_configENS1_25partition_config_selectorILNS1_17partition_subalgoE5ElNS0_10empty_typeEbEEZZNS1_14partition_implILS5_5ELb0ES3_mN6hipcub16HIPCUB_304000_NS21CountingInputIteratorIllEEPS6_NSA_22TransformInputIteratorIb7NonZeroIiEPilEENS0_5tupleIJPlS6_EEENSJ_IJSD_SD_EEES6_SK_JS6_EEE10hipError_tPvRmT3_T4_T5_T6_T7_T9_mT8_P12ihipStream_tbDpT10_ENKUlT_T0_E_clISt17integral_constantIbLb1EES16_EEDaS11_S12_EUlS11_E_NS1_11comp_targetILNS1_3genE4ELNS1_11target_archE910ELNS1_3gpuE8ELNS1_3repE0EEENS1_30default_config_static_selectorELNS0_4arch9wavefront6targetE0EEEvT1_
	.globl	_ZN7rocprim17ROCPRIM_400000_NS6detail17trampoline_kernelINS0_14default_configENS1_25partition_config_selectorILNS1_17partition_subalgoE5ElNS0_10empty_typeEbEEZZNS1_14partition_implILS5_5ELb0ES3_mN6hipcub16HIPCUB_304000_NS21CountingInputIteratorIllEEPS6_NSA_22TransformInputIteratorIb7NonZeroIiEPilEENS0_5tupleIJPlS6_EEENSJ_IJSD_SD_EEES6_SK_JS6_EEE10hipError_tPvRmT3_T4_T5_T6_T7_T9_mT8_P12ihipStream_tbDpT10_ENKUlT_T0_E_clISt17integral_constantIbLb1EES16_EEDaS11_S12_EUlS11_E_NS1_11comp_targetILNS1_3genE4ELNS1_11target_archE910ELNS1_3gpuE8ELNS1_3repE0EEENS1_30default_config_static_selectorELNS0_4arch9wavefront6targetE0EEEvT1_
	.p2align	8
	.type	_ZN7rocprim17ROCPRIM_400000_NS6detail17trampoline_kernelINS0_14default_configENS1_25partition_config_selectorILNS1_17partition_subalgoE5ElNS0_10empty_typeEbEEZZNS1_14partition_implILS5_5ELb0ES3_mN6hipcub16HIPCUB_304000_NS21CountingInputIteratorIllEEPS6_NSA_22TransformInputIteratorIb7NonZeroIiEPilEENS0_5tupleIJPlS6_EEENSJ_IJSD_SD_EEES6_SK_JS6_EEE10hipError_tPvRmT3_T4_T5_T6_T7_T9_mT8_P12ihipStream_tbDpT10_ENKUlT_T0_E_clISt17integral_constantIbLb1EES16_EEDaS11_S12_EUlS11_E_NS1_11comp_targetILNS1_3genE4ELNS1_11target_archE910ELNS1_3gpuE8ELNS1_3repE0EEENS1_30default_config_static_selectorELNS0_4arch9wavefront6targetE0EEEvT1_,@function
_ZN7rocprim17ROCPRIM_400000_NS6detail17trampoline_kernelINS0_14default_configENS1_25partition_config_selectorILNS1_17partition_subalgoE5ElNS0_10empty_typeEbEEZZNS1_14partition_implILS5_5ELb0ES3_mN6hipcub16HIPCUB_304000_NS21CountingInputIteratorIllEEPS6_NSA_22TransformInputIteratorIb7NonZeroIiEPilEENS0_5tupleIJPlS6_EEENSJ_IJSD_SD_EEES6_SK_JS6_EEE10hipError_tPvRmT3_T4_T5_T6_T7_T9_mT8_P12ihipStream_tbDpT10_ENKUlT_T0_E_clISt17integral_constantIbLb1EES16_EEDaS11_S12_EUlS11_E_NS1_11comp_targetILNS1_3genE4ELNS1_11target_archE910ELNS1_3gpuE8ELNS1_3repE0EEENS1_30default_config_static_selectorELNS0_4arch9wavefront6targetE0EEEvT1_: ; @_ZN7rocprim17ROCPRIM_400000_NS6detail17trampoline_kernelINS0_14default_configENS1_25partition_config_selectorILNS1_17partition_subalgoE5ElNS0_10empty_typeEbEEZZNS1_14partition_implILS5_5ELb0ES3_mN6hipcub16HIPCUB_304000_NS21CountingInputIteratorIllEEPS6_NSA_22TransformInputIteratorIb7NonZeroIiEPilEENS0_5tupleIJPlS6_EEENSJ_IJSD_SD_EEES6_SK_JS6_EEE10hipError_tPvRmT3_T4_T5_T6_T7_T9_mT8_P12ihipStream_tbDpT10_ENKUlT_T0_E_clISt17integral_constantIbLb1EES16_EEDaS11_S12_EUlS11_E_NS1_11comp_targetILNS1_3genE4ELNS1_11target_archE910ELNS1_3gpuE8ELNS1_3repE0EEENS1_30default_config_static_selectorELNS0_4arch9wavefront6targetE0EEEvT1_
; %bb.0:
	.section	.rodata,"a",@progbits
	.p2align	6, 0x0
	.amdhsa_kernel _ZN7rocprim17ROCPRIM_400000_NS6detail17trampoline_kernelINS0_14default_configENS1_25partition_config_selectorILNS1_17partition_subalgoE5ElNS0_10empty_typeEbEEZZNS1_14partition_implILS5_5ELb0ES3_mN6hipcub16HIPCUB_304000_NS21CountingInputIteratorIllEEPS6_NSA_22TransformInputIteratorIb7NonZeroIiEPilEENS0_5tupleIJPlS6_EEENSJ_IJSD_SD_EEES6_SK_JS6_EEE10hipError_tPvRmT3_T4_T5_T6_T7_T9_mT8_P12ihipStream_tbDpT10_ENKUlT_T0_E_clISt17integral_constantIbLb1EES16_EEDaS11_S12_EUlS11_E_NS1_11comp_targetILNS1_3genE4ELNS1_11target_archE910ELNS1_3gpuE8ELNS1_3repE0EEENS1_30default_config_static_selectorELNS0_4arch9wavefront6targetE0EEEvT1_
		.amdhsa_group_segment_fixed_size 0
		.amdhsa_private_segment_fixed_size 0
		.amdhsa_kernarg_size 136
		.amdhsa_user_sgpr_count 15
		.amdhsa_user_sgpr_dispatch_ptr 0
		.amdhsa_user_sgpr_queue_ptr 0
		.amdhsa_user_sgpr_kernarg_segment_ptr 1
		.amdhsa_user_sgpr_dispatch_id 0
		.amdhsa_user_sgpr_private_segment_size 0
		.amdhsa_wavefront_size32 1
		.amdhsa_uses_dynamic_stack 0
		.amdhsa_enable_private_segment 0
		.amdhsa_system_sgpr_workgroup_id_x 1
		.amdhsa_system_sgpr_workgroup_id_y 0
		.amdhsa_system_sgpr_workgroup_id_z 0
		.amdhsa_system_sgpr_workgroup_info 0
		.amdhsa_system_vgpr_workitem_id 0
		.amdhsa_next_free_vgpr 1
		.amdhsa_next_free_sgpr 1
		.amdhsa_reserve_vcc 0
		.amdhsa_float_round_mode_32 0
		.amdhsa_float_round_mode_16_64 0
		.amdhsa_float_denorm_mode_32 3
		.amdhsa_float_denorm_mode_16_64 3
		.amdhsa_dx10_clamp 1
		.amdhsa_ieee_mode 1
		.amdhsa_fp16_overflow 0
		.amdhsa_workgroup_processor_mode 1
		.amdhsa_memory_ordered 1
		.amdhsa_forward_progress 0
		.amdhsa_shared_vgpr_count 0
		.amdhsa_exception_fp_ieee_invalid_op 0
		.amdhsa_exception_fp_denorm_src 0
		.amdhsa_exception_fp_ieee_div_zero 0
		.amdhsa_exception_fp_ieee_overflow 0
		.amdhsa_exception_fp_ieee_underflow 0
		.amdhsa_exception_fp_ieee_inexact 0
		.amdhsa_exception_int_div_zero 0
	.end_amdhsa_kernel
	.section	.text._ZN7rocprim17ROCPRIM_400000_NS6detail17trampoline_kernelINS0_14default_configENS1_25partition_config_selectorILNS1_17partition_subalgoE5ElNS0_10empty_typeEbEEZZNS1_14partition_implILS5_5ELb0ES3_mN6hipcub16HIPCUB_304000_NS21CountingInputIteratorIllEEPS6_NSA_22TransformInputIteratorIb7NonZeroIiEPilEENS0_5tupleIJPlS6_EEENSJ_IJSD_SD_EEES6_SK_JS6_EEE10hipError_tPvRmT3_T4_T5_T6_T7_T9_mT8_P12ihipStream_tbDpT10_ENKUlT_T0_E_clISt17integral_constantIbLb1EES16_EEDaS11_S12_EUlS11_E_NS1_11comp_targetILNS1_3genE4ELNS1_11target_archE910ELNS1_3gpuE8ELNS1_3repE0EEENS1_30default_config_static_selectorELNS0_4arch9wavefront6targetE0EEEvT1_,"axG",@progbits,_ZN7rocprim17ROCPRIM_400000_NS6detail17trampoline_kernelINS0_14default_configENS1_25partition_config_selectorILNS1_17partition_subalgoE5ElNS0_10empty_typeEbEEZZNS1_14partition_implILS5_5ELb0ES3_mN6hipcub16HIPCUB_304000_NS21CountingInputIteratorIllEEPS6_NSA_22TransformInputIteratorIb7NonZeroIiEPilEENS0_5tupleIJPlS6_EEENSJ_IJSD_SD_EEES6_SK_JS6_EEE10hipError_tPvRmT3_T4_T5_T6_T7_T9_mT8_P12ihipStream_tbDpT10_ENKUlT_T0_E_clISt17integral_constantIbLb1EES16_EEDaS11_S12_EUlS11_E_NS1_11comp_targetILNS1_3genE4ELNS1_11target_archE910ELNS1_3gpuE8ELNS1_3repE0EEENS1_30default_config_static_selectorELNS0_4arch9wavefront6targetE0EEEvT1_,comdat
.Lfunc_end195:
	.size	_ZN7rocprim17ROCPRIM_400000_NS6detail17trampoline_kernelINS0_14default_configENS1_25partition_config_selectorILNS1_17partition_subalgoE5ElNS0_10empty_typeEbEEZZNS1_14partition_implILS5_5ELb0ES3_mN6hipcub16HIPCUB_304000_NS21CountingInputIteratorIllEEPS6_NSA_22TransformInputIteratorIb7NonZeroIiEPilEENS0_5tupleIJPlS6_EEENSJ_IJSD_SD_EEES6_SK_JS6_EEE10hipError_tPvRmT3_T4_T5_T6_T7_T9_mT8_P12ihipStream_tbDpT10_ENKUlT_T0_E_clISt17integral_constantIbLb1EES16_EEDaS11_S12_EUlS11_E_NS1_11comp_targetILNS1_3genE4ELNS1_11target_archE910ELNS1_3gpuE8ELNS1_3repE0EEENS1_30default_config_static_selectorELNS0_4arch9wavefront6targetE0EEEvT1_, .Lfunc_end195-_ZN7rocprim17ROCPRIM_400000_NS6detail17trampoline_kernelINS0_14default_configENS1_25partition_config_selectorILNS1_17partition_subalgoE5ElNS0_10empty_typeEbEEZZNS1_14partition_implILS5_5ELb0ES3_mN6hipcub16HIPCUB_304000_NS21CountingInputIteratorIllEEPS6_NSA_22TransformInputIteratorIb7NonZeroIiEPilEENS0_5tupleIJPlS6_EEENSJ_IJSD_SD_EEES6_SK_JS6_EEE10hipError_tPvRmT3_T4_T5_T6_T7_T9_mT8_P12ihipStream_tbDpT10_ENKUlT_T0_E_clISt17integral_constantIbLb1EES16_EEDaS11_S12_EUlS11_E_NS1_11comp_targetILNS1_3genE4ELNS1_11target_archE910ELNS1_3gpuE8ELNS1_3repE0EEENS1_30default_config_static_selectorELNS0_4arch9wavefront6targetE0EEEvT1_
                                        ; -- End function
	.section	.AMDGPU.csdata,"",@progbits
; Kernel info:
; codeLenInByte = 0
; NumSgprs: 0
; NumVgprs: 0
; ScratchSize: 0
; MemoryBound: 0
; FloatMode: 240
; IeeeMode: 1
; LDSByteSize: 0 bytes/workgroup (compile time only)
; SGPRBlocks: 0
; VGPRBlocks: 0
; NumSGPRsForWavesPerEU: 1
; NumVGPRsForWavesPerEU: 1
; Occupancy: 15
; WaveLimiterHint : 0
; COMPUTE_PGM_RSRC2:SCRATCH_EN: 0
; COMPUTE_PGM_RSRC2:USER_SGPR: 15
; COMPUTE_PGM_RSRC2:TRAP_HANDLER: 0
; COMPUTE_PGM_RSRC2:TGID_X_EN: 1
; COMPUTE_PGM_RSRC2:TGID_Y_EN: 0
; COMPUTE_PGM_RSRC2:TGID_Z_EN: 0
; COMPUTE_PGM_RSRC2:TIDIG_COMP_CNT: 0
	.section	.text._ZN7rocprim17ROCPRIM_400000_NS6detail17trampoline_kernelINS0_14default_configENS1_25partition_config_selectorILNS1_17partition_subalgoE5ElNS0_10empty_typeEbEEZZNS1_14partition_implILS5_5ELb0ES3_mN6hipcub16HIPCUB_304000_NS21CountingInputIteratorIllEEPS6_NSA_22TransformInputIteratorIb7NonZeroIiEPilEENS0_5tupleIJPlS6_EEENSJ_IJSD_SD_EEES6_SK_JS6_EEE10hipError_tPvRmT3_T4_T5_T6_T7_T9_mT8_P12ihipStream_tbDpT10_ENKUlT_T0_E_clISt17integral_constantIbLb1EES16_EEDaS11_S12_EUlS11_E_NS1_11comp_targetILNS1_3genE3ELNS1_11target_archE908ELNS1_3gpuE7ELNS1_3repE0EEENS1_30default_config_static_selectorELNS0_4arch9wavefront6targetE0EEEvT1_,"axG",@progbits,_ZN7rocprim17ROCPRIM_400000_NS6detail17trampoline_kernelINS0_14default_configENS1_25partition_config_selectorILNS1_17partition_subalgoE5ElNS0_10empty_typeEbEEZZNS1_14partition_implILS5_5ELb0ES3_mN6hipcub16HIPCUB_304000_NS21CountingInputIteratorIllEEPS6_NSA_22TransformInputIteratorIb7NonZeroIiEPilEENS0_5tupleIJPlS6_EEENSJ_IJSD_SD_EEES6_SK_JS6_EEE10hipError_tPvRmT3_T4_T5_T6_T7_T9_mT8_P12ihipStream_tbDpT10_ENKUlT_T0_E_clISt17integral_constantIbLb1EES16_EEDaS11_S12_EUlS11_E_NS1_11comp_targetILNS1_3genE3ELNS1_11target_archE908ELNS1_3gpuE7ELNS1_3repE0EEENS1_30default_config_static_selectorELNS0_4arch9wavefront6targetE0EEEvT1_,comdat
	.protected	_ZN7rocprim17ROCPRIM_400000_NS6detail17trampoline_kernelINS0_14default_configENS1_25partition_config_selectorILNS1_17partition_subalgoE5ElNS0_10empty_typeEbEEZZNS1_14partition_implILS5_5ELb0ES3_mN6hipcub16HIPCUB_304000_NS21CountingInputIteratorIllEEPS6_NSA_22TransformInputIteratorIb7NonZeroIiEPilEENS0_5tupleIJPlS6_EEENSJ_IJSD_SD_EEES6_SK_JS6_EEE10hipError_tPvRmT3_T4_T5_T6_T7_T9_mT8_P12ihipStream_tbDpT10_ENKUlT_T0_E_clISt17integral_constantIbLb1EES16_EEDaS11_S12_EUlS11_E_NS1_11comp_targetILNS1_3genE3ELNS1_11target_archE908ELNS1_3gpuE7ELNS1_3repE0EEENS1_30default_config_static_selectorELNS0_4arch9wavefront6targetE0EEEvT1_ ; -- Begin function _ZN7rocprim17ROCPRIM_400000_NS6detail17trampoline_kernelINS0_14default_configENS1_25partition_config_selectorILNS1_17partition_subalgoE5ElNS0_10empty_typeEbEEZZNS1_14partition_implILS5_5ELb0ES3_mN6hipcub16HIPCUB_304000_NS21CountingInputIteratorIllEEPS6_NSA_22TransformInputIteratorIb7NonZeroIiEPilEENS0_5tupleIJPlS6_EEENSJ_IJSD_SD_EEES6_SK_JS6_EEE10hipError_tPvRmT3_T4_T5_T6_T7_T9_mT8_P12ihipStream_tbDpT10_ENKUlT_T0_E_clISt17integral_constantIbLb1EES16_EEDaS11_S12_EUlS11_E_NS1_11comp_targetILNS1_3genE3ELNS1_11target_archE908ELNS1_3gpuE7ELNS1_3repE0EEENS1_30default_config_static_selectorELNS0_4arch9wavefront6targetE0EEEvT1_
	.globl	_ZN7rocprim17ROCPRIM_400000_NS6detail17trampoline_kernelINS0_14default_configENS1_25partition_config_selectorILNS1_17partition_subalgoE5ElNS0_10empty_typeEbEEZZNS1_14partition_implILS5_5ELb0ES3_mN6hipcub16HIPCUB_304000_NS21CountingInputIteratorIllEEPS6_NSA_22TransformInputIteratorIb7NonZeroIiEPilEENS0_5tupleIJPlS6_EEENSJ_IJSD_SD_EEES6_SK_JS6_EEE10hipError_tPvRmT3_T4_T5_T6_T7_T9_mT8_P12ihipStream_tbDpT10_ENKUlT_T0_E_clISt17integral_constantIbLb1EES16_EEDaS11_S12_EUlS11_E_NS1_11comp_targetILNS1_3genE3ELNS1_11target_archE908ELNS1_3gpuE7ELNS1_3repE0EEENS1_30default_config_static_selectorELNS0_4arch9wavefront6targetE0EEEvT1_
	.p2align	8
	.type	_ZN7rocprim17ROCPRIM_400000_NS6detail17trampoline_kernelINS0_14default_configENS1_25partition_config_selectorILNS1_17partition_subalgoE5ElNS0_10empty_typeEbEEZZNS1_14partition_implILS5_5ELb0ES3_mN6hipcub16HIPCUB_304000_NS21CountingInputIteratorIllEEPS6_NSA_22TransformInputIteratorIb7NonZeroIiEPilEENS0_5tupleIJPlS6_EEENSJ_IJSD_SD_EEES6_SK_JS6_EEE10hipError_tPvRmT3_T4_T5_T6_T7_T9_mT8_P12ihipStream_tbDpT10_ENKUlT_T0_E_clISt17integral_constantIbLb1EES16_EEDaS11_S12_EUlS11_E_NS1_11comp_targetILNS1_3genE3ELNS1_11target_archE908ELNS1_3gpuE7ELNS1_3repE0EEENS1_30default_config_static_selectorELNS0_4arch9wavefront6targetE0EEEvT1_,@function
_ZN7rocprim17ROCPRIM_400000_NS6detail17trampoline_kernelINS0_14default_configENS1_25partition_config_selectorILNS1_17partition_subalgoE5ElNS0_10empty_typeEbEEZZNS1_14partition_implILS5_5ELb0ES3_mN6hipcub16HIPCUB_304000_NS21CountingInputIteratorIllEEPS6_NSA_22TransformInputIteratorIb7NonZeroIiEPilEENS0_5tupleIJPlS6_EEENSJ_IJSD_SD_EEES6_SK_JS6_EEE10hipError_tPvRmT3_T4_T5_T6_T7_T9_mT8_P12ihipStream_tbDpT10_ENKUlT_T0_E_clISt17integral_constantIbLb1EES16_EEDaS11_S12_EUlS11_E_NS1_11comp_targetILNS1_3genE3ELNS1_11target_archE908ELNS1_3gpuE7ELNS1_3repE0EEENS1_30default_config_static_selectorELNS0_4arch9wavefront6targetE0EEEvT1_: ; @_ZN7rocprim17ROCPRIM_400000_NS6detail17trampoline_kernelINS0_14default_configENS1_25partition_config_selectorILNS1_17partition_subalgoE5ElNS0_10empty_typeEbEEZZNS1_14partition_implILS5_5ELb0ES3_mN6hipcub16HIPCUB_304000_NS21CountingInputIteratorIllEEPS6_NSA_22TransformInputIteratorIb7NonZeroIiEPilEENS0_5tupleIJPlS6_EEENSJ_IJSD_SD_EEES6_SK_JS6_EEE10hipError_tPvRmT3_T4_T5_T6_T7_T9_mT8_P12ihipStream_tbDpT10_ENKUlT_T0_E_clISt17integral_constantIbLb1EES16_EEDaS11_S12_EUlS11_E_NS1_11comp_targetILNS1_3genE3ELNS1_11target_archE908ELNS1_3gpuE7ELNS1_3repE0EEENS1_30default_config_static_selectorELNS0_4arch9wavefront6targetE0EEEvT1_
; %bb.0:
	.section	.rodata,"a",@progbits
	.p2align	6, 0x0
	.amdhsa_kernel _ZN7rocprim17ROCPRIM_400000_NS6detail17trampoline_kernelINS0_14default_configENS1_25partition_config_selectorILNS1_17partition_subalgoE5ElNS0_10empty_typeEbEEZZNS1_14partition_implILS5_5ELb0ES3_mN6hipcub16HIPCUB_304000_NS21CountingInputIteratorIllEEPS6_NSA_22TransformInputIteratorIb7NonZeroIiEPilEENS0_5tupleIJPlS6_EEENSJ_IJSD_SD_EEES6_SK_JS6_EEE10hipError_tPvRmT3_T4_T5_T6_T7_T9_mT8_P12ihipStream_tbDpT10_ENKUlT_T0_E_clISt17integral_constantIbLb1EES16_EEDaS11_S12_EUlS11_E_NS1_11comp_targetILNS1_3genE3ELNS1_11target_archE908ELNS1_3gpuE7ELNS1_3repE0EEENS1_30default_config_static_selectorELNS0_4arch9wavefront6targetE0EEEvT1_
		.amdhsa_group_segment_fixed_size 0
		.amdhsa_private_segment_fixed_size 0
		.amdhsa_kernarg_size 136
		.amdhsa_user_sgpr_count 15
		.amdhsa_user_sgpr_dispatch_ptr 0
		.amdhsa_user_sgpr_queue_ptr 0
		.amdhsa_user_sgpr_kernarg_segment_ptr 1
		.amdhsa_user_sgpr_dispatch_id 0
		.amdhsa_user_sgpr_private_segment_size 0
		.amdhsa_wavefront_size32 1
		.amdhsa_uses_dynamic_stack 0
		.amdhsa_enable_private_segment 0
		.amdhsa_system_sgpr_workgroup_id_x 1
		.amdhsa_system_sgpr_workgroup_id_y 0
		.amdhsa_system_sgpr_workgroup_id_z 0
		.amdhsa_system_sgpr_workgroup_info 0
		.amdhsa_system_vgpr_workitem_id 0
		.amdhsa_next_free_vgpr 1
		.amdhsa_next_free_sgpr 1
		.amdhsa_reserve_vcc 0
		.amdhsa_float_round_mode_32 0
		.amdhsa_float_round_mode_16_64 0
		.amdhsa_float_denorm_mode_32 3
		.amdhsa_float_denorm_mode_16_64 3
		.amdhsa_dx10_clamp 1
		.amdhsa_ieee_mode 1
		.amdhsa_fp16_overflow 0
		.amdhsa_workgroup_processor_mode 1
		.amdhsa_memory_ordered 1
		.amdhsa_forward_progress 0
		.amdhsa_shared_vgpr_count 0
		.amdhsa_exception_fp_ieee_invalid_op 0
		.amdhsa_exception_fp_denorm_src 0
		.amdhsa_exception_fp_ieee_div_zero 0
		.amdhsa_exception_fp_ieee_overflow 0
		.amdhsa_exception_fp_ieee_underflow 0
		.amdhsa_exception_fp_ieee_inexact 0
		.amdhsa_exception_int_div_zero 0
	.end_amdhsa_kernel
	.section	.text._ZN7rocprim17ROCPRIM_400000_NS6detail17trampoline_kernelINS0_14default_configENS1_25partition_config_selectorILNS1_17partition_subalgoE5ElNS0_10empty_typeEbEEZZNS1_14partition_implILS5_5ELb0ES3_mN6hipcub16HIPCUB_304000_NS21CountingInputIteratorIllEEPS6_NSA_22TransformInputIteratorIb7NonZeroIiEPilEENS0_5tupleIJPlS6_EEENSJ_IJSD_SD_EEES6_SK_JS6_EEE10hipError_tPvRmT3_T4_T5_T6_T7_T9_mT8_P12ihipStream_tbDpT10_ENKUlT_T0_E_clISt17integral_constantIbLb1EES16_EEDaS11_S12_EUlS11_E_NS1_11comp_targetILNS1_3genE3ELNS1_11target_archE908ELNS1_3gpuE7ELNS1_3repE0EEENS1_30default_config_static_selectorELNS0_4arch9wavefront6targetE0EEEvT1_,"axG",@progbits,_ZN7rocprim17ROCPRIM_400000_NS6detail17trampoline_kernelINS0_14default_configENS1_25partition_config_selectorILNS1_17partition_subalgoE5ElNS0_10empty_typeEbEEZZNS1_14partition_implILS5_5ELb0ES3_mN6hipcub16HIPCUB_304000_NS21CountingInputIteratorIllEEPS6_NSA_22TransformInputIteratorIb7NonZeroIiEPilEENS0_5tupleIJPlS6_EEENSJ_IJSD_SD_EEES6_SK_JS6_EEE10hipError_tPvRmT3_T4_T5_T6_T7_T9_mT8_P12ihipStream_tbDpT10_ENKUlT_T0_E_clISt17integral_constantIbLb1EES16_EEDaS11_S12_EUlS11_E_NS1_11comp_targetILNS1_3genE3ELNS1_11target_archE908ELNS1_3gpuE7ELNS1_3repE0EEENS1_30default_config_static_selectorELNS0_4arch9wavefront6targetE0EEEvT1_,comdat
.Lfunc_end196:
	.size	_ZN7rocprim17ROCPRIM_400000_NS6detail17trampoline_kernelINS0_14default_configENS1_25partition_config_selectorILNS1_17partition_subalgoE5ElNS0_10empty_typeEbEEZZNS1_14partition_implILS5_5ELb0ES3_mN6hipcub16HIPCUB_304000_NS21CountingInputIteratorIllEEPS6_NSA_22TransformInputIteratorIb7NonZeroIiEPilEENS0_5tupleIJPlS6_EEENSJ_IJSD_SD_EEES6_SK_JS6_EEE10hipError_tPvRmT3_T4_T5_T6_T7_T9_mT8_P12ihipStream_tbDpT10_ENKUlT_T0_E_clISt17integral_constantIbLb1EES16_EEDaS11_S12_EUlS11_E_NS1_11comp_targetILNS1_3genE3ELNS1_11target_archE908ELNS1_3gpuE7ELNS1_3repE0EEENS1_30default_config_static_selectorELNS0_4arch9wavefront6targetE0EEEvT1_, .Lfunc_end196-_ZN7rocprim17ROCPRIM_400000_NS6detail17trampoline_kernelINS0_14default_configENS1_25partition_config_selectorILNS1_17partition_subalgoE5ElNS0_10empty_typeEbEEZZNS1_14partition_implILS5_5ELb0ES3_mN6hipcub16HIPCUB_304000_NS21CountingInputIteratorIllEEPS6_NSA_22TransformInputIteratorIb7NonZeroIiEPilEENS0_5tupleIJPlS6_EEENSJ_IJSD_SD_EEES6_SK_JS6_EEE10hipError_tPvRmT3_T4_T5_T6_T7_T9_mT8_P12ihipStream_tbDpT10_ENKUlT_T0_E_clISt17integral_constantIbLb1EES16_EEDaS11_S12_EUlS11_E_NS1_11comp_targetILNS1_3genE3ELNS1_11target_archE908ELNS1_3gpuE7ELNS1_3repE0EEENS1_30default_config_static_selectorELNS0_4arch9wavefront6targetE0EEEvT1_
                                        ; -- End function
	.section	.AMDGPU.csdata,"",@progbits
; Kernel info:
; codeLenInByte = 0
; NumSgprs: 0
; NumVgprs: 0
; ScratchSize: 0
; MemoryBound: 0
; FloatMode: 240
; IeeeMode: 1
; LDSByteSize: 0 bytes/workgroup (compile time only)
; SGPRBlocks: 0
; VGPRBlocks: 0
; NumSGPRsForWavesPerEU: 1
; NumVGPRsForWavesPerEU: 1
; Occupancy: 16
; WaveLimiterHint : 0
; COMPUTE_PGM_RSRC2:SCRATCH_EN: 0
; COMPUTE_PGM_RSRC2:USER_SGPR: 15
; COMPUTE_PGM_RSRC2:TRAP_HANDLER: 0
; COMPUTE_PGM_RSRC2:TGID_X_EN: 1
; COMPUTE_PGM_RSRC2:TGID_Y_EN: 0
; COMPUTE_PGM_RSRC2:TGID_Z_EN: 0
; COMPUTE_PGM_RSRC2:TIDIG_COMP_CNT: 0
	.section	.text._ZN7rocprim17ROCPRIM_400000_NS6detail17trampoline_kernelINS0_14default_configENS1_25partition_config_selectorILNS1_17partition_subalgoE5ElNS0_10empty_typeEbEEZZNS1_14partition_implILS5_5ELb0ES3_mN6hipcub16HIPCUB_304000_NS21CountingInputIteratorIllEEPS6_NSA_22TransformInputIteratorIb7NonZeroIiEPilEENS0_5tupleIJPlS6_EEENSJ_IJSD_SD_EEES6_SK_JS6_EEE10hipError_tPvRmT3_T4_T5_T6_T7_T9_mT8_P12ihipStream_tbDpT10_ENKUlT_T0_E_clISt17integral_constantIbLb1EES16_EEDaS11_S12_EUlS11_E_NS1_11comp_targetILNS1_3genE2ELNS1_11target_archE906ELNS1_3gpuE6ELNS1_3repE0EEENS1_30default_config_static_selectorELNS0_4arch9wavefront6targetE0EEEvT1_,"axG",@progbits,_ZN7rocprim17ROCPRIM_400000_NS6detail17trampoline_kernelINS0_14default_configENS1_25partition_config_selectorILNS1_17partition_subalgoE5ElNS0_10empty_typeEbEEZZNS1_14partition_implILS5_5ELb0ES3_mN6hipcub16HIPCUB_304000_NS21CountingInputIteratorIllEEPS6_NSA_22TransformInputIteratorIb7NonZeroIiEPilEENS0_5tupleIJPlS6_EEENSJ_IJSD_SD_EEES6_SK_JS6_EEE10hipError_tPvRmT3_T4_T5_T6_T7_T9_mT8_P12ihipStream_tbDpT10_ENKUlT_T0_E_clISt17integral_constantIbLb1EES16_EEDaS11_S12_EUlS11_E_NS1_11comp_targetILNS1_3genE2ELNS1_11target_archE906ELNS1_3gpuE6ELNS1_3repE0EEENS1_30default_config_static_selectorELNS0_4arch9wavefront6targetE0EEEvT1_,comdat
	.protected	_ZN7rocprim17ROCPRIM_400000_NS6detail17trampoline_kernelINS0_14default_configENS1_25partition_config_selectorILNS1_17partition_subalgoE5ElNS0_10empty_typeEbEEZZNS1_14partition_implILS5_5ELb0ES3_mN6hipcub16HIPCUB_304000_NS21CountingInputIteratorIllEEPS6_NSA_22TransformInputIteratorIb7NonZeroIiEPilEENS0_5tupleIJPlS6_EEENSJ_IJSD_SD_EEES6_SK_JS6_EEE10hipError_tPvRmT3_T4_T5_T6_T7_T9_mT8_P12ihipStream_tbDpT10_ENKUlT_T0_E_clISt17integral_constantIbLb1EES16_EEDaS11_S12_EUlS11_E_NS1_11comp_targetILNS1_3genE2ELNS1_11target_archE906ELNS1_3gpuE6ELNS1_3repE0EEENS1_30default_config_static_selectorELNS0_4arch9wavefront6targetE0EEEvT1_ ; -- Begin function _ZN7rocprim17ROCPRIM_400000_NS6detail17trampoline_kernelINS0_14default_configENS1_25partition_config_selectorILNS1_17partition_subalgoE5ElNS0_10empty_typeEbEEZZNS1_14partition_implILS5_5ELb0ES3_mN6hipcub16HIPCUB_304000_NS21CountingInputIteratorIllEEPS6_NSA_22TransformInputIteratorIb7NonZeroIiEPilEENS0_5tupleIJPlS6_EEENSJ_IJSD_SD_EEES6_SK_JS6_EEE10hipError_tPvRmT3_T4_T5_T6_T7_T9_mT8_P12ihipStream_tbDpT10_ENKUlT_T0_E_clISt17integral_constantIbLb1EES16_EEDaS11_S12_EUlS11_E_NS1_11comp_targetILNS1_3genE2ELNS1_11target_archE906ELNS1_3gpuE6ELNS1_3repE0EEENS1_30default_config_static_selectorELNS0_4arch9wavefront6targetE0EEEvT1_
	.globl	_ZN7rocprim17ROCPRIM_400000_NS6detail17trampoline_kernelINS0_14default_configENS1_25partition_config_selectorILNS1_17partition_subalgoE5ElNS0_10empty_typeEbEEZZNS1_14partition_implILS5_5ELb0ES3_mN6hipcub16HIPCUB_304000_NS21CountingInputIteratorIllEEPS6_NSA_22TransformInputIteratorIb7NonZeroIiEPilEENS0_5tupleIJPlS6_EEENSJ_IJSD_SD_EEES6_SK_JS6_EEE10hipError_tPvRmT3_T4_T5_T6_T7_T9_mT8_P12ihipStream_tbDpT10_ENKUlT_T0_E_clISt17integral_constantIbLb1EES16_EEDaS11_S12_EUlS11_E_NS1_11comp_targetILNS1_3genE2ELNS1_11target_archE906ELNS1_3gpuE6ELNS1_3repE0EEENS1_30default_config_static_selectorELNS0_4arch9wavefront6targetE0EEEvT1_
	.p2align	8
	.type	_ZN7rocprim17ROCPRIM_400000_NS6detail17trampoline_kernelINS0_14default_configENS1_25partition_config_selectorILNS1_17partition_subalgoE5ElNS0_10empty_typeEbEEZZNS1_14partition_implILS5_5ELb0ES3_mN6hipcub16HIPCUB_304000_NS21CountingInputIteratorIllEEPS6_NSA_22TransformInputIteratorIb7NonZeroIiEPilEENS0_5tupleIJPlS6_EEENSJ_IJSD_SD_EEES6_SK_JS6_EEE10hipError_tPvRmT3_T4_T5_T6_T7_T9_mT8_P12ihipStream_tbDpT10_ENKUlT_T0_E_clISt17integral_constantIbLb1EES16_EEDaS11_S12_EUlS11_E_NS1_11comp_targetILNS1_3genE2ELNS1_11target_archE906ELNS1_3gpuE6ELNS1_3repE0EEENS1_30default_config_static_selectorELNS0_4arch9wavefront6targetE0EEEvT1_,@function
_ZN7rocprim17ROCPRIM_400000_NS6detail17trampoline_kernelINS0_14default_configENS1_25partition_config_selectorILNS1_17partition_subalgoE5ElNS0_10empty_typeEbEEZZNS1_14partition_implILS5_5ELb0ES3_mN6hipcub16HIPCUB_304000_NS21CountingInputIteratorIllEEPS6_NSA_22TransformInputIteratorIb7NonZeroIiEPilEENS0_5tupleIJPlS6_EEENSJ_IJSD_SD_EEES6_SK_JS6_EEE10hipError_tPvRmT3_T4_T5_T6_T7_T9_mT8_P12ihipStream_tbDpT10_ENKUlT_T0_E_clISt17integral_constantIbLb1EES16_EEDaS11_S12_EUlS11_E_NS1_11comp_targetILNS1_3genE2ELNS1_11target_archE906ELNS1_3gpuE6ELNS1_3repE0EEENS1_30default_config_static_selectorELNS0_4arch9wavefront6targetE0EEEvT1_: ; @_ZN7rocprim17ROCPRIM_400000_NS6detail17trampoline_kernelINS0_14default_configENS1_25partition_config_selectorILNS1_17partition_subalgoE5ElNS0_10empty_typeEbEEZZNS1_14partition_implILS5_5ELb0ES3_mN6hipcub16HIPCUB_304000_NS21CountingInputIteratorIllEEPS6_NSA_22TransformInputIteratorIb7NonZeroIiEPilEENS0_5tupleIJPlS6_EEENSJ_IJSD_SD_EEES6_SK_JS6_EEE10hipError_tPvRmT3_T4_T5_T6_T7_T9_mT8_P12ihipStream_tbDpT10_ENKUlT_T0_E_clISt17integral_constantIbLb1EES16_EEDaS11_S12_EUlS11_E_NS1_11comp_targetILNS1_3genE2ELNS1_11target_archE906ELNS1_3gpuE6ELNS1_3repE0EEENS1_30default_config_static_selectorELNS0_4arch9wavefront6targetE0EEEvT1_
; %bb.0:
	.section	.rodata,"a",@progbits
	.p2align	6, 0x0
	.amdhsa_kernel _ZN7rocprim17ROCPRIM_400000_NS6detail17trampoline_kernelINS0_14default_configENS1_25partition_config_selectorILNS1_17partition_subalgoE5ElNS0_10empty_typeEbEEZZNS1_14partition_implILS5_5ELb0ES3_mN6hipcub16HIPCUB_304000_NS21CountingInputIteratorIllEEPS6_NSA_22TransformInputIteratorIb7NonZeroIiEPilEENS0_5tupleIJPlS6_EEENSJ_IJSD_SD_EEES6_SK_JS6_EEE10hipError_tPvRmT3_T4_T5_T6_T7_T9_mT8_P12ihipStream_tbDpT10_ENKUlT_T0_E_clISt17integral_constantIbLb1EES16_EEDaS11_S12_EUlS11_E_NS1_11comp_targetILNS1_3genE2ELNS1_11target_archE906ELNS1_3gpuE6ELNS1_3repE0EEENS1_30default_config_static_selectorELNS0_4arch9wavefront6targetE0EEEvT1_
		.amdhsa_group_segment_fixed_size 0
		.amdhsa_private_segment_fixed_size 0
		.amdhsa_kernarg_size 136
		.amdhsa_user_sgpr_count 15
		.amdhsa_user_sgpr_dispatch_ptr 0
		.amdhsa_user_sgpr_queue_ptr 0
		.amdhsa_user_sgpr_kernarg_segment_ptr 1
		.amdhsa_user_sgpr_dispatch_id 0
		.amdhsa_user_sgpr_private_segment_size 0
		.amdhsa_wavefront_size32 1
		.amdhsa_uses_dynamic_stack 0
		.amdhsa_enable_private_segment 0
		.amdhsa_system_sgpr_workgroup_id_x 1
		.amdhsa_system_sgpr_workgroup_id_y 0
		.amdhsa_system_sgpr_workgroup_id_z 0
		.amdhsa_system_sgpr_workgroup_info 0
		.amdhsa_system_vgpr_workitem_id 0
		.amdhsa_next_free_vgpr 1
		.amdhsa_next_free_sgpr 1
		.amdhsa_reserve_vcc 0
		.amdhsa_float_round_mode_32 0
		.amdhsa_float_round_mode_16_64 0
		.amdhsa_float_denorm_mode_32 3
		.amdhsa_float_denorm_mode_16_64 3
		.amdhsa_dx10_clamp 1
		.amdhsa_ieee_mode 1
		.amdhsa_fp16_overflow 0
		.amdhsa_workgroup_processor_mode 1
		.amdhsa_memory_ordered 1
		.amdhsa_forward_progress 0
		.amdhsa_shared_vgpr_count 0
		.amdhsa_exception_fp_ieee_invalid_op 0
		.amdhsa_exception_fp_denorm_src 0
		.amdhsa_exception_fp_ieee_div_zero 0
		.amdhsa_exception_fp_ieee_overflow 0
		.amdhsa_exception_fp_ieee_underflow 0
		.amdhsa_exception_fp_ieee_inexact 0
		.amdhsa_exception_int_div_zero 0
	.end_amdhsa_kernel
	.section	.text._ZN7rocprim17ROCPRIM_400000_NS6detail17trampoline_kernelINS0_14default_configENS1_25partition_config_selectorILNS1_17partition_subalgoE5ElNS0_10empty_typeEbEEZZNS1_14partition_implILS5_5ELb0ES3_mN6hipcub16HIPCUB_304000_NS21CountingInputIteratorIllEEPS6_NSA_22TransformInputIteratorIb7NonZeroIiEPilEENS0_5tupleIJPlS6_EEENSJ_IJSD_SD_EEES6_SK_JS6_EEE10hipError_tPvRmT3_T4_T5_T6_T7_T9_mT8_P12ihipStream_tbDpT10_ENKUlT_T0_E_clISt17integral_constantIbLb1EES16_EEDaS11_S12_EUlS11_E_NS1_11comp_targetILNS1_3genE2ELNS1_11target_archE906ELNS1_3gpuE6ELNS1_3repE0EEENS1_30default_config_static_selectorELNS0_4arch9wavefront6targetE0EEEvT1_,"axG",@progbits,_ZN7rocprim17ROCPRIM_400000_NS6detail17trampoline_kernelINS0_14default_configENS1_25partition_config_selectorILNS1_17partition_subalgoE5ElNS0_10empty_typeEbEEZZNS1_14partition_implILS5_5ELb0ES3_mN6hipcub16HIPCUB_304000_NS21CountingInputIteratorIllEEPS6_NSA_22TransformInputIteratorIb7NonZeroIiEPilEENS0_5tupleIJPlS6_EEENSJ_IJSD_SD_EEES6_SK_JS6_EEE10hipError_tPvRmT3_T4_T5_T6_T7_T9_mT8_P12ihipStream_tbDpT10_ENKUlT_T0_E_clISt17integral_constantIbLb1EES16_EEDaS11_S12_EUlS11_E_NS1_11comp_targetILNS1_3genE2ELNS1_11target_archE906ELNS1_3gpuE6ELNS1_3repE0EEENS1_30default_config_static_selectorELNS0_4arch9wavefront6targetE0EEEvT1_,comdat
.Lfunc_end197:
	.size	_ZN7rocprim17ROCPRIM_400000_NS6detail17trampoline_kernelINS0_14default_configENS1_25partition_config_selectorILNS1_17partition_subalgoE5ElNS0_10empty_typeEbEEZZNS1_14partition_implILS5_5ELb0ES3_mN6hipcub16HIPCUB_304000_NS21CountingInputIteratorIllEEPS6_NSA_22TransformInputIteratorIb7NonZeroIiEPilEENS0_5tupleIJPlS6_EEENSJ_IJSD_SD_EEES6_SK_JS6_EEE10hipError_tPvRmT3_T4_T5_T6_T7_T9_mT8_P12ihipStream_tbDpT10_ENKUlT_T0_E_clISt17integral_constantIbLb1EES16_EEDaS11_S12_EUlS11_E_NS1_11comp_targetILNS1_3genE2ELNS1_11target_archE906ELNS1_3gpuE6ELNS1_3repE0EEENS1_30default_config_static_selectorELNS0_4arch9wavefront6targetE0EEEvT1_, .Lfunc_end197-_ZN7rocprim17ROCPRIM_400000_NS6detail17trampoline_kernelINS0_14default_configENS1_25partition_config_selectorILNS1_17partition_subalgoE5ElNS0_10empty_typeEbEEZZNS1_14partition_implILS5_5ELb0ES3_mN6hipcub16HIPCUB_304000_NS21CountingInputIteratorIllEEPS6_NSA_22TransformInputIteratorIb7NonZeroIiEPilEENS0_5tupleIJPlS6_EEENSJ_IJSD_SD_EEES6_SK_JS6_EEE10hipError_tPvRmT3_T4_T5_T6_T7_T9_mT8_P12ihipStream_tbDpT10_ENKUlT_T0_E_clISt17integral_constantIbLb1EES16_EEDaS11_S12_EUlS11_E_NS1_11comp_targetILNS1_3genE2ELNS1_11target_archE906ELNS1_3gpuE6ELNS1_3repE0EEENS1_30default_config_static_selectorELNS0_4arch9wavefront6targetE0EEEvT1_
                                        ; -- End function
	.section	.AMDGPU.csdata,"",@progbits
; Kernel info:
; codeLenInByte = 0
; NumSgprs: 0
; NumVgprs: 0
; ScratchSize: 0
; MemoryBound: 0
; FloatMode: 240
; IeeeMode: 1
; LDSByteSize: 0 bytes/workgroup (compile time only)
; SGPRBlocks: 0
; VGPRBlocks: 0
; NumSGPRsForWavesPerEU: 1
; NumVGPRsForWavesPerEU: 1
; Occupancy: 16
; WaveLimiterHint : 0
; COMPUTE_PGM_RSRC2:SCRATCH_EN: 0
; COMPUTE_PGM_RSRC2:USER_SGPR: 15
; COMPUTE_PGM_RSRC2:TRAP_HANDLER: 0
; COMPUTE_PGM_RSRC2:TGID_X_EN: 1
; COMPUTE_PGM_RSRC2:TGID_Y_EN: 0
; COMPUTE_PGM_RSRC2:TGID_Z_EN: 0
; COMPUTE_PGM_RSRC2:TIDIG_COMP_CNT: 0
	.section	.text._ZN7rocprim17ROCPRIM_400000_NS6detail17trampoline_kernelINS0_14default_configENS1_25partition_config_selectorILNS1_17partition_subalgoE5ElNS0_10empty_typeEbEEZZNS1_14partition_implILS5_5ELb0ES3_mN6hipcub16HIPCUB_304000_NS21CountingInputIteratorIllEEPS6_NSA_22TransformInputIteratorIb7NonZeroIiEPilEENS0_5tupleIJPlS6_EEENSJ_IJSD_SD_EEES6_SK_JS6_EEE10hipError_tPvRmT3_T4_T5_T6_T7_T9_mT8_P12ihipStream_tbDpT10_ENKUlT_T0_E_clISt17integral_constantIbLb1EES16_EEDaS11_S12_EUlS11_E_NS1_11comp_targetILNS1_3genE10ELNS1_11target_archE1200ELNS1_3gpuE4ELNS1_3repE0EEENS1_30default_config_static_selectorELNS0_4arch9wavefront6targetE0EEEvT1_,"axG",@progbits,_ZN7rocprim17ROCPRIM_400000_NS6detail17trampoline_kernelINS0_14default_configENS1_25partition_config_selectorILNS1_17partition_subalgoE5ElNS0_10empty_typeEbEEZZNS1_14partition_implILS5_5ELb0ES3_mN6hipcub16HIPCUB_304000_NS21CountingInputIteratorIllEEPS6_NSA_22TransformInputIteratorIb7NonZeroIiEPilEENS0_5tupleIJPlS6_EEENSJ_IJSD_SD_EEES6_SK_JS6_EEE10hipError_tPvRmT3_T4_T5_T6_T7_T9_mT8_P12ihipStream_tbDpT10_ENKUlT_T0_E_clISt17integral_constantIbLb1EES16_EEDaS11_S12_EUlS11_E_NS1_11comp_targetILNS1_3genE10ELNS1_11target_archE1200ELNS1_3gpuE4ELNS1_3repE0EEENS1_30default_config_static_selectorELNS0_4arch9wavefront6targetE0EEEvT1_,comdat
	.protected	_ZN7rocprim17ROCPRIM_400000_NS6detail17trampoline_kernelINS0_14default_configENS1_25partition_config_selectorILNS1_17partition_subalgoE5ElNS0_10empty_typeEbEEZZNS1_14partition_implILS5_5ELb0ES3_mN6hipcub16HIPCUB_304000_NS21CountingInputIteratorIllEEPS6_NSA_22TransformInputIteratorIb7NonZeroIiEPilEENS0_5tupleIJPlS6_EEENSJ_IJSD_SD_EEES6_SK_JS6_EEE10hipError_tPvRmT3_T4_T5_T6_T7_T9_mT8_P12ihipStream_tbDpT10_ENKUlT_T0_E_clISt17integral_constantIbLb1EES16_EEDaS11_S12_EUlS11_E_NS1_11comp_targetILNS1_3genE10ELNS1_11target_archE1200ELNS1_3gpuE4ELNS1_3repE0EEENS1_30default_config_static_selectorELNS0_4arch9wavefront6targetE0EEEvT1_ ; -- Begin function _ZN7rocprim17ROCPRIM_400000_NS6detail17trampoline_kernelINS0_14default_configENS1_25partition_config_selectorILNS1_17partition_subalgoE5ElNS0_10empty_typeEbEEZZNS1_14partition_implILS5_5ELb0ES3_mN6hipcub16HIPCUB_304000_NS21CountingInputIteratorIllEEPS6_NSA_22TransformInputIteratorIb7NonZeroIiEPilEENS0_5tupleIJPlS6_EEENSJ_IJSD_SD_EEES6_SK_JS6_EEE10hipError_tPvRmT3_T4_T5_T6_T7_T9_mT8_P12ihipStream_tbDpT10_ENKUlT_T0_E_clISt17integral_constantIbLb1EES16_EEDaS11_S12_EUlS11_E_NS1_11comp_targetILNS1_3genE10ELNS1_11target_archE1200ELNS1_3gpuE4ELNS1_3repE0EEENS1_30default_config_static_selectorELNS0_4arch9wavefront6targetE0EEEvT1_
	.globl	_ZN7rocprim17ROCPRIM_400000_NS6detail17trampoline_kernelINS0_14default_configENS1_25partition_config_selectorILNS1_17partition_subalgoE5ElNS0_10empty_typeEbEEZZNS1_14partition_implILS5_5ELb0ES3_mN6hipcub16HIPCUB_304000_NS21CountingInputIteratorIllEEPS6_NSA_22TransformInputIteratorIb7NonZeroIiEPilEENS0_5tupleIJPlS6_EEENSJ_IJSD_SD_EEES6_SK_JS6_EEE10hipError_tPvRmT3_T4_T5_T6_T7_T9_mT8_P12ihipStream_tbDpT10_ENKUlT_T0_E_clISt17integral_constantIbLb1EES16_EEDaS11_S12_EUlS11_E_NS1_11comp_targetILNS1_3genE10ELNS1_11target_archE1200ELNS1_3gpuE4ELNS1_3repE0EEENS1_30default_config_static_selectorELNS0_4arch9wavefront6targetE0EEEvT1_
	.p2align	8
	.type	_ZN7rocprim17ROCPRIM_400000_NS6detail17trampoline_kernelINS0_14default_configENS1_25partition_config_selectorILNS1_17partition_subalgoE5ElNS0_10empty_typeEbEEZZNS1_14partition_implILS5_5ELb0ES3_mN6hipcub16HIPCUB_304000_NS21CountingInputIteratorIllEEPS6_NSA_22TransformInputIteratorIb7NonZeroIiEPilEENS0_5tupleIJPlS6_EEENSJ_IJSD_SD_EEES6_SK_JS6_EEE10hipError_tPvRmT3_T4_T5_T6_T7_T9_mT8_P12ihipStream_tbDpT10_ENKUlT_T0_E_clISt17integral_constantIbLb1EES16_EEDaS11_S12_EUlS11_E_NS1_11comp_targetILNS1_3genE10ELNS1_11target_archE1200ELNS1_3gpuE4ELNS1_3repE0EEENS1_30default_config_static_selectorELNS0_4arch9wavefront6targetE0EEEvT1_,@function
_ZN7rocprim17ROCPRIM_400000_NS6detail17trampoline_kernelINS0_14default_configENS1_25partition_config_selectorILNS1_17partition_subalgoE5ElNS0_10empty_typeEbEEZZNS1_14partition_implILS5_5ELb0ES3_mN6hipcub16HIPCUB_304000_NS21CountingInputIteratorIllEEPS6_NSA_22TransformInputIteratorIb7NonZeroIiEPilEENS0_5tupleIJPlS6_EEENSJ_IJSD_SD_EEES6_SK_JS6_EEE10hipError_tPvRmT3_T4_T5_T6_T7_T9_mT8_P12ihipStream_tbDpT10_ENKUlT_T0_E_clISt17integral_constantIbLb1EES16_EEDaS11_S12_EUlS11_E_NS1_11comp_targetILNS1_3genE10ELNS1_11target_archE1200ELNS1_3gpuE4ELNS1_3repE0EEENS1_30default_config_static_selectorELNS0_4arch9wavefront6targetE0EEEvT1_: ; @_ZN7rocprim17ROCPRIM_400000_NS6detail17trampoline_kernelINS0_14default_configENS1_25partition_config_selectorILNS1_17partition_subalgoE5ElNS0_10empty_typeEbEEZZNS1_14partition_implILS5_5ELb0ES3_mN6hipcub16HIPCUB_304000_NS21CountingInputIteratorIllEEPS6_NSA_22TransformInputIteratorIb7NonZeroIiEPilEENS0_5tupleIJPlS6_EEENSJ_IJSD_SD_EEES6_SK_JS6_EEE10hipError_tPvRmT3_T4_T5_T6_T7_T9_mT8_P12ihipStream_tbDpT10_ENKUlT_T0_E_clISt17integral_constantIbLb1EES16_EEDaS11_S12_EUlS11_E_NS1_11comp_targetILNS1_3genE10ELNS1_11target_archE1200ELNS1_3gpuE4ELNS1_3repE0EEENS1_30default_config_static_selectorELNS0_4arch9wavefront6targetE0EEEvT1_
; %bb.0:
	.section	.rodata,"a",@progbits
	.p2align	6, 0x0
	.amdhsa_kernel _ZN7rocprim17ROCPRIM_400000_NS6detail17trampoline_kernelINS0_14default_configENS1_25partition_config_selectorILNS1_17partition_subalgoE5ElNS0_10empty_typeEbEEZZNS1_14partition_implILS5_5ELb0ES3_mN6hipcub16HIPCUB_304000_NS21CountingInputIteratorIllEEPS6_NSA_22TransformInputIteratorIb7NonZeroIiEPilEENS0_5tupleIJPlS6_EEENSJ_IJSD_SD_EEES6_SK_JS6_EEE10hipError_tPvRmT3_T4_T5_T6_T7_T9_mT8_P12ihipStream_tbDpT10_ENKUlT_T0_E_clISt17integral_constantIbLb1EES16_EEDaS11_S12_EUlS11_E_NS1_11comp_targetILNS1_3genE10ELNS1_11target_archE1200ELNS1_3gpuE4ELNS1_3repE0EEENS1_30default_config_static_selectorELNS0_4arch9wavefront6targetE0EEEvT1_
		.amdhsa_group_segment_fixed_size 0
		.amdhsa_private_segment_fixed_size 0
		.amdhsa_kernarg_size 136
		.amdhsa_user_sgpr_count 15
		.amdhsa_user_sgpr_dispatch_ptr 0
		.amdhsa_user_sgpr_queue_ptr 0
		.amdhsa_user_sgpr_kernarg_segment_ptr 1
		.amdhsa_user_sgpr_dispatch_id 0
		.amdhsa_user_sgpr_private_segment_size 0
		.amdhsa_wavefront_size32 1
		.amdhsa_uses_dynamic_stack 0
		.amdhsa_enable_private_segment 0
		.amdhsa_system_sgpr_workgroup_id_x 1
		.amdhsa_system_sgpr_workgroup_id_y 0
		.amdhsa_system_sgpr_workgroup_id_z 0
		.amdhsa_system_sgpr_workgroup_info 0
		.amdhsa_system_vgpr_workitem_id 0
		.amdhsa_next_free_vgpr 1
		.amdhsa_next_free_sgpr 1
		.amdhsa_reserve_vcc 0
		.amdhsa_float_round_mode_32 0
		.amdhsa_float_round_mode_16_64 0
		.amdhsa_float_denorm_mode_32 3
		.amdhsa_float_denorm_mode_16_64 3
		.amdhsa_dx10_clamp 1
		.amdhsa_ieee_mode 1
		.amdhsa_fp16_overflow 0
		.amdhsa_workgroup_processor_mode 1
		.amdhsa_memory_ordered 1
		.amdhsa_forward_progress 0
		.amdhsa_shared_vgpr_count 0
		.amdhsa_exception_fp_ieee_invalid_op 0
		.amdhsa_exception_fp_denorm_src 0
		.amdhsa_exception_fp_ieee_div_zero 0
		.amdhsa_exception_fp_ieee_overflow 0
		.amdhsa_exception_fp_ieee_underflow 0
		.amdhsa_exception_fp_ieee_inexact 0
		.amdhsa_exception_int_div_zero 0
	.end_amdhsa_kernel
	.section	.text._ZN7rocprim17ROCPRIM_400000_NS6detail17trampoline_kernelINS0_14default_configENS1_25partition_config_selectorILNS1_17partition_subalgoE5ElNS0_10empty_typeEbEEZZNS1_14partition_implILS5_5ELb0ES3_mN6hipcub16HIPCUB_304000_NS21CountingInputIteratorIllEEPS6_NSA_22TransformInputIteratorIb7NonZeroIiEPilEENS0_5tupleIJPlS6_EEENSJ_IJSD_SD_EEES6_SK_JS6_EEE10hipError_tPvRmT3_T4_T5_T6_T7_T9_mT8_P12ihipStream_tbDpT10_ENKUlT_T0_E_clISt17integral_constantIbLb1EES16_EEDaS11_S12_EUlS11_E_NS1_11comp_targetILNS1_3genE10ELNS1_11target_archE1200ELNS1_3gpuE4ELNS1_3repE0EEENS1_30default_config_static_selectorELNS0_4arch9wavefront6targetE0EEEvT1_,"axG",@progbits,_ZN7rocprim17ROCPRIM_400000_NS6detail17trampoline_kernelINS0_14default_configENS1_25partition_config_selectorILNS1_17partition_subalgoE5ElNS0_10empty_typeEbEEZZNS1_14partition_implILS5_5ELb0ES3_mN6hipcub16HIPCUB_304000_NS21CountingInputIteratorIllEEPS6_NSA_22TransformInputIteratorIb7NonZeroIiEPilEENS0_5tupleIJPlS6_EEENSJ_IJSD_SD_EEES6_SK_JS6_EEE10hipError_tPvRmT3_T4_T5_T6_T7_T9_mT8_P12ihipStream_tbDpT10_ENKUlT_T0_E_clISt17integral_constantIbLb1EES16_EEDaS11_S12_EUlS11_E_NS1_11comp_targetILNS1_3genE10ELNS1_11target_archE1200ELNS1_3gpuE4ELNS1_3repE0EEENS1_30default_config_static_selectorELNS0_4arch9wavefront6targetE0EEEvT1_,comdat
.Lfunc_end198:
	.size	_ZN7rocprim17ROCPRIM_400000_NS6detail17trampoline_kernelINS0_14default_configENS1_25partition_config_selectorILNS1_17partition_subalgoE5ElNS0_10empty_typeEbEEZZNS1_14partition_implILS5_5ELb0ES3_mN6hipcub16HIPCUB_304000_NS21CountingInputIteratorIllEEPS6_NSA_22TransformInputIteratorIb7NonZeroIiEPilEENS0_5tupleIJPlS6_EEENSJ_IJSD_SD_EEES6_SK_JS6_EEE10hipError_tPvRmT3_T4_T5_T6_T7_T9_mT8_P12ihipStream_tbDpT10_ENKUlT_T0_E_clISt17integral_constantIbLb1EES16_EEDaS11_S12_EUlS11_E_NS1_11comp_targetILNS1_3genE10ELNS1_11target_archE1200ELNS1_3gpuE4ELNS1_3repE0EEENS1_30default_config_static_selectorELNS0_4arch9wavefront6targetE0EEEvT1_, .Lfunc_end198-_ZN7rocprim17ROCPRIM_400000_NS6detail17trampoline_kernelINS0_14default_configENS1_25partition_config_selectorILNS1_17partition_subalgoE5ElNS0_10empty_typeEbEEZZNS1_14partition_implILS5_5ELb0ES3_mN6hipcub16HIPCUB_304000_NS21CountingInputIteratorIllEEPS6_NSA_22TransformInputIteratorIb7NonZeroIiEPilEENS0_5tupleIJPlS6_EEENSJ_IJSD_SD_EEES6_SK_JS6_EEE10hipError_tPvRmT3_T4_T5_T6_T7_T9_mT8_P12ihipStream_tbDpT10_ENKUlT_T0_E_clISt17integral_constantIbLb1EES16_EEDaS11_S12_EUlS11_E_NS1_11comp_targetILNS1_3genE10ELNS1_11target_archE1200ELNS1_3gpuE4ELNS1_3repE0EEENS1_30default_config_static_selectorELNS0_4arch9wavefront6targetE0EEEvT1_
                                        ; -- End function
	.section	.AMDGPU.csdata,"",@progbits
; Kernel info:
; codeLenInByte = 0
; NumSgprs: 0
; NumVgprs: 0
; ScratchSize: 0
; MemoryBound: 0
; FloatMode: 240
; IeeeMode: 1
; LDSByteSize: 0 bytes/workgroup (compile time only)
; SGPRBlocks: 0
; VGPRBlocks: 0
; NumSGPRsForWavesPerEU: 1
; NumVGPRsForWavesPerEU: 1
; Occupancy: 16
; WaveLimiterHint : 0
; COMPUTE_PGM_RSRC2:SCRATCH_EN: 0
; COMPUTE_PGM_RSRC2:USER_SGPR: 15
; COMPUTE_PGM_RSRC2:TRAP_HANDLER: 0
; COMPUTE_PGM_RSRC2:TGID_X_EN: 1
; COMPUTE_PGM_RSRC2:TGID_Y_EN: 0
; COMPUTE_PGM_RSRC2:TGID_Z_EN: 0
; COMPUTE_PGM_RSRC2:TIDIG_COMP_CNT: 0
	.section	.text._ZN7rocprim17ROCPRIM_400000_NS6detail17trampoline_kernelINS0_14default_configENS1_25partition_config_selectorILNS1_17partition_subalgoE5ElNS0_10empty_typeEbEEZZNS1_14partition_implILS5_5ELb0ES3_mN6hipcub16HIPCUB_304000_NS21CountingInputIteratorIllEEPS6_NSA_22TransformInputIteratorIb7NonZeroIiEPilEENS0_5tupleIJPlS6_EEENSJ_IJSD_SD_EEES6_SK_JS6_EEE10hipError_tPvRmT3_T4_T5_T6_T7_T9_mT8_P12ihipStream_tbDpT10_ENKUlT_T0_E_clISt17integral_constantIbLb1EES16_EEDaS11_S12_EUlS11_E_NS1_11comp_targetILNS1_3genE9ELNS1_11target_archE1100ELNS1_3gpuE3ELNS1_3repE0EEENS1_30default_config_static_selectorELNS0_4arch9wavefront6targetE0EEEvT1_,"axG",@progbits,_ZN7rocprim17ROCPRIM_400000_NS6detail17trampoline_kernelINS0_14default_configENS1_25partition_config_selectorILNS1_17partition_subalgoE5ElNS0_10empty_typeEbEEZZNS1_14partition_implILS5_5ELb0ES3_mN6hipcub16HIPCUB_304000_NS21CountingInputIteratorIllEEPS6_NSA_22TransformInputIteratorIb7NonZeroIiEPilEENS0_5tupleIJPlS6_EEENSJ_IJSD_SD_EEES6_SK_JS6_EEE10hipError_tPvRmT3_T4_T5_T6_T7_T9_mT8_P12ihipStream_tbDpT10_ENKUlT_T0_E_clISt17integral_constantIbLb1EES16_EEDaS11_S12_EUlS11_E_NS1_11comp_targetILNS1_3genE9ELNS1_11target_archE1100ELNS1_3gpuE3ELNS1_3repE0EEENS1_30default_config_static_selectorELNS0_4arch9wavefront6targetE0EEEvT1_,comdat
	.protected	_ZN7rocprim17ROCPRIM_400000_NS6detail17trampoline_kernelINS0_14default_configENS1_25partition_config_selectorILNS1_17partition_subalgoE5ElNS0_10empty_typeEbEEZZNS1_14partition_implILS5_5ELb0ES3_mN6hipcub16HIPCUB_304000_NS21CountingInputIteratorIllEEPS6_NSA_22TransformInputIteratorIb7NonZeroIiEPilEENS0_5tupleIJPlS6_EEENSJ_IJSD_SD_EEES6_SK_JS6_EEE10hipError_tPvRmT3_T4_T5_T6_T7_T9_mT8_P12ihipStream_tbDpT10_ENKUlT_T0_E_clISt17integral_constantIbLb1EES16_EEDaS11_S12_EUlS11_E_NS1_11comp_targetILNS1_3genE9ELNS1_11target_archE1100ELNS1_3gpuE3ELNS1_3repE0EEENS1_30default_config_static_selectorELNS0_4arch9wavefront6targetE0EEEvT1_ ; -- Begin function _ZN7rocprim17ROCPRIM_400000_NS6detail17trampoline_kernelINS0_14default_configENS1_25partition_config_selectorILNS1_17partition_subalgoE5ElNS0_10empty_typeEbEEZZNS1_14partition_implILS5_5ELb0ES3_mN6hipcub16HIPCUB_304000_NS21CountingInputIteratorIllEEPS6_NSA_22TransformInputIteratorIb7NonZeroIiEPilEENS0_5tupleIJPlS6_EEENSJ_IJSD_SD_EEES6_SK_JS6_EEE10hipError_tPvRmT3_T4_T5_T6_T7_T9_mT8_P12ihipStream_tbDpT10_ENKUlT_T0_E_clISt17integral_constantIbLb1EES16_EEDaS11_S12_EUlS11_E_NS1_11comp_targetILNS1_3genE9ELNS1_11target_archE1100ELNS1_3gpuE3ELNS1_3repE0EEENS1_30default_config_static_selectorELNS0_4arch9wavefront6targetE0EEEvT1_
	.globl	_ZN7rocprim17ROCPRIM_400000_NS6detail17trampoline_kernelINS0_14default_configENS1_25partition_config_selectorILNS1_17partition_subalgoE5ElNS0_10empty_typeEbEEZZNS1_14partition_implILS5_5ELb0ES3_mN6hipcub16HIPCUB_304000_NS21CountingInputIteratorIllEEPS6_NSA_22TransformInputIteratorIb7NonZeroIiEPilEENS0_5tupleIJPlS6_EEENSJ_IJSD_SD_EEES6_SK_JS6_EEE10hipError_tPvRmT3_T4_T5_T6_T7_T9_mT8_P12ihipStream_tbDpT10_ENKUlT_T0_E_clISt17integral_constantIbLb1EES16_EEDaS11_S12_EUlS11_E_NS1_11comp_targetILNS1_3genE9ELNS1_11target_archE1100ELNS1_3gpuE3ELNS1_3repE0EEENS1_30default_config_static_selectorELNS0_4arch9wavefront6targetE0EEEvT1_
	.p2align	8
	.type	_ZN7rocprim17ROCPRIM_400000_NS6detail17trampoline_kernelINS0_14default_configENS1_25partition_config_selectorILNS1_17partition_subalgoE5ElNS0_10empty_typeEbEEZZNS1_14partition_implILS5_5ELb0ES3_mN6hipcub16HIPCUB_304000_NS21CountingInputIteratorIllEEPS6_NSA_22TransformInputIteratorIb7NonZeroIiEPilEENS0_5tupleIJPlS6_EEENSJ_IJSD_SD_EEES6_SK_JS6_EEE10hipError_tPvRmT3_T4_T5_T6_T7_T9_mT8_P12ihipStream_tbDpT10_ENKUlT_T0_E_clISt17integral_constantIbLb1EES16_EEDaS11_S12_EUlS11_E_NS1_11comp_targetILNS1_3genE9ELNS1_11target_archE1100ELNS1_3gpuE3ELNS1_3repE0EEENS1_30default_config_static_selectorELNS0_4arch9wavefront6targetE0EEEvT1_,@function
_ZN7rocprim17ROCPRIM_400000_NS6detail17trampoline_kernelINS0_14default_configENS1_25partition_config_selectorILNS1_17partition_subalgoE5ElNS0_10empty_typeEbEEZZNS1_14partition_implILS5_5ELb0ES3_mN6hipcub16HIPCUB_304000_NS21CountingInputIteratorIllEEPS6_NSA_22TransformInputIteratorIb7NonZeroIiEPilEENS0_5tupleIJPlS6_EEENSJ_IJSD_SD_EEES6_SK_JS6_EEE10hipError_tPvRmT3_T4_T5_T6_T7_T9_mT8_P12ihipStream_tbDpT10_ENKUlT_T0_E_clISt17integral_constantIbLb1EES16_EEDaS11_S12_EUlS11_E_NS1_11comp_targetILNS1_3genE9ELNS1_11target_archE1100ELNS1_3gpuE3ELNS1_3repE0EEENS1_30default_config_static_selectorELNS0_4arch9wavefront6targetE0EEEvT1_: ; @_ZN7rocprim17ROCPRIM_400000_NS6detail17trampoline_kernelINS0_14default_configENS1_25partition_config_selectorILNS1_17partition_subalgoE5ElNS0_10empty_typeEbEEZZNS1_14partition_implILS5_5ELb0ES3_mN6hipcub16HIPCUB_304000_NS21CountingInputIteratorIllEEPS6_NSA_22TransformInputIteratorIb7NonZeroIiEPilEENS0_5tupleIJPlS6_EEENSJ_IJSD_SD_EEES6_SK_JS6_EEE10hipError_tPvRmT3_T4_T5_T6_T7_T9_mT8_P12ihipStream_tbDpT10_ENKUlT_T0_E_clISt17integral_constantIbLb1EES16_EEDaS11_S12_EUlS11_E_NS1_11comp_targetILNS1_3genE9ELNS1_11target_archE1100ELNS1_3gpuE3ELNS1_3repE0EEENS1_30default_config_static_selectorELNS0_4arch9wavefront6targetE0EEEvT1_
; %bb.0:
	s_clause 0x4
	s_load_b64 s[18:19], s[0:1], 0x20
	s_load_b64 s[12:13], s[0:1], 0x30
	;; [unrolled: 1-line block ×3, first 2 shown]
	s_load_b128 s[4:7], s[0:1], 0x48
	s_load_b64 s[14:15], s[0:1], 0x68
	v_cmp_eq_u32_e64 s2, 0, v0
	s_delay_alu instid0(VALU_DEP_1)
	s_and_saveexec_b32 s3, s2
	s_cbranch_execz .LBB199_4
; %bb.1:
	s_mov_b32 s9, exec_lo
	s_mov_b32 s8, exec_lo
	v_mbcnt_lo_u32_b32 v1, s9, 0
                                        ; implicit-def: $vgpr2
	s_delay_alu instid0(VALU_DEP_1)
	v_cmpx_eq_u32_e32 0, v1
	s_cbranch_execz .LBB199_3
; %bb.2:
	s_load_b64 s[10:11], s[0:1], 0x78
	s_bcnt1_i32_b32 s9, s9
	s_delay_alu instid0(SALU_CYCLE_1)
	v_dual_mov_b32 v2, 0 :: v_dual_mov_b32 v3, s9
	s_waitcnt lgkmcnt(0)
	global_atomic_add_u32 v2, v2, v3, s[10:11] glc
.LBB199_3:
	s_or_b32 exec_lo, exec_lo, s8
	s_waitcnt vmcnt(0)
	v_readfirstlane_b32 s8, v2
	s_delay_alu instid0(VALU_DEP_1)
	v_dual_mov_b32 v2, 0 :: v_dual_add_nc_u32 v1, s8, v1
	ds_store_b32 v2, v1
.LBB199_4:
	s_or_b32 exec_lo, exec_lo, s3
	v_mov_b32_e32 v1, 0
	s_clause 0x1
	s_load_b128 s[8:11], s[0:1], 0x8
	s_load_b32 s0, s[0:1], 0x70
	s_waitcnt lgkmcnt(0)
	s_barrier
	buffer_gl0_inv
	ds_load_b32 v3, v1
	s_waitcnt lgkmcnt(0)
	s_barrier
	buffer_gl0_inv
	global_load_b64 v[1:2], v1, s[6:7]
	s_add_u32 s21, s10, s8
	s_mul_i32 s20, s0, 0x300
	s_addc_u32 s22, s11, s9
	s_add_i32 s3, s0, -1
	s_add_u32 s0, s10, s20
	v_readfirstlane_b32 s9, v3
	s_addc_u32 s1, s11, 0
	s_delay_alu instid0(SALU_CYCLE_1) | instskip(SKIP_1) | instid1(VALU_DEP_2)
	v_cmp_ge_u64_e64 s0, s[0:1], s[16:17]
	s_mov_b32 s17, -1
	s_cmp_eq_u32 s9, s3
	s_cselect_b32 s3, -1, 0
	s_delay_alu instid0(VALU_DEP_1) | instid1(SALU_CYCLE_1)
	s_and_b32 s1, s0, s3
	s_mul_i32 s0, s9, 0x300
	s_xor_b32 s8, s1, -1
	s_mov_b32 s1, 0
	s_and_b32 vcc_lo, exec_lo, s8
	s_waitcnt vmcnt(0)
	v_readfirstlane_b32 s6, v1
	v_readfirstlane_b32 s7, v2
	s_cbranch_vccz .LBB199_6
; %bb.5:
	s_add_u32 s17, s0, s21
	s_addc_u32 s23, 0, s22
	v_add_co_u32 v1, s17, s17, v0
	s_delay_alu instid0(VALU_DEP_1) | instskip(SKIP_1) | instid1(VALU_DEP_3)
	v_add_co_ci_u32_e64 v2, null, s23, 0, s17
	v_lshlrev_b32_e32 v13, 3, v0
	v_add_co_u32 v3, vcc_lo, 0x80, v1
	s_delay_alu instid0(VALU_DEP_3)
	v_add_co_ci_u32_e32 v4, vcc_lo, 0, v2, vcc_lo
	v_add_co_u32 v5, vcc_lo, 0x100, v1
	v_add_co_ci_u32_e32 v6, vcc_lo, 0, v2, vcc_lo
	v_add_co_u32 v7, vcc_lo, 0x180, v1
	;; [unrolled: 2-line block ×4, first 2 shown]
	v_add_co_ci_u32_e32 v12, vcc_lo, 0, v2, vcc_lo
	ds_store_2addr_stride64_b64 v13, v[1:2], v[3:4] offset1:2
	ds_store_2addr_stride64_b64 v13, v[5:6], v[7:8] offset0:4 offset1:6
	ds_store_2addr_stride64_b64 v13, v[9:10], v[11:12] offset0:8 offset1:10
	s_waitcnt lgkmcnt(0)
	s_mov_b32 s17, s1
	s_barrier
.LBB199_6:
	v_or_b32_e32 v17, 0x100, v0
	v_or_b32_e32 v16, 0x180, v0
	;; [unrolled: 1-line block ×4, first 2 shown]
	s_and_not1_b32 vcc_lo, exec_lo, s17
	s_cbranch_vccnz .LBB199_8
; %bb.7:
	v_or_b32_e32 v3, 0x80, v0
	s_add_u32 s17, s21, s0
	s_addc_u32 s21, s22, 0
	v_add_co_u32 v1, s22, s17, v0
	s_delay_alu instid0(VALU_DEP_1) | instskip(SKIP_1) | instid1(VALU_DEP_1)
	v_add_co_ci_u32_e64 v2, null, s21, 0, s22
	v_add_co_u32 v3, s22, s17, v3
	v_add_co_ci_u32_e64 v4, null, s21, 0, s22
	v_add_co_u32 v5, s22, s17, v17
	s_delay_alu instid0(VALU_DEP_1) | instskip(SKIP_1) | instid1(VALU_DEP_1)
	v_add_co_ci_u32_e64 v6, null, s21, 0, s22
	v_add_co_u32 v7, s22, s17, v16
	v_add_co_ci_u32_e64 v8, null, s21, 0, s22
	v_add_co_u32 v9, s22, s17, v14
	v_lshlrev_b32_e32 v15, 3, v0
	v_add_co_u32 v11, s17, s17, v13
	v_add_co_ci_u32_e64 v10, null, s21, 0, s22
	v_add_co_ci_u32_e64 v12, null, s21, 0, s17
	ds_store_2addr_stride64_b64 v15, v[1:2], v[3:4] offset1:2
	ds_store_2addr_stride64_b64 v15, v[5:6], v[7:8] offset0:4 offset1:6
	ds_store_2addr_stride64_b64 v15, v[9:10], v[11:12] offset0:8 offset1:10
	s_waitcnt lgkmcnt(0)
	s_barrier
.LBB199_8:
	v_mul_u32_u24_e32 v1, 6, v0
	buffer_gl0_inv
	s_lshl_b64 s[22:23], s[10:11], 2
	s_delay_alu instid0(SALU_CYCLE_1)
	s_add_u32 s11, s18, s22
	v_lshlrev_b32_e32 v15, 3, v1
	s_addc_u32 s17, s19, s23
	s_lshl_b64 s[0:1], s[0:1], 2
	ds_load_b128 v[9:12], v15
	ds_load_b128 v[5:8], v15 offset:16
	ds_load_b128 v[1:4], v15 offset:32
	s_add_u32 s0, s11, s0
	s_addc_u32 s1, s17, s1
	s_and_b32 vcc_lo, exec_lo, s8
	s_mov_b32 s11, -1
	s_waitcnt lgkmcnt(0)
	s_barrier
	buffer_gl0_inv
	s_cbranch_vccz .LBB199_10
; %bb.9:
	v_lshlrev_b32_e32 v18, 2, v0
	s_mov_b32 s11, 0
	s_clause 0x5
	global_load_b32 v19, v18, s[0:1]
	global_load_b32 v20, v18, s[0:1] offset:512
	global_load_b32 v21, v18, s[0:1] offset:1024
	;; [unrolled: 1-line block ×5, first 2 shown]
	s_waitcnt vmcnt(5)
	v_cmp_ne_u32_e32 vcc_lo, 0, v19
	v_cndmask_b32_e64 v19, 0, 1, vcc_lo
	s_waitcnt vmcnt(4)
	v_cmp_ne_u32_e32 vcc_lo, 0, v20
	v_cndmask_b32_e64 v20, 0, 1, vcc_lo
	;; [unrolled: 3-line block ×6, first 2 shown]
	ds_store_b8 v0, v19
	ds_store_b8 v0, v20 offset:128
	ds_store_b8 v0, v21 offset:256
	ds_store_b8 v0, v22 offset:384
	ds_store_b8 v0, v23 offset:512
	ds_store_b8 v0, v18 offset:640
	s_waitcnt lgkmcnt(0)
	s_barrier
.LBB199_10:
	s_and_not1_b32 vcc_lo, exec_lo, s11
	s_cbranch_vccnz .LBB199_24
; %bb.11:
	s_add_i32 s20, s20, s10
	v_dual_mov_b32 v18, 0 :: v_dual_mov_b32 v19, 0
	s_sub_i32 s10, s16, s20
	s_mov_b32 s11, exec_lo
	s_addk_i32 s10, 0x300
	s_delay_alu instid0(SALU_CYCLE_1)
	v_cmpx_gt_u32_e64 s10, v0
	s_cbranch_execz .LBB199_13
; %bb.12:
	v_lshlrev_b32_e32 v19, 2, v0
	global_load_b32 v19, v19, s[0:1]
	s_waitcnt vmcnt(0)
	v_cmp_ne_u32_e32 vcc_lo, 0, v19
	v_cndmask_b32_e64 v19, 0, 1, vcc_lo
.LBB199_13:
	s_or_b32 exec_lo, exec_lo, s11
	v_or_b32_e32 v20, 0x80, v0
	s_mov_b32 s11, exec_lo
	s_delay_alu instid0(VALU_DEP_1)
	v_cmpx_gt_u32_e64 s10, v20
	s_cbranch_execz .LBB199_15
; %bb.14:
	v_lshlrev_b32_e32 v18, 2, v0
	global_load_b32 v18, v18, s[0:1] offset:512
	s_waitcnt vmcnt(0)
	v_cmp_ne_u32_e32 vcc_lo, 0, v18
	v_cndmask_b32_e64 v18, 0, 1, vcc_lo
.LBB199_15:
	s_or_b32 exec_lo, exec_lo, s11
	v_cmp_gt_u32_e32 vcc_lo, s10, v17
	v_dual_mov_b32 v17, 0 :: v_dual_mov_b32 v20, 0
	s_and_saveexec_b32 s11, vcc_lo
	s_cbranch_execz .LBB199_17
; %bb.16:
	v_lshlrev_b32_e32 v20, 2, v0
	global_load_b32 v20, v20, s[0:1] offset:1024
	s_waitcnt vmcnt(0)
	v_cmp_ne_u32_e32 vcc_lo, 0, v20
	v_cndmask_b32_e64 v20, 0, 1, vcc_lo
.LBB199_17:
	s_or_b32 exec_lo, exec_lo, s11
	s_delay_alu instid0(SALU_CYCLE_1)
	s_mov_b32 s11, exec_lo
	v_cmpx_gt_u32_e64 s10, v16
	s_cbranch_execz .LBB199_19
; %bb.18:
	v_lshlrev_b32_e32 v16, 2, v0
	global_load_b32 v16, v16, s[0:1] offset:1536
	s_waitcnt vmcnt(0)
	v_cmp_ne_u32_e32 vcc_lo, 0, v16
	v_cndmask_b32_e64 v17, 0, 1, vcc_lo
.LBB199_19:
	s_or_b32 exec_lo, exec_lo, s11
	v_cmp_gt_u32_e32 vcc_lo, s10, v14
	v_mov_b32_e32 v14, 0
	v_mov_b32_e32 v16, 0
	s_and_saveexec_b32 s11, vcc_lo
	s_cbranch_execz .LBB199_21
; %bb.20:
	v_lshlrev_b32_e32 v16, 2, v0
	global_load_b32 v16, v16, s[0:1] offset:2048
	s_waitcnt vmcnt(0)
	v_cmp_ne_u32_e32 vcc_lo, 0, v16
	v_cndmask_b32_e64 v16, 0, 1, vcc_lo
.LBB199_21:
	s_or_b32 exec_lo, exec_lo, s11
	v_cmp_gt_u32_e32 vcc_lo, s10, v13
	s_and_saveexec_b32 s10, vcc_lo
	s_cbranch_execz .LBB199_23
; %bb.22:
	v_lshlrev_b32_e32 v13, 2, v0
	global_load_b32 v13, v13, s[0:1] offset:2560
	s_waitcnt vmcnt(0)
	v_cmp_ne_u32_e32 vcc_lo, 0, v13
	v_cndmask_b32_e64 v14, 0, 1, vcc_lo
.LBB199_23:
	s_or_b32 exec_lo, exec_lo, s10
	ds_store_b8 v0, v19
	ds_store_b8 v0, v18 offset:128
	ds_store_b8 v0, v20 offset:256
	;; [unrolled: 1-line block ×5, first 2 shown]
	s_waitcnt lgkmcnt(0)
	s_barrier
.LBB199_24:
	v_mad_i32_i24 v43, 0xffffffd6, v0, v15
	buffer_gl0_inv
	v_mbcnt_lo_u32_b32 v42, -1, 0
	s_cmp_lg_u32 s9, 0
	s_mov_b32 s1, -1
	ds_load_u16 v36, v43
	ds_load_u16 v33, v43 offset:2
	ds_load_u16 v31, v43 offset:4
	v_mov_b32_e32 v14, 0
	v_and_b32_e32 v44, 15, v42
	s_waitcnt lgkmcnt(0)
	s_barrier
	buffer_gl0_inv
	v_and_b32_e32 v41, 0xff, v36
	v_lshrrev_b16 v34, 8, v36
	v_lshrrev_b16 v35, 8, v33
	v_and_b32_e32 v39, 0xff, v33
	v_lshrrev_b16 v32, 8, v31
	v_and_b32_e32 v37, 0xff, v31
	v_and_b32_e32 v40, 0xffff, v34
	;; [unrolled: 1-line block ×3, first 2 shown]
	s_delay_alu instid0(VALU_DEP_4) | instskip(NEXT) | instid1(VALU_DEP_3)
	v_and_b32_e32 v16, 0xffff, v32
	v_add_co_u32 v13, s0, v40, v41
	s_delay_alu instid0(VALU_DEP_1) | instskip(SKIP_1) | instid1(VALU_DEP_3)
	v_add_co_ci_u32_e64 v15, null, 0, 0, s0
	v_cmp_ne_u32_e64 s0, 0, v44
	v_add_co_u32 v13, vcc_lo, v13, v39
	s_delay_alu instid0(VALU_DEP_3) | instskip(NEXT) | instid1(VALU_DEP_2)
	v_add_co_ci_u32_e32 v15, vcc_lo, 0, v15, vcc_lo
	v_add_co_u32 v13, vcc_lo, v13, v38
	s_delay_alu instid0(VALU_DEP_2) | instskip(NEXT) | instid1(VALU_DEP_2)
	v_add_co_ci_u32_e32 v15, vcc_lo, 0, v15, vcc_lo
	v_add_co_u32 v13, vcc_lo, v13, v37
	s_delay_alu instid0(VALU_DEP_2) | instskip(NEXT) | instid1(VALU_DEP_2)
	v_add_co_ci_u32_e32 v15, vcc_lo, 0, v15, vcc_lo
	v_add_co_u32 v21, vcc_lo, v13, v16
	s_delay_alu instid0(VALU_DEP_2)
	v_add_co_ci_u32_e32 v22, vcc_lo, 0, v15, vcc_lo
	s_cbranch_scc0 .LBB199_93
; %bb.25:
	s_delay_alu instid0(VALU_DEP_2)
	v_mov_b32_e32 v15, v21
	v_mov_b32_dpp v13, v21 row_shr:1 row_mask:0xf bank_mask:0xf
	v_mov_b32_dpp v18, v14 row_shr:1 row_mask:0xf bank_mask:0xf
	v_dual_mov_b32 v17, v21 :: v_dual_mov_b32 v16, v22
	s_and_saveexec_b32 s1, s0
; %bb.26:
	s_delay_alu instid0(VALU_DEP_3) | instskip(SKIP_1) | instid1(VALU_DEP_2)
	v_add_co_u32 v17, vcc_lo, v21, v13
	v_add_co_ci_u32_e32 v14, vcc_lo, 0, v22, vcc_lo
	v_add_co_u32 v13, vcc_lo, 0, v17
	s_delay_alu instid0(VALU_DEP_2) | instskip(NEXT) | instid1(VALU_DEP_1)
	v_add_co_ci_u32_e32 v14, vcc_lo, v18, v14, vcc_lo
	v_dual_mov_b32 v16, v14 :: v_dual_mov_b32 v15, v13
; %bb.27:
	s_or_b32 exec_lo, exec_lo, s1
	v_mov_b32_dpp v13, v17 row_shr:2 row_mask:0xf bank_mask:0xf
	v_mov_b32_dpp v18, v14 row_shr:2 row_mask:0xf bank_mask:0xf
	s_mov_b32 s1, exec_lo
	v_cmpx_lt_u32_e32 1, v44
; %bb.28:
	s_delay_alu instid0(VALU_DEP_3) | instskip(SKIP_1) | instid1(VALU_DEP_2)
	v_add_co_u32 v17, vcc_lo, v15, v13
	v_add_co_ci_u32_e32 v14, vcc_lo, 0, v16, vcc_lo
	v_add_co_u32 v13, vcc_lo, 0, v17
	s_delay_alu instid0(VALU_DEP_2) | instskip(NEXT) | instid1(VALU_DEP_1)
	v_add_co_ci_u32_e32 v14, vcc_lo, v18, v14, vcc_lo
	v_dual_mov_b32 v16, v14 :: v_dual_mov_b32 v15, v13
; %bb.29:
	s_or_b32 exec_lo, exec_lo, s1
	v_mov_b32_dpp v13, v17 row_shr:4 row_mask:0xf bank_mask:0xf
	v_mov_b32_dpp v18, v14 row_shr:4 row_mask:0xf bank_mask:0xf
	s_mov_b32 s1, exec_lo
	v_cmpx_lt_u32_e32 3, v44
	;; [unrolled: 14-line block ×3, first 2 shown]
; %bb.32:
	s_delay_alu instid0(VALU_DEP_3) | instskip(SKIP_1) | instid1(VALU_DEP_2)
	v_add_co_u32 v17, vcc_lo, v15, v18
	v_add_co_ci_u32_e32 v14, vcc_lo, 0, v16, vcc_lo
	v_add_co_u32 v15, vcc_lo, 0, v17
	s_delay_alu instid0(VALU_DEP_2) | instskip(NEXT) | instid1(VALU_DEP_1)
	v_add_co_ci_u32_e32 v16, vcc_lo, v13, v14, vcc_lo
	v_mov_b32_e32 v14, v16
; %bb.33:
	s_or_b32 exec_lo, exec_lo, s1
	ds_swizzle_b32 v13, v17 offset:swizzle(BROADCAST,32,15)
	ds_swizzle_b32 v18, v14 offset:swizzle(BROADCAST,32,15)
	v_and_b32_e32 v19, 16, v42
	s_mov_b32 s1, exec_lo
	s_delay_alu instid0(VALU_DEP_1)
	v_cmpx_ne_u32_e32 0, v19
	s_cbranch_execz .LBB199_35
; %bb.34:
	s_waitcnt lgkmcnt(1)
	v_add_co_u32 v17, vcc_lo, v15, v13
	v_add_co_ci_u32_e32 v14, vcc_lo, 0, v16, vcc_lo
	s_delay_alu instid0(VALU_DEP_2) | instskip(SKIP_1) | instid1(VALU_DEP_2)
	v_add_co_u32 v13, vcc_lo, 0, v17
	s_waitcnt lgkmcnt(0)
	v_add_co_ci_u32_e32 v14, vcc_lo, v18, v14, vcc_lo
	s_delay_alu instid0(VALU_DEP_1)
	v_dual_mov_b32 v16, v14 :: v_dual_mov_b32 v15, v13
.LBB199_35:
	s_or_b32 exec_lo, exec_lo, s1
	s_waitcnt lgkmcnt(0)
	v_or_b32_e32 v18, 31, v0
	v_lshrrev_b32_e32 v13, 5, v0
	s_mov_b32 s1, exec_lo
	s_delay_alu instid0(VALU_DEP_2)
	v_cmpx_eq_u32_e64 v18, v0
	s_cbranch_execz .LBB199_37
; %bb.36:
	s_delay_alu instid0(VALU_DEP_2)
	v_lshlrev_b32_e32 v18, 3, v13
	ds_store_b64 v18, v[15:16]
.LBB199_37:
	s_or_b32 exec_lo, exec_lo, s1
	s_delay_alu instid0(SALU_CYCLE_1)
	s_mov_b32 s1, exec_lo
	s_waitcnt lgkmcnt(0)
	s_barrier
	buffer_gl0_inv
	v_cmpx_gt_u32_e32 4, v0
	s_cbranch_execz .LBB199_43
; %bb.38:
	v_lshlrev_b32_e32 v18, 3, v0
	s_mov_b32 s10, exec_lo
	ds_load_b64 v[15:16], v18
	s_waitcnt lgkmcnt(0)
	v_dual_mov_b32 v20, v15 :: v_dual_and_b32 v19, 3, v42
	v_mov_b32_dpp v24, v15 row_shr:1 row_mask:0xf bank_mask:0xf
	v_mov_b32_dpp v23, v16 row_shr:1 row_mask:0xf bank_mask:0xf
	s_delay_alu instid0(VALU_DEP_3)
	v_cmpx_ne_u32_e32 0, v19
; %bb.39:
	s_delay_alu instid0(VALU_DEP_3) | instskip(SKIP_1) | instid1(VALU_DEP_2)
	v_add_co_u32 v20, vcc_lo, v15, v24
	v_add_co_ci_u32_e32 v16, vcc_lo, 0, v16, vcc_lo
	v_add_co_u32 v15, vcc_lo, 0, v20
	s_delay_alu instid0(VALU_DEP_2)
	v_add_co_ci_u32_e32 v16, vcc_lo, v23, v16, vcc_lo
; %bb.40:
	s_or_b32 exec_lo, exec_lo, s10
	v_mov_b32_dpp v23, v20 row_shr:2 row_mask:0xf bank_mask:0xf
	s_delay_alu instid0(VALU_DEP_2)
	v_mov_b32_dpp v20, v16 row_shr:2 row_mask:0xf bank_mask:0xf
	s_mov_b32 s10, exec_lo
	v_cmpx_lt_u32_e32 1, v19
; %bb.41:
	s_delay_alu instid0(VALU_DEP_3) | instskip(SKIP_1) | instid1(VALU_DEP_2)
	v_add_co_u32 v15, vcc_lo, v15, v23
	v_add_co_ci_u32_e32 v16, vcc_lo, 0, v16, vcc_lo
	v_add_co_u32 v15, vcc_lo, v15, 0
	s_delay_alu instid0(VALU_DEP_2)
	v_add_co_ci_u32_e32 v16, vcc_lo, v16, v20, vcc_lo
; %bb.42:
	s_or_b32 exec_lo, exec_lo, s10
	ds_store_b64 v18, v[15:16]
.LBB199_43:
	s_or_b32 exec_lo, exec_lo, s1
	v_cmp_gt_u32_e32 vcc_lo, 32, v0
	s_mov_b32 s10, exec_lo
	s_waitcnt lgkmcnt(0)
	s_barrier
	buffer_gl0_inv
                                        ; implicit-def: $vgpr23_vgpr24
	v_cmpx_lt_u32_e32 31, v0
	s_cbranch_execz .LBB199_45
; %bb.44:
	v_lshl_add_u32 v13, v13, 3, -8
	ds_load_b64 v[23:24], v13
	s_waitcnt lgkmcnt(0)
	v_add_co_u32 v17, s1, v17, v23
	s_delay_alu instid0(VALU_DEP_1)
	v_add_co_ci_u32_e64 v14, s1, v14, v24, s1
.LBB199_45:
	s_or_b32 exec_lo, exec_lo, s10
	v_add_nc_u32_e32 v13, -1, v42
	s_delay_alu instid0(VALU_DEP_1) | instskip(NEXT) | instid1(VALU_DEP_1)
	v_cmp_gt_i32_e64 s1, 0, v13
	v_cndmask_b32_e64 v13, v13, v42, s1
	v_cmp_eq_u32_e64 s1, 0, v42
	s_delay_alu instid0(VALU_DEP_2)
	v_lshlrev_b32_e32 v13, 2, v13
	ds_bpermute_b32 v29, v13, v17
	ds_bpermute_b32 v30, v13, v14
	s_and_saveexec_b32 s10, vcc_lo
	s_cbranch_execz .LBB199_88
; %bb.46:
	v_mov_b32_e32 v16, 0
	ds_load_b64 v[13:14], v16 offset:24
	s_and_saveexec_b32 s11, s1
	s_cbranch_execz .LBB199_48
; %bb.47:
	s_add_i32 s16, s9, 32
	s_mov_b32 s17, 0
	s_delay_alu instid0(SALU_CYCLE_1) | instskip(NEXT) | instid1(SALU_CYCLE_1)
	s_lshl_b64 s[16:17], s[16:17], 4
	s_add_u32 s16, s14, s16
	s_addc_u32 s17, s15, s17
	s_delay_alu instid0(SALU_CYCLE_1)
	v_dual_mov_b32 v15, 1 :: v_dual_mov_b32 v18, s17
	v_mov_b32_e32 v17, s16
	s_waitcnt lgkmcnt(0)
	;;#ASMSTART
	global_store_dwordx4 v[17:18], v[13:16] off	
s_waitcnt vmcnt(0)
	;;#ASMEND
.LBB199_48:
	s_or_b32 exec_lo, exec_lo, s11
	v_xad_u32 v25, v42, -1, s9
	s_mov_b32 s16, 0
	s_mov_b32 s11, exec_lo
	s_delay_alu instid0(VALU_DEP_1) | instskip(NEXT) | instid1(VALU_DEP_1)
	v_add_nc_u32_e32 v15, 32, v25
	v_lshlrev_b64 v[15:16], 4, v[15:16]
	s_delay_alu instid0(VALU_DEP_1) | instskip(NEXT) | instid1(VALU_DEP_2)
	v_add_co_u32 v15, vcc_lo, s14, v15
	v_add_co_ci_u32_e32 v16, vcc_lo, s15, v16, vcc_lo
	;;#ASMSTART
	global_load_dwordx4 v[17:20], v[15:16] off glc	
s_waitcnt vmcnt(0)
	;;#ASMEND
	v_and_b32_e32 v20, 0xff, v18
	v_and_b32_e32 v26, 0xff00, v18
	;; [unrolled: 1-line block ×3, first 2 shown]
	v_or3_b32 v17, v17, 0, 0
	v_and_b32_e32 v18, 0xff000000, v18
	s_delay_alu instid0(VALU_DEP_4) | instskip(SKIP_1) | instid1(VALU_DEP_4)
	v_or3_b32 v20, 0, v20, v26
	v_and_b32_e32 v26, 0xff, v19
	v_or3_b32 v17, v17, 0, 0
	s_delay_alu instid0(VALU_DEP_3) | instskip(NEXT) | instid1(VALU_DEP_3)
	v_or3_b32 v18, v20, v27, v18
	v_cmpx_eq_u16_e32 0, v26
	s_cbranch_execz .LBB199_54
; %bb.49:
	s_mov_b32 s17, 1
	.p2align	6
.LBB199_50:                             ; =>This Loop Header: Depth=1
                                        ;     Child Loop BB199_51 Depth 2
	s_delay_alu instid0(SALU_CYCLE_1)
	s_max_u32 s18, s17, 1
.LBB199_51:                             ;   Parent Loop BB199_50 Depth=1
                                        ; =>  This Inner Loop Header: Depth=2
	s_delay_alu instid0(SALU_CYCLE_1)
	s_add_i32 s18, s18, -1
	s_sleep 1
	s_cmp_eq_u32 s18, 0
	s_cbranch_scc0 .LBB199_51
; %bb.52:                               ;   in Loop: Header=BB199_50 Depth=1
	;;#ASMSTART
	global_load_dwordx4 v[17:20], v[15:16] off glc	
s_waitcnt vmcnt(0)
	;;#ASMEND
	v_and_b32_e32 v20, 0xff, v19
	s_cmp_lt_u32 s17, 32
	s_cselect_b32 s18, -1, 0
	s_delay_alu instid0(SALU_CYCLE_1) | instskip(NEXT) | instid1(VALU_DEP_1)
	s_cmp_lg_u32 s18, 0
	v_cmp_ne_u16_e32 vcc_lo, 0, v20
	s_addc_u32 s17, s17, 0
	s_or_b32 s16, vcc_lo, s16
	s_delay_alu instid0(SALU_CYCLE_1)
	s_and_not1_b32 exec_lo, exec_lo, s16
	s_cbranch_execnz .LBB199_50
; %bb.53:
	s_or_b32 exec_lo, exec_lo, s16
.LBB199_54:
	s_delay_alu instid0(SALU_CYCLE_1)
	s_or_b32 exec_lo, exec_lo, s11
	v_cmp_ne_u32_e32 vcc_lo, 31, v42
	v_and_b32_e32 v16, 0xff, v19
	v_lshlrev_b32_e64 v46, v42, -1
	s_mov_b32 s11, exec_lo
	v_add_co_ci_u32_e32 v15, vcc_lo, 0, v42, vcc_lo
	s_delay_alu instid0(VALU_DEP_3) | instskip(NEXT) | instid1(VALU_DEP_2)
	v_cmp_eq_u16_e32 vcc_lo, 2, v16
	v_dual_mov_b32 v16, v17 :: v_dual_lshlrev_b32 v45, 2, v15
	v_and_or_b32 v15, vcc_lo, v46, 0x80000000
	ds_bpermute_b32 v26, v45, v17
	ds_bpermute_b32 v20, v45, v18
	v_ctz_i32_b32_e32 v15, v15
	s_delay_alu instid0(VALU_DEP_1)
	v_cmpx_lt_u32_e64 v42, v15
	s_cbranch_execz .LBB199_56
; %bb.55:
	s_waitcnt lgkmcnt(1)
	v_add_co_u32 v16, vcc_lo, v17, v26
	v_add_co_ci_u32_e32 v18, vcc_lo, 0, v18, vcc_lo
	s_delay_alu instid0(VALU_DEP_2) | instskip(SKIP_1) | instid1(VALU_DEP_2)
	v_add_co_u32 v17, vcc_lo, 0, v16
	s_waitcnt lgkmcnt(0)
	v_add_co_ci_u32_e32 v18, vcc_lo, v20, v18, vcc_lo
.LBB199_56:
	s_or_b32 exec_lo, exec_lo, s11
	v_cmp_gt_u32_e32 vcc_lo, 30, v42
	v_add_nc_u32_e32 v48, 2, v42
	s_mov_b32 s11, exec_lo
	s_waitcnt lgkmcnt(0)
	v_cndmask_b32_e64 v20, 0, 1, vcc_lo
	s_delay_alu instid0(VALU_DEP_1) | instskip(NEXT) | instid1(VALU_DEP_1)
	v_lshlrev_b32_e32 v20, 1, v20
	v_add_lshl_u32 v47, v20, v42, 2
	ds_bpermute_b32 v26, v47, v16
	ds_bpermute_b32 v20, v47, v18
	v_cmpx_le_u32_e64 v48, v15
	s_cbranch_execz .LBB199_58
; %bb.57:
	s_waitcnt lgkmcnt(1)
	v_add_co_u32 v16, vcc_lo, v17, v26
	v_add_co_ci_u32_e32 v18, vcc_lo, 0, v18, vcc_lo
	s_delay_alu instid0(VALU_DEP_2) | instskip(SKIP_1) | instid1(VALU_DEP_2)
	v_add_co_u32 v17, vcc_lo, 0, v16
	s_waitcnt lgkmcnt(0)
	v_add_co_ci_u32_e32 v18, vcc_lo, v20, v18, vcc_lo
.LBB199_58:
	s_or_b32 exec_lo, exec_lo, s11
	v_cmp_gt_u32_e32 vcc_lo, 28, v42
	v_add_nc_u32_e32 v50, 4, v42
	s_mov_b32 s11, exec_lo
	s_waitcnt lgkmcnt(0)
	v_cndmask_b32_e64 v20, 0, 1, vcc_lo
	s_delay_alu instid0(VALU_DEP_1) | instskip(NEXT) | instid1(VALU_DEP_1)
	v_lshlrev_b32_e32 v20, 2, v20
	v_add_lshl_u32 v49, v20, v42, 2
	ds_bpermute_b32 v26, v49, v16
	ds_bpermute_b32 v20, v49, v18
	v_cmpx_le_u32_e64 v50, v15
	s_cbranch_execz .LBB199_60
; %bb.59:
	s_waitcnt lgkmcnt(1)
	v_add_co_u32 v16, vcc_lo, v17, v26
	v_add_co_ci_u32_e32 v18, vcc_lo, 0, v18, vcc_lo
	s_delay_alu instid0(VALU_DEP_2) | instskip(SKIP_1) | instid1(VALU_DEP_2)
	v_add_co_u32 v17, vcc_lo, 0, v16
	s_waitcnt lgkmcnt(0)
	v_add_co_ci_u32_e32 v18, vcc_lo, v20, v18, vcc_lo
.LBB199_60:
	s_or_b32 exec_lo, exec_lo, s11
	v_cmp_gt_u32_e32 vcc_lo, 24, v42
	v_add_nc_u32_e32 v52, 8, v42
	s_mov_b32 s11, exec_lo
	s_waitcnt lgkmcnt(0)
	v_cndmask_b32_e64 v20, 0, 1, vcc_lo
	s_delay_alu instid0(VALU_DEP_1) | instskip(NEXT) | instid1(VALU_DEP_1)
	v_lshlrev_b32_e32 v20, 3, v20
	v_add_lshl_u32 v51, v20, v42, 2
	ds_bpermute_b32 v26, v51, v16
	ds_bpermute_b32 v20, v51, v18
	v_cmpx_le_u32_e64 v52, v15
	s_cbranch_execz .LBB199_62
; %bb.61:
	s_waitcnt lgkmcnt(1)
	v_add_co_u32 v16, vcc_lo, v17, v26
	v_add_co_ci_u32_e32 v18, vcc_lo, 0, v18, vcc_lo
	s_delay_alu instid0(VALU_DEP_2) | instskip(SKIP_1) | instid1(VALU_DEP_2)
	v_add_co_u32 v17, vcc_lo, 0, v16
	s_waitcnt lgkmcnt(0)
	v_add_co_ci_u32_e32 v18, vcc_lo, v20, v18, vcc_lo
.LBB199_62:
	s_or_b32 exec_lo, exec_lo, s11
	v_cmp_gt_u32_e32 vcc_lo, 16, v42
	v_add_nc_u32_e32 v54, 16, v42
	s_mov_b32 s11, exec_lo
	s_waitcnt lgkmcnt(0)
	v_cndmask_b32_e64 v20, 0, 1, vcc_lo
	s_delay_alu instid0(VALU_DEP_1) | instskip(NEXT) | instid1(VALU_DEP_1)
	v_lshlrev_b32_e32 v20, 4, v20
	v_add_lshl_u32 v53, v20, v42, 2
	ds_bpermute_b32 v20, v53, v16
	ds_bpermute_b32 v16, v53, v18
	v_cmpx_le_u32_e64 v54, v15
	s_cbranch_execz .LBB199_64
; %bb.63:
	s_waitcnt lgkmcnt(1)
	v_add_co_u32 v15, vcc_lo, v17, v20
	v_add_co_ci_u32_e32 v18, vcc_lo, 0, v18, vcc_lo
	s_delay_alu instid0(VALU_DEP_2) | instskip(SKIP_1) | instid1(VALU_DEP_2)
	v_add_co_u32 v17, vcc_lo, v15, 0
	s_waitcnt lgkmcnt(0)
	v_add_co_ci_u32_e32 v18, vcc_lo, v18, v16, vcc_lo
.LBB199_64:
	s_or_b32 exec_lo, exec_lo, s11
	v_mov_b32_e32 v26, 0
	s_branch .LBB199_66
.LBB199_65:                             ;   in Loop: Header=BB199_66 Depth=1
	s_or_b32 exec_lo, exec_lo, s11
	v_add_co_u32 v17, vcc_lo, v17, v15
	v_subrev_nc_u32_e32 v25, 32, v25
	v_add_co_ci_u32_e32 v18, vcc_lo, v18, v16, vcc_lo
.LBB199_66:                             ; =>This Loop Header: Depth=1
                                        ;     Child Loop BB199_69 Depth 2
                                        ;       Child Loop BB199_70 Depth 3
	v_and_b32_e32 v15, 0xff, v19
	s_delay_alu instid0(VALU_DEP_1) | instskip(SKIP_2) | instid1(VALU_DEP_1)
	v_cmp_ne_u16_e32 vcc_lo, 2, v15
	v_cndmask_b32_e64 v15, 0, 1, vcc_lo
	;;#ASMSTART
	;;#ASMEND
	v_cmp_ne_u32_e32 vcc_lo, 0, v15
	s_waitcnt lgkmcnt(0)
	v_dual_mov_b32 v15, v17 :: v_dual_mov_b32 v16, v18
	s_cmp_lg_u32 vcc_lo, exec_lo
	s_cbranch_scc1 .LBB199_83
; %bb.67:                               ;   in Loop: Header=BB199_66 Depth=1
	v_lshlrev_b64 v[17:18], 4, v[25:26]
	s_mov_b32 s11, exec_lo
	s_delay_alu instid0(VALU_DEP_1) | instskip(NEXT) | instid1(VALU_DEP_2)
	v_add_co_u32 v27, vcc_lo, s14, v17
	v_add_co_ci_u32_e32 v28, vcc_lo, s15, v18, vcc_lo
	;;#ASMSTART
	global_load_dwordx4 v[17:20], v[27:28] off glc	
s_waitcnt vmcnt(0)
	;;#ASMEND
	v_and_b32_e32 v20, 0xff, v18
	v_and_b32_e32 v55, 0xff00, v18
	;; [unrolled: 1-line block ×3, first 2 shown]
	v_or3_b32 v17, v17, 0, 0
	v_and_b32_e32 v18, 0xff000000, v18
	s_delay_alu instid0(VALU_DEP_4) | instskip(SKIP_1) | instid1(VALU_DEP_4)
	v_or3_b32 v20, 0, v20, v55
	v_and_b32_e32 v55, 0xff, v19
	v_or3_b32 v17, v17, 0, 0
	s_delay_alu instid0(VALU_DEP_3) | instskip(NEXT) | instid1(VALU_DEP_3)
	v_or3_b32 v18, v20, v56, v18
	v_cmpx_eq_u16_e32 0, v55
	s_cbranch_execz .LBB199_73
; %bb.68:                               ;   in Loop: Header=BB199_66 Depth=1
	s_mov_b32 s17, 1
	s_mov_b32 s16, 0
	.p2align	6
.LBB199_69:                             ;   Parent Loop BB199_66 Depth=1
                                        ; =>  This Loop Header: Depth=2
                                        ;       Child Loop BB199_70 Depth 3
	s_max_u32 s18, s17, 1
.LBB199_70:                             ;   Parent Loop BB199_66 Depth=1
                                        ;     Parent Loop BB199_69 Depth=2
                                        ; =>    This Inner Loop Header: Depth=3
	s_delay_alu instid0(SALU_CYCLE_1)
	s_add_i32 s18, s18, -1
	s_sleep 1
	s_cmp_eq_u32 s18, 0
	s_cbranch_scc0 .LBB199_70
; %bb.71:                               ;   in Loop: Header=BB199_69 Depth=2
	;;#ASMSTART
	global_load_dwordx4 v[17:20], v[27:28] off glc	
s_waitcnt vmcnt(0)
	;;#ASMEND
	v_and_b32_e32 v20, 0xff, v19
	s_cmp_lt_u32 s17, 32
	s_cselect_b32 s18, -1, 0
	s_delay_alu instid0(SALU_CYCLE_1) | instskip(NEXT) | instid1(VALU_DEP_1)
	s_cmp_lg_u32 s18, 0
	v_cmp_ne_u16_e32 vcc_lo, 0, v20
	s_addc_u32 s17, s17, 0
	s_or_b32 s16, vcc_lo, s16
	s_delay_alu instid0(SALU_CYCLE_1)
	s_and_not1_b32 exec_lo, exec_lo, s16
	s_cbranch_execnz .LBB199_69
; %bb.72:                               ;   in Loop: Header=BB199_66 Depth=1
	s_or_b32 exec_lo, exec_lo, s16
.LBB199_73:                             ;   in Loop: Header=BB199_66 Depth=1
	s_delay_alu instid0(SALU_CYCLE_1)
	s_or_b32 exec_lo, exec_lo, s11
	v_dual_mov_b32 v27, v17 :: v_dual_and_b32 v20, 0xff, v19
	ds_bpermute_b32 v55, v45, v17
	ds_bpermute_b32 v28, v45, v18
	s_mov_b32 s11, exec_lo
	v_cmp_eq_u16_e32 vcc_lo, 2, v20
	v_and_or_b32 v20, vcc_lo, v46, 0x80000000
	s_delay_alu instid0(VALU_DEP_1) | instskip(NEXT) | instid1(VALU_DEP_1)
	v_ctz_i32_b32_e32 v20, v20
	v_cmpx_lt_u32_e64 v42, v20
	s_cbranch_execz .LBB199_75
; %bb.74:                               ;   in Loop: Header=BB199_66 Depth=1
	s_waitcnt lgkmcnt(1)
	v_add_co_u32 v27, vcc_lo, v17, v55
	v_add_co_ci_u32_e32 v18, vcc_lo, 0, v18, vcc_lo
	s_delay_alu instid0(VALU_DEP_2) | instskip(SKIP_1) | instid1(VALU_DEP_2)
	v_add_co_u32 v17, vcc_lo, 0, v27
	s_waitcnt lgkmcnt(0)
	v_add_co_ci_u32_e32 v18, vcc_lo, v28, v18, vcc_lo
.LBB199_75:                             ;   in Loop: Header=BB199_66 Depth=1
	s_or_b32 exec_lo, exec_lo, s11
	s_waitcnt lgkmcnt(1)
	ds_bpermute_b32 v55, v47, v27
	s_waitcnt lgkmcnt(1)
	ds_bpermute_b32 v28, v47, v18
	s_mov_b32 s11, exec_lo
	v_cmpx_le_u32_e64 v48, v20
	s_cbranch_execz .LBB199_77
; %bb.76:                               ;   in Loop: Header=BB199_66 Depth=1
	s_waitcnt lgkmcnt(1)
	v_add_co_u32 v27, vcc_lo, v17, v55
	v_add_co_ci_u32_e32 v18, vcc_lo, 0, v18, vcc_lo
	s_delay_alu instid0(VALU_DEP_2) | instskip(SKIP_1) | instid1(VALU_DEP_2)
	v_add_co_u32 v17, vcc_lo, 0, v27
	s_waitcnt lgkmcnt(0)
	v_add_co_ci_u32_e32 v18, vcc_lo, v28, v18, vcc_lo
.LBB199_77:                             ;   in Loop: Header=BB199_66 Depth=1
	s_or_b32 exec_lo, exec_lo, s11
	s_waitcnt lgkmcnt(1)
	ds_bpermute_b32 v55, v49, v27
	s_waitcnt lgkmcnt(1)
	ds_bpermute_b32 v28, v49, v18
	s_mov_b32 s11, exec_lo
	v_cmpx_le_u32_e64 v50, v20
	;; [unrolled: 17-line block ×3, first 2 shown]
	s_cbranch_execz .LBB199_81
; %bb.80:                               ;   in Loop: Header=BB199_66 Depth=1
	s_waitcnt lgkmcnt(1)
	v_add_co_u32 v27, vcc_lo, v17, v55
	v_add_co_ci_u32_e32 v18, vcc_lo, 0, v18, vcc_lo
	s_delay_alu instid0(VALU_DEP_2) | instskip(SKIP_1) | instid1(VALU_DEP_2)
	v_add_co_u32 v17, vcc_lo, 0, v27
	s_waitcnt lgkmcnt(0)
	v_add_co_ci_u32_e32 v18, vcc_lo, v28, v18, vcc_lo
.LBB199_81:                             ;   in Loop: Header=BB199_66 Depth=1
	s_or_b32 exec_lo, exec_lo, s11
	s_waitcnt lgkmcnt(0)
	ds_bpermute_b32 v28, v53, v27
	ds_bpermute_b32 v27, v53, v18
	s_mov_b32 s11, exec_lo
	v_cmpx_le_u32_e64 v54, v20
	s_cbranch_execz .LBB199_65
; %bb.82:                               ;   in Loop: Header=BB199_66 Depth=1
	s_waitcnt lgkmcnt(1)
	v_add_co_u32 v17, vcc_lo, v17, v28
	v_add_co_ci_u32_e32 v18, vcc_lo, 0, v18, vcc_lo
	s_delay_alu instid0(VALU_DEP_2) | instskip(SKIP_1) | instid1(VALU_DEP_2)
	v_add_co_u32 v17, vcc_lo, v17, 0
	s_waitcnt lgkmcnt(0)
	v_add_co_ci_u32_e32 v18, vcc_lo, v18, v27, vcc_lo
	s_branch .LBB199_65
.LBB199_83:                             ;   in Loop: Header=BB199_66 Depth=1
                                        ; implicit-def: $vgpr17_vgpr18
	s_cbranch_execz .LBB199_66
; %bb.84:
	s_and_saveexec_b32 s11, s1
	s_cbranch_execz .LBB199_86
; %bb.85:
	s_add_i32 s16, s9, 32
	s_mov_b32 s17, 0
	v_add_co_u32 v17, vcc_lo, v15, v13
	s_lshl_b64 s[16:17], s[16:17], 4
	v_dual_mov_b32 v19, 2 :: v_dual_mov_b32 v20, 0
	s_add_u32 s16, s14, s16
	s_addc_u32 s17, s15, s17
	v_add_co_ci_u32_e32 v18, vcc_lo, v16, v14, vcc_lo
	v_dual_mov_b32 v26, s17 :: v_dual_mov_b32 v25, s16
	;;#ASMSTART
	global_store_dwordx4 v[25:26], v[17:20] off	
s_waitcnt vmcnt(0)
	;;#ASMEND
	ds_store_b128 v20, v[13:16] offset:6144
.LBB199_86:
	s_or_b32 exec_lo, exec_lo, s11
	s_delay_alu instid0(SALU_CYCLE_1)
	s_and_b32 exec_lo, exec_lo, s2
	s_cbranch_execz .LBB199_88
; %bb.87:
	v_mov_b32_e32 v13, 0
	ds_store_b64 v13, v[15:16] offset:24
.LBB199_88:
	s_or_b32 exec_lo, exec_lo, s10
	v_mov_b32_e32 v15, 0
	s_waitcnt lgkmcnt(0)
	s_barrier
	buffer_gl0_inv
	v_cndmask_b32_e64 v16, v29, v23, s1
	ds_load_b64 v[13:14], v15 offset:24
	v_cndmask_b32_e64 v17, v30, v24, s1
	s_waitcnt lgkmcnt(0)
	s_barrier
	v_cndmask_b32_e64 v16, v16, 0, s2
	buffer_gl0_inv
	v_cndmask_b32_e64 v17, v17, 0, s2
	v_add_co_u32 v29, vcc_lo, v13, v16
	s_delay_alu instid0(VALU_DEP_2) | instskip(SKIP_3) | instid1(VALU_DEP_2)
	v_add_co_ci_u32_e32 v30, vcc_lo, v14, v17, vcc_lo
	ds_load_b128 v[13:16], v15 offset:6144
	v_add_co_u32 v27, vcc_lo, v29, v41
	v_add_co_ci_u32_e32 v28, vcc_lo, 0, v30, vcc_lo
	v_add_co_u32 v25, vcc_lo, v27, v40
	s_delay_alu instid0(VALU_DEP_2) | instskip(NEXT) | instid1(VALU_DEP_2)
	v_add_co_ci_u32_e32 v26, vcc_lo, 0, v28, vcc_lo
	v_add_co_u32 v23, vcc_lo, v25, v39
	s_delay_alu instid0(VALU_DEP_2) | instskip(NEXT) | instid1(VALU_DEP_2)
	;; [unrolled: 3-line block ×3, first 2 shown]
	v_add_co_ci_u32_e32 v20, vcc_lo, 0, v24, vcc_lo
	v_add_co_u32 v17, vcc_lo, v19, v37
	s_delay_alu instid0(VALU_DEP_2)
	v_add_co_ci_u32_e32 v18, vcc_lo, 0, v20, vcc_lo
.LBB199_89:
	s_waitcnt lgkmcnt(0)
	v_cmp_gt_u64_e32 vcc_lo, 0x81, v[13:14]
	s_mov_b32 s0, -1
	s_cbranch_vccnz .LBB199_117
.LBB199_90:
	s_and_b32 vcc_lo, exec_lo, s0
	s_cbranch_vccnz .LBB199_136
.LBB199_91:
	s_and_b32 s0, s2, s3
	s_delay_alu instid0(SALU_CYCLE_1)
	s_and_saveexec_b32 s1, s0
	s_cbranch_execnz .LBB199_152
.LBB199_92:
	s_nop 0
	s_sendmsg sendmsg(MSG_DEALLOC_VGPRS)
	s_endpgm
.LBB199_93:
                                        ; kill: def $vgpr13_vgpr14 killed $sgpr0_sgpr1 killed $exec
                                        ; implicit-def: $vgpr17_vgpr18
                                        ; implicit-def: $vgpr19_vgpr20
                                        ; implicit-def: $vgpr23_vgpr24
                                        ; implicit-def: $vgpr25_vgpr26
                                        ; implicit-def: $vgpr27_vgpr28
                                        ; implicit-def: $vgpr29_vgpr30
                                        ; implicit-def: $vgpr15_vgpr16
	s_and_b32 vcc_lo, exec_lo, s1
	s_cbranch_vccz .LBB199_89
; %bb.94:
	s_waitcnt lgkmcnt(0)
	v_dual_mov_b32 v14, 0 :: v_dual_mov_b32 v15, v21
	v_mov_b32_dpp v16, v21 row_shr:1 row_mask:0xf bank_mask:0xf
	s_delay_alu instid0(VALU_DEP_2)
	v_mov_b32_dpp v13, v14 row_shr:1 row_mask:0xf bank_mask:0xf
	s_and_saveexec_b32 s1, s0
; %bb.95:
	s_delay_alu instid0(VALU_DEP_2) | instskip(SKIP_1) | instid1(VALU_DEP_2)
	v_add_co_u32 v15, vcc_lo, v21, v16
	v_add_co_ci_u32_e32 v14, vcc_lo, 0, v22, vcc_lo
	v_add_co_u32 v21, vcc_lo, 0, v15
	s_delay_alu instid0(VALU_DEP_2) | instskip(NEXT) | instid1(VALU_DEP_1)
	v_add_co_ci_u32_e32 v22, vcc_lo, v13, v14, vcc_lo
	v_mov_b32_e32 v14, v22
; %bb.96:
	s_or_b32 exec_lo, exec_lo, s1
	v_mov_b32_dpp v13, v15 row_shr:2 row_mask:0xf bank_mask:0xf
	s_delay_alu instid0(VALU_DEP_2)
	v_mov_b32_dpp v16, v14 row_shr:2 row_mask:0xf bank_mask:0xf
	s_mov_b32 s0, exec_lo
	v_cmpx_lt_u32_e32 1, v44
; %bb.97:
	s_delay_alu instid0(VALU_DEP_3) | instskip(SKIP_1) | instid1(VALU_DEP_2)
	v_add_co_u32 v15, vcc_lo, v21, v13
	v_add_co_ci_u32_e32 v14, vcc_lo, 0, v22, vcc_lo
	v_add_co_u32 v13, vcc_lo, 0, v15
	s_delay_alu instid0(VALU_DEP_2) | instskip(NEXT) | instid1(VALU_DEP_1)
	v_add_co_ci_u32_e32 v14, vcc_lo, v16, v14, vcc_lo
	v_dual_mov_b32 v22, v14 :: v_dual_mov_b32 v21, v13
; %bb.98:
	s_or_b32 exec_lo, exec_lo, s0
	v_mov_b32_dpp v13, v15 row_shr:4 row_mask:0xf bank_mask:0xf
	v_mov_b32_dpp v16, v14 row_shr:4 row_mask:0xf bank_mask:0xf
	s_mov_b32 s0, exec_lo
	v_cmpx_lt_u32_e32 3, v44
; %bb.99:
	s_delay_alu instid0(VALU_DEP_3) | instskip(SKIP_1) | instid1(VALU_DEP_2)
	v_add_co_u32 v15, vcc_lo, v21, v13
	v_add_co_ci_u32_e32 v14, vcc_lo, 0, v22, vcc_lo
	v_add_co_u32 v13, vcc_lo, 0, v15
	s_delay_alu instid0(VALU_DEP_2) | instskip(NEXT) | instid1(VALU_DEP_1)
	v_add_co_ci_u32_e32 v14, vcc_lo, v16, v14, vcc_lo
	v_dual_mov_b32 v22, v14 :: v_dual_mov_b32 v21, v13
; %bb.100:
	s_or_b32 exec_lo, exec_lo, s0
	v_mov_b32_dpp v16, v15 row_shr:8 row_mask:0xf bank_mask:0xf
	v_mov_b32_dpp v13, v14 row_shr:8 row_mask:0xf bank_mask:0xf
	s_mov_b32 s0, exec_lo
	v_cmpx_lt_u32_e32 7, v44
; %bb.101:
	s_delay_alu instid0(VALU_DEP_3) | instskip(SKIP_1) | instid1(VALU_DEP_2)
	v_add_co_u32 v15, vcc_lo, v21, v16
	v_add_co_ci_u32_e32 v14, vcc_lo, 0, v22, vcc_lo
	v_add_co_u32 v21, vcc_lo, 0, v15
	s_delay_alu instid0(VALU_DEP_2) | instskip(NEXT) | instid1(VALU_DEP_1)
	v_add_co_ci_u32_e32 v22, vcc_lo, v13, v14, vcc_lo
	v_mov_b32_e32 v14, v22
; %bb.102:
	s_or_b32 exec_lo, exec_lo, s0
	ds_swizzle_b32 v15, v15 offset:swizzle(BROADCAST,32,15)
	ds_swizzle_b32 v13, v14 offset:swizzle(BROADCAST,32,15)
	v_and_b32_e32 v14, 16, v42
	s_mov_b32 s0, exec_lo
	s_delay_alu instid0(VALU_DEP_1)
	v_cmpx_ne_u32_e32 0, v14
	s_cbranch_execz .LBB199_104
; %bb.103:
	s_waitcnt lgkmcnt(1)
	v_add_co_u32 v14, vcc_lo, v21, v15
	v_add_co_ci_u32_e32 v15, vcc_lo, 0, v22, vcc_lo
	s_delay_alu instid0(VALU_DEP_2) | instskip(SKIP_1) | instid1(VALU_DEP_2)
	v_add_co_u32 v21, vcc_lo, v14, 0
	s_waitcnt lgkmcnt(0)
	v_add_co_ci_u32_e32 v22, vcc_lo, v15, v13, vcc_lo
.LBB199_104:
	s_or_b32 exec_lo, exec_lo, s0
	s_waitcnt lgkmcnt(0)
	v_or_b32_e32 v13, 31, v0
	v_lshrrev_b32_e32 v15, 5, v0
	s_mov_b32 s0, exec_lo
	s_delay_alu instid0(VALU_DEP_2)
	v_cmpx_eq_u32_e64 v13, v0
	s_cbranch_execz .LBB199_106
; %bb.105:
	s_delay_alu instid0(VALU_DEP_2)
	v_lshlrev_b32_e32 v13, 3, v15
	ds_store_b64 v13, v[21:22]
.LBB199_106:
	s_or_b32 exec_lo, exec_lo, s0
	s_delay_alu instid0(SALU_CYCLE_1)
	s_mov_b32 s0, exec_lo
	s_waitcnt lgkmcnt(0)
	s_barrier
	buffer_gl0_inv
	v_cmpx_gt_u32_e32 4, v0
	s_cbranch_execz .LBB199_112
; %bb.107:
	v_lshlrev_b32_e32 v13, 1, v0
	s_mov_b32 s1, exec_lo
	s_delay_alu instid0(VALU_DEP_1)
	v_add_nc_u32_e32 v16, v43, v13
	ds_load_b64 v[13:14], v16
	s_waitcnt lgkmcnt(0)
	v_dual_mov_b32 v18, v13 :: v_dual_and_b32 v17, 3, v42
	v_mov_b32_dpp v20, v13 row_shr:1 row_mask:0xf bank_mask:0xf
	v_mov_b32_dpp v19, v14 row_shr:1 row_mask:0xf bank_mask:0xf
	s_delay_alu instid0(VALU_DEP_3)
	v_cmpx_ne_u32_e32 0, v17
; %bb.108:
	s_delay_alu instid0(VALU_DEP_3) | instskip(SKIP_1) | instid1(VALU_DEP_2)
	v_add_co_u32 v18, vcc_lo, v13, v20
	v_add_co_ci_u32_e32 v14, vcc_lo, 0, v14, vcc_lo
	v_add_co_u32 v13, vcc_lo, 0, v18
	s_delay_alu instid0(VALU_DEP_2)
	v_add_co_ci_u32_e32 v14, vcc_lo, v19, v14, vcc_lo
; %bb.109:
	s_or_b32 exec_lo, exec_lo, s1
	v_mov_b32_dpp v19, v18 row_shr:2 row_mask:0xf bank_mask:0xf
	s_delay_alu instid0(VALU_DEP_2)
	v_mov_b32_dpp v18, v14 row_shr:2 row_mask:0xf bank_mask:0xf
	s_mov_b32 s1, exec_lo
	v_cmpx_lt_u32_e32 1, v17
; %bb.110:
	s_delay_alu instid0(VALU_DEP_3) | instskip(SKIP_1) | instid1(VALU_DEP_2)
	v_add_co_u32 v13, vcc_lo, v13, v19
	v_add_co_ci_u32_e32 v14, vcc_lo, 0, v14, vcc_lo
	v_add_co_u32 v13, vcc_lo, v13, 0
	s_delay_alu instid0(VALU_DEP_2)
	v_add_co_ci_u32_e32 v14, vcc_lo, v14, v18, vcc_lo
; %bb.111:
	s_or_b32 exec_lo, exec_lo, s1
	ds_store_b64 v16, v[13:14]
.LBB199_112:
	s_or_b32 exec_lo, exec_lo, s0
	v_mov_b32_e32 v17, 0
	v_mov_b32_e32 v18, 0
	s_mov_b32 s0, exec_lo
	s_waitcnt lgkmcnt(0)
	s_barrier
	buffer_gl0_inv
	v_cmpx_lt_u32_e32 31, v0
	s_cbranch_execz .LBB199_114
; %bb.113:
	v_lshl_add_u32 v13, v15, 3, -8
	ds_load_b64 v[17:18], v13
.LBB199_114:
	s_or_b32 exec_lo, exec_lo, s0
	v_dual_mov_b32 v16, 0 :: v_dual_add_nc_u32 v13, -1, v42
	s_delay_alu instid0(VALU_DEP_1) | instskip(SKIP_4) | instid1(VALU_DEP_3)
	v_cmp_gt_i32_e32 vcc_lo, 0, v13
	v_cndmask_b32_e32 v13, v13, v42, vcc_lo
	s_waitcnt lgkmcnt(0)
	v_add_co_u32 v14, vcc_lo, v17, v21
	v_add_co_ci_u32_e32 v15, vcc_lo, v18, v22, vcc_lo
	v_lshlrev_b32_e32 v13, 2, v13
	ds_bpermute_b32 v19, v13, v14
	ds_bpermute_b32 v20, v13, v15
	ds_load_b64 v[13:14], v16 offset:24
	s_and_saveexec_b32 s0, s2
	s_cbranch_execz .LBB199_116
; %bb.115:
	s_add_u32 s10, s14, 0x200
	s_addc_u32 s11, s15, 0
	s_delay_alu instid0(SALU_CYCLE_1)
	v_dual_mov_b32 v15, 2 :: v_dual_mov_b32 v22, s11
	v_mov_b32_e32 v21, s10
	s_waitcnt lgkmcnt(0)
	;;#ASMSTART
	global_store_dwordx4 v[21:22], v[13:16] off	
s_waitcnt vmcnt(0)
	;;#ASMEND
.LBB199_116:
	s_or_b32 exec_lo, exec_lo, s0
	v_cmp_eq_u32_e32 vcc_lo, 0, v42
	s_waitcnt lgkmcnt(0)
	s_barrier
	buffer_gl0_inv
	v_dual_cndmask_b32 v15, v19, v17 :: v_dual_cndmask_b32 v16, v20, v18
	s_delay_alu instid0(VALU_DEP_1) | instskip(NEXT) | instid1(VALU_DEP_2)
	v_cndmask_b32_e64 v29, v15, 0, s2
	v_cndmask_b32_e64 v30, v16, 0, s2
	v_mov_b32_e32 v15, 0
	v_mov_b32_e32 v16, 0
	s_delay_alu instid0(VALU_DEP_4) | instskip(NEXT) | instid1(VALU_DEP_4)
	v_add_co_u32 v27, vcc_lo, v29, v41
	v_add_co_ci_u32_e32 v28, vcc_lo, 0, v30, vcc_lo
	s_delay_alu instid0(VALU_DEP_2) | instskip(NEXT) | instid1(VALU_DEP_2)
	v_add_co_u32 v25, vcc_lo, v27, v40
	v_add_co_ci_u32_e32 v26, vcc_lo, 0, v28, vcc_lo
	s_delay_alu instid0(VALU_DEP_2) | instskip(NEXT) | instid1(VALU_DEP_2)
	;; [unrolled: 3-line block ×4, first 2 shown]
	v_add_co_u32 v17, vcc_lo, v19, v37
	v_add_co_ci_u32_e32 v18, vcc_lo, 0, v20, vcc_lo
	v_cmp_gt_u64_e32 vcc_lo, 0x81, v[13:14]
	s_mov_b32 s0, -1
	s_cbranch_vccz .LBB199_90
.LBB199_117:
	v_add_co_u32 v21, vcc_lo, v15, v13
	v_add_co_ci_u32_e32 v22, vcc_lo, v16, v14, vcc_lo
	s_delay_alu instid0(VALU_DEP_1) | instskip(SKIP_1) | instid1(SALU_CYCLE_1)
	v_cmp_lt_u64_e32 vcc_lo, v[29:30], v[21:22]
	s_or_b32 s1, s8, vcc_lo
	s_and_saveexec_b32 s0, s1
	s_cbranch_execz .LBB199_120
; %bb.118:
	v_and_b32_e32 v37, 1, v36
	s_delay_alu instid0(VALU_DEP_1)
	v_cmp_eq_u32_e32 vcc_lo, 1, v37
	s_and_b32 exec_lo, exec_lo, vcc_lo
	s_cbranch_execz .LBB199_120
; %bb.119:
	v_lshlrev_b64 v[37:38], 3, v[29:30]
	s_lshl_b64 s[10:11], s[6:7], 3
	s_delay_alu instid0(SALU_CYCLE_1) | instskip(SKIP_1) | instid1(VALU_DEP_1)
	s_add_u32 s1, s12, s10
	s_addc_u32 s9, s13, s11
	v_add_co_u32 v37, vcc_lo, s1, v37
	s_delay_alu instid0(VALU_DEP_2)
	v_add_co_ci_u32_e32 v38, vcc_lo, s9, v38, vcc_lo
	global_store_b64 v[37:38], v[9:10], off
.LBB199_120:
	s_or_b32 exec_lo, exec_lo, s0
	v_cmp_lt_u64_e32 vcc_lo, v[27:28], v[21:22]
	s_or_b32 s1, s8, vcc_lo
	s_delay_alu instid0(SALU_CYCLE_1)
	s_and_saveexec_b32 s0, s1
	s_cbranch_execz .LBB199_123
; %bb.121:
	v_and_b32_e32 v30, 1, v34
	s_delay_alu instid0(VALU_DEP_1)
	v_cmp_eq_u32_e32 vcc_lo, 1, v30
	s_and_b32 exec_lo, exec_lo, vcc_lo
	s_cbranch_execz .LBB199_123
; %bb.122:
	v_lshlrev_b64 v[37:38], 3, v[27:28]
	s_lshl_b64 s[10:11], s[6:7], 3
	s_delay_alu instid0(SALU_CYCLE_1) | instskip(SKIP_1) | instid1(VALU_DEP_1)
	s_add_u32 s1, s12, s10
	s_addc_u32 s9, s13, s11
	v_add_co_u32 v37, vcc_lo, s1, v37
	s_delay_alu instid0(VALU_DEP_2)
	v_add_co_ci_u32_e32 v38, vcc_lo, s9, v38, vcc_lo
	global_store_b64 v[37:38], v[11:12], off
.LBB199_123:
	s_or_b32 exec_lo, exec_lo, s0
	v_cmp_lt_u64_e32 vcc_lo, v[25:26], v[21:22]
	s_or_b32 s1, s8, vcc_lo
	s_delay_alu instid0(SALU_CYCLE_1)
	;; [unrolled: 23-line block ×5, first 2 shown]
	s_and_saveexec_b32 s0, s1
	s_cbranch_execz .LBB199_135
; %bb.133:
	v_and_b32_e32 v20, 1, v32
	s_delay_alu instid0(VALU_DEP_1)
	v_cmp_eq_u32_e32 vcc_lo, 1, v20
	s_and_b32 exec_lo, exec_lo, vcc_lo
	s_cbranch_execz .LBB199_135
; %bb.134:
	v_lshlrev_b64 v[20:21], 3, v[17:18]
	s_lshl_b64 s[8:9], s[6:7], 3
	s_delay_alu instid0(SALU_CYCLE_1) | instskip(SKIP_1) | instid1(VALU_DEP_1)
	s_add_u32 s1, s12, s8
	s_addc_u32 s8, s13, s9
	v_add_co_u32 v20, vcc_lo, s1, v20
	s_delay_alu instid0(VALU_DEP_2)
	v_add_co_ci_u32_e32 v21, vcc_lo, s8, v21, vcc_lo
	global_store_b64 v[20:21], v[3:4], off
.LBB199_135:
	s_or_b32 exec_lo, exec_lo, s0
	s_branch .LBB199_91
.LBB199_136:
	v_and_b32_e32 v18, 1, v36
	s_mov_b32 s0, exec_lo
	s_delay_alu instid0(VALU_DEP_1)
	v_cmpx_eq_u32_e32 1, v18
	s_cbranch_execz .LBB199_138
; %bb.137:
	v_sub_nc_u32_e32 v18, v29, v15
	s_delay_alu instid0(VALU_DEP_1)
	v_lshlrev_b32_e32 v18, 3, v18
	ds_store_b64 v18, v[9:10]
.LBB199_138:
	s_or_b32 exec_lo, exec_lo, s0
	v_and_b32_e32 v9, 1, v34
	s_mov_b32 s0, exec_lo
	s_delay_alu instid0(VALU_DEP_1)
	v_cmpx_eq_u32_e32 1, v9
	s_cbranch_execz .LBB199_140
; %bb.139:
	v_sub_nc_u32_e32 v9, v27, v15
	s_delay_alu instid0(VALU_DEP_1)
	v_lshlrev_b32_e32 v9, 3, v9
	ds_store_b64 v9, v[11:12]
.LBB199_140:
	s_or_b32 exec_lo, exec_lo, s0
	;; [unrolled: 12-line block ×6, first 2 shown]
	v_mov_b32_e32 v1, 0
	s_mov_b32 s1, exec_lo
	s_waitcnt lgkmcnt(0)
	s_waitcnt_vscnt null, 0x0
	s_barrier
	buffer_gl0_inv
	v_cmpx_gt_u64_e64 v[13:14], v[0:1]
	s_cbranch_execz .LBB199_151
; %bb.149:
	v_lshlrev_b64 v[4:5], 3, v[15:16]
	s_lshl_b64 s[8:9], s[6:7], 3
	v_dual_mov_b32 v3, v1 :: v_dual_mov_b32 v2, v0
	v_or_b32_e32 v0, 0x80, v0
	s_delay_alu instid0(VALU_DEP_3) | instskip(NEXT) | instid1(VALU_DEP_4)
	v_add_co_u32 v4, vcc_lo, s12, v4
	v_add_co_ci_u32_e32 v5, vcc_lo, s13, v5, vcc_lo
	s_delay_alu instid0(VALU_DEP_2) | instskip(NEXT) | instid1(VALU_DEP_2)
	v_add_co_u32 v4, vcc_lo, v4, s8
	v_add_co_ci_u32_e32 v5, vcc_lo, s9, v5, vcc_lo
	s_mov_b32 s8, 0
	.p2align	6
.LBB199_150:                            ; =>This Inner Loop Header: Depth=1
	v_lshlrev_b32_e32 v6, 3, v2
	v_lshlrev_b64 v[8:9], 3, v[2:3]
	v_mov_b32_e32 v3, v1
	v_cmp_le_u64_e32 vcc_lo, v[13:14], v[0:1]
	v_mov_b32_e32 v2, v0
	ds_load_b64 v[6:7], v6
	v_add_nc_u32_e32 v0, 0x80, v0
	v_add_co_u32 v8, s0, v4, v8
	s_delay_alu instid0(VALU_DEP_1)
	v_add_co_ci_u32_e64 v9, s0, v5, v9, s0
	s_or_b32 s8, vcc_lo, s8
	s_waitcnt lgkmcnt(0)
	global_store_b64 v[8:9], v[6:7], off
	s_and_not1_b32 exec_lo, exec_lo, s8
	s_cbranch_execnz .LBB199_150
.LBB199_151:
	s_or_b32 exec_lo, exec_lo, s1
	s_and_b32 s0, s2, s3
	s_delay_alu instid0(SALU_CYCLE_1)
	s_and_saveexec_b32 s1, s0
	s_cbranch_execz .LBB199_92
.LBB199_152:
	v_add_co_u32 v0, vcc_lo, v15, v13
	v_add_co_ci_u32_e32 v1, vcc_lo, v16, v14, vcc_lo
	v_mov_b32_e32 v2, 0
	s_delay_alu instid0(VALU_DEP_3) | instskip(NEXT) | instid1(VALU_DEP_3)
	v_add_co_u32 v0, vcc_lo, v0, s6
	v_add_co_ci_u32_e32 v1, vcc_lo, s7, v1, vcc_lo
	global_store_b64 v2, v[0:1], s[4:5]
	s_nop 0
	s_sendmsg sendmsg(MSG_DEALLOC_VGPRS)
	s_endpgm
	.section	.rodata,"a",@progbits
	.p2align	6, 0x0
	.amdhsa_kernel _ZN7rocprim17ROCPRIM_400000_NS6detail17trampoline_kernelINS0_14default_configENS1_25partition_config_selectorILNS1_17partition_subalgoE5ElNS0_10empty_typeEbEEZZNS1_14partition_implILS5_5ELb0ES3_mN6hipcub16HIPCUB_304000_NS21CountingInputIteratorIllEEPS6_NSA_22TransformInputIteratorIb7NonZeroIiEPilEENS0_5tupleIJPlS6_EEENSJ_IJSD_SD_EEES6_SK_JS6_EEE10hipError_tPvRmT3_T4_T5_T6_T7_T9_mT8_P12ihipStream_tbDpT10_ENKUlT_T0_E_clISt17integral_constantIbLb1EES16_EEDaS11_S12_EUlS11_E_NS1_11comp_targetILNS1_3genE9ELNS1_11target_archE1100ELNS1_3gpuE3ELNS1_3repE0EEENS1_30default_config_static_selectorELNS0_4arch9wavefront6targetE0EEEvT1_
		.amdhsa_group_segment_fixed_size 6160
		.amdhsa_private_segment_fixed_size 0
		.amdhsa_kernarg_size 136
		.amdhsa_user_sgpr_count 15
		.amdhsa_user_sgpr_dispatch_ptr 0
		.amdhsa_user_sgpr_queue_ptr 0
		.amdhsa_user_sgpr_kernarg_segment_ptr 1
		.amdhsa_user_sgpr_dispatch_id 0
		.amdhsa_user_sgpr_private_segment_size 0
		.amdhsa_wavefront_size32 1
		.amdhsa_uses_dynamic_stack 0
		.amdhsa_enable_private_segment 0
		.amdhsa_system_sgpr_workgroup_id_x 1
		.amdhsa_system_sgpr_workgroup_id_y 0
		.amdhsa_system_sgpr_workgroup_id_z 0
		.amdhsa_system_sgpr_workgroup_info 0
		.amdhsa_system_vgpr_workitem_id 0
		.amdhsa_next_free_vgpr 57
		.amdhsa_next_free_sgpr 24
		.amdhsa_reserve_vcc 1
		.amdhsa_float_round_mode_32 0
		.amdhsa_float_round_mode_16_64 0
		.amdhsa_float_denorm_mode_32 3
		.amdhsa_float_denorm_mode_16_64 3
		.amdhsa_dx10_clamp 1
		.amdhsa_ieee_mode 1
		.amdhsa_fp16_overflow 0
		.amdhsa_workgroup_processor_mode 1
		.amdhsa_memory_ordered 1
		.amdhsa_forward_progress 0
		.amdhsa_shared_vgpr_count 0
		.amdhsa_exception_fp_ieee_invalid_op 0
		.amdhsa_exception_fp_denorm_src 0
		.amdhsa_exception_fp_ieee_div_zero 0
		.amdhsa_exception_fp_ieee_overflow 0
		.amdhsa_exception_fp_ieee_underflow 0
		.amdhsa_exception_fp_ieee_inexact 0
		.amdhsa_exception_int_div_zero 0
	.end_amdhsa_kernel
	.section	.text._ZN7rocprim17ROCPRIM_400000_NS6detail17trampoline_kernelINS0_14default_configENS1_25partition_config_selectorILNS1_17partition_subalgoE5ElNS0_10empty_typeEbEEZZNS1_14partition_implILS5_5ELb0ES3_mN6hipcub16HIPCUB_304000_NS21CountingInputIteratorIllEEPS6_NSA_22TransformInputIteratorIb7NonZeroIiEPilEENS0_5tupleIJPlS6_EEENSJ_IJSD_SD_EEES6_SK_JS6_EEE10hipError_tPvRmT3_T4_T5_T6_T7_T9_mT8_P12ihipStream_tbDpT10_ENKUlT_T0_E_clISt17integral_constantIbLb1EES16_EEDaS11_S12_EUlS11_E_NS1_11comp_targetILNS1_3genE9ELNS1_11target_archE1100ELNS1_3gpuE3ELNS1_3repE0EEENS1_30default_config_static_selectorELNS0_4arch9wavefront6targetE0EEEvT1_,"axG",@progbits,_ZN7rocprim17ROCPRIM_400000_NS6detail17trampoline_kernelINS0_14default_configENS1_25partition_config_selectorILNS1_17partition_subalgoE5ElNS0_10empty_typeEbEEZZNS1_14partition_implILS5_5ELb0ES3_mN6hipcub16HIPCUB_304000_NS21CountingInputIteratorIllEEPS6_NSA_22TransformInputIteratorIb7NonZeroIiEPilEENS0_5tupleIJPlS6_EEENSJ_IJSD_SD_EEES6_SK_JS6_EEE10hipError_tPvRmT3_T4_T5_T6_T7_T9_mT8_P12ihipStream_tbDpT10_ENKUlT_T0_E_clISt17integral_constantIbLb1EES16_EEDaS11_S12_EUlS11_E_NS1_11comp_targetILNS1_3genE9ELNS1_11target_archE1100ELNS1_3gpuE3ELNS1_3repE0EEENS1_30default_config_static_selectorELNS0_4arch9wavefront6targetE0EEEvT1_,comdat
.Lfunc_end199:
	.size	_ZN7rocprim17ROCPRIM_400000_NS6detail17trampoline_kernelINS0_14default_configENS1_25partition_config_selectorILNS1_17partition_subalgoE5ElNS0_10empty_typeEbEEZZNS1_14partition_implILS5_5ELb0ES3_mN6hipcub16HIPCUB_304000_NS21CountingInputIteratorIllEEPS6_NSA_22TransformInputIteratorIb7NonZeroIiEPilEENS0_5tupleIJPlS6_EEENSJ_IJSD_SD_EEES6_SK_JS6_EEE10hipError_tPvRmT3_T4_T5_T6_T7_T9_mT8_P12ihipStream_tbDpT10_ENKUlT_T0_E_clISt17integral_constantIbLb1EES16_EEDaS11_S12_EUlS11_E_NS1_11comp_targetILNS1_3genE9ELNS1_11target_archE1100ELNS1_3gpuE3ELNS1_3repE0EEENS1_30default_config_static_selectorELNS0_4arch9wavefront6targetE0EEEvT1_, .Lfunc_end199-_ZN7rocprim17ROCPRIM_400000_NS6detail17trampoline_kernelINS0_14default_configENS1_25partition_config_selectorILNS1_17partition_subalgoE5ElNS0_10empty_typeEbEEZZNS1_14partition_implILS5_5ELb0ES3_mN6hipcub16HIPCUB_304000_NS21CountingInputIteratorIllEEPS6_NSA_22TransformInputIteratorIb7NonZeroIiEPilEENS0_5tupleIJPlS6_EEENSJ_IJSD_SD_EEES6_SK_JS6_EEE10hipError_tPvRmT3_T4_T5_T6_T7_T9_mT8_P12ihipStream_tbDpT10_ENKUlT_T0_E_clISt17integral_constantIbLb1EES16_EEDaS11_S12_EUlS11_E_NS1_11comp_targetILNS1_3genE9ELNS1_11target_archE1100ELNS1_3gpuE3ELNS1_3repE0EEENS1_30default_config_static_selectorELNS0_4arch9wavefront6targetE0EEEvT1_
                                        ; -- End function
	.section	.AMDGPU.csdata,"",@progbits
; Kernel info:
; codeLenInByte = 6608
; NumSgprs: 26
; NumVgprs: 57
; ScratchSize: 0
; MemoryBound: 0
; FloatMode: 240
; IeeeMode: 1
; LDSByteSize: 6160 bytes/workgroup (compile time only)
; SGPRBlocks: 3
; VGPRBlocks: 7
; NumSGPRsForWavesPerEU: 26
; NumVGPRsForWavesPerEU: 57
; Occupancy: 16
; WaveLimiterHint : 1
; COMPUTE_PGM_RSRC2:SCRATCH_EN: 0
; COMPUTE_PGM_RSRC2:USER_SGPR: 15
; COMPUTE_PGM_RSRC2:TRAP_HANDLER: 0
; COMPUTE_PGM_RSRC2:TGID_X_EN: 1
; COMPUTE_PGM_RSRC2:TGID_Y_EN: 0
; COMPUTE_PGM_RSRC2:TGID_Z_EN: 0
; COMPUTE_PGM_RSRC2:TIDIG_COMP_CNT: 0
	.section	.text._ZN7rocprim17ROCPRIM_400000_NS6detail17trampoline_kernelINS0_14default_configENS1_25partition_config_selectorILNS1_17partition_subalgoE5ElNS0_10empty_typeEbEEZZNS1_14partition_implILS5_5ELb0ES3_mN6hipcub16HIPCUB_304000_NS21CountingInputIteratorIllEEPS6_NSA_22TransformInputIteratorIb7NonZeroIiEPilEENS0_5tupleIJPlS6_EEENSJ_IJSD_SD_EEES6_SK_JS6_EEE10hipError_tPvRmT3_T4_T5_T6_T7_T9_mT8_P12ihipStream_tbDpT10_ENKUlT_T0_E_clISt17integral_constantIbLb1EES16_EEDaS11_S12_EUlS11_E_NS1_11comp_targetILNS1_3genE8ELNS1_11target_archE1030ELNS1_3gpuE2ELNS1_3repE0EEENS1_30default_config_static_selectorELNS0_4arch9wavefront6targetE0EEEvT1_,"axG",@progbits,_ZN7rocprim17ROCPRIM_400000_NS6detail17trampoline_kernelINS0_14default_configENS1_25partition_config_selectorILNS1_17partition_subalgoE5ElNS0_10empty_typeEbEEZZNS1_14partition_implILS5_5ELb0ES3_mN6hipcub16HIPCUB_304000_NS21CountingInputIteratorIllEEPS6_NSA_22TransformInputIteratorIb7NonZeroIiEPilEENS0_5tupleIJPlS6_EEENSJ_IJSD_SD_EEES6_SK_JS6_EEE10hipError_tPvRmT3_T4_T5_T6_T7_T9_mT8_P12ihipStream_tbDpT10_ENKUlT_T0_E_clISt17integral_constantIbLb1EES16_EEDaS11_S12_EUlS11_E_NS1_11comp_targetILNS1_3genE8ELNS1_11target_archE1030ELNS1_3gpuE2ELNS1_3repE0EEENS1_30default_config_static_selectorELNS0_4arch9wavefront6targetE0EEEvT1_,comdat
	.protected	_ZN7rocprim17ROCPRIM_400000_NS6detail17trampoline_kernelINS0_14default_configENS1_25partition_config_selectorILNS1_17partition_subalgoE5ElNS0_10empty_typeEbEEZZNS1_14partition_implILS5_5ELb0ES3_mN6hipcub16HIPCUB_304000_NS21CountingInputIteratorIllEEPS6_NSA_22TransformInputIteratorIb7NonZeroIiEPilEENS0_5tupleIJPlS6_EEENSJ_IJSD_SD_EEES6_SK_JS6_EEE10hipError_tPvRmT3_T4_T5_T6_T7_T9_mT8_P12ihipStream_tbDpT10_ENKUlT_T0_E_clISt17integral_constantIbLb1EES16_EEDaS11_S12_EUlS11_E_NS1_11comp_targetILNS1_3genE8ELNS1_11target_archE1030ELNS1_3gpuE2ELNS1_3repE0EEENS1_30default_config_static_selectorELNS0_4arch9wavefront6targetE0EEEvT1_ ; -- Begin function _ZN7rocprim17ROCPRIM_400000_NS6detail17trampoline_kernelINS0_14default_configENS1_25partition_config_selectorILNS1_17partition_subalgoE5ElNS0_10empty_typeEbEEZZNS1_14partition_implILS5_5ELb0ES3_mN6hipcub16HIPCUB_304000_NS21CountingInputIteratorIllEEPS6_NSA_22TransformInputIteratorIb7NonZeroIiEPilEENS0_5tupleIJPlS6_EEENSJ_IJSD_SD_EEES6_SK_JS6_EEE10hipError_tPvRmT3_T4_T5_T6_T7_T9_mT8_P12ihipStream_tbDpT10_ENKUlT_T0_E_clISt17integral_constantIbLb1EES16_EEDaS11_S12_EUlS11_E_NS1_11comp_targetILNS1_3genE8ELNS1_11target_archE1030ELNS1_3gpuE2ELNS1_3repE0EEENS1_30default_config_static_selectorELNS0_4arch9wavefront6targetE0EEEvT1_
	.globl	_ZN7rocprim17ROCPRIM_400000_NS6detail17trampoline_kernelINS0_14default_configENS1_25partition_config_selectorILNS1_17partition_subalgoE5ElNS0_10empty_typeEbEEZZNS1_14partition_implILS5_5ELb0ES3_mN6hipcub16HIPCUB_304000_NS21CountingInputIteratorIllEEPS6_NSA_22TransformInputIteratorIb7NonZeroIiEPilEENS0_5tupleIJPlS6_EEENSJ_IJSD_SD_EEES6_SK_JS6_EEE10hipError_tPvRmT3_T4_T5_T6_T7_T9_mT8_P12ihipStream_tbDpT10_ENKUlT_T0_E_clISt17integral_constantIbLb1EES16_EEDaS11_S12_EUlS11_E_NS1_11comp_targetILNS1_3genE8ELNS1_11target_archE1030ELNS1_3gpuE2ELNS1_3repE0EEENS1_30default_config_static_selectorELNS0_4arch9wavefront6targetE0EEEvT1_
	.p2align	8
	.type	_ZN7rocprim17ROCPRIM_400000_NS6detail17trampoline_kernelINS0_14default_configENS1_25partition_config_selectorILNS1_17partition_subalgoE5ElNS0_10empty_typeEbEEZZNS1_14partition_implILS5_5ELb0ES3_mN6hipcub16HIPCUB_304000_NS21CountingInputIteratorIllEEPS6_NSA_22TransformInputIteratorIb7NonZeroIiEPilEENS0_5tupleIJPlS6_EEENSJ_IJSD_SD_EEES6_SK_JS6_EEE10hipError_tPvRmT3_T4_T5_T6_T7_T9_mT8_P12ihipStream_tbDpT10_ENKUlT_T0_E_clISt17integral_constantIbLb1EES16_EEDaS11_S12_EUlS11_E_NS1_11comp_targetILNS1_3genE8ELNS1_11target_archE1030ELNS1_3gpuE2ELNS1_3repE0EEENS1_30default_config_static_selectorELNS0_4arch9wavefront6targetE0EEEvT1_,@function
_ZN7rocprim17ROCPRIM_400000_NS6detail17trampoline_kernelINS0_14default_configENS1_25partition_config_selectorILNS1_17partition_subalgoE5ElNS0_10empty_typeEbEEZZNS1_14partition_implILS5_5ELb0ES3_mN6hipcub16HIPCUB_304000_NS21CountingInputIteratorIllEEPS6_NSA_22TransformInputIteratorIb7NonZeroIiEPilEENS0_5tupleIJPlS6_EEENSJ_IJSD_SD_EEES6_SK_JS6_EEE10hipError_tPvRmT3_T4_T5_T6_T7_T9_mT8_P12ihipStream_tbDpT10_ENKUlT_T0_E_clISt17integral_constantIbLb1EES16_EEDaS11_S12_EUlS11_E_NS1_11comp_targetILNS1_3genE8ELNS1_11target_archE1030ELNS1_3gpuE2ELNS1_3repE0EEENS1_30default_config_static_selectorELNS0_4arch9wavefront6targetE0EEEvT1_: ; @_ZN7rocprim17ROCPRIM_400000_NS6detail17trampoline_kernelINS0_14default_configENS1_25partition_config_selectorILNS1_17partition_subalgoE5ElNS0_10empty_typeEbEEZZNS1_14partition_implILS5_5ELb0ES3_mN6hipcub16HIPCUB_304000_NS21CountingInputIteratorIllEEPS6_NSA_22TransformInputIteratorIb7NonZeroIiEPilEENS0_5tupleIJPlS6_EEENSJ_IJSD_SD_EEES6_SK_JS6_EEE10hipError_tPvRmT3_T4_T5_T6_T7_T9_mT8_P12ihipStream_tbDpT10_ENKUlT_T0_E_clISt17integral_constantIbLb1EES16_EEDaS11_S12_EUlS11_E_NS1_11comp_targetILNS1_3genE8ELNS1_11target_archE1030ELNS1_3gpuE2ELNS1_3repE0EEENS1_30default_config_static_selectorELNS0_4arch9wavefront6targetE0EEEvT1_
; %bb.0:
	.section	.rodata,"a",@progbits
	.p2align	6, 0x0
	.amdhsa_kernel _ZN7rocprim17ROCPRIM_400000_NS6detail17trampoline_kernelINS0_14default_configENS1_25partition_config_selectorILNS1_17partition_subalgoE5ElNS0_10empty_typeEbEEZZNS1_14partition_implILS5_5ELb0ES3_mN6hipcub16HIPCUB_304000_NS21CountingInputIteratorIllEEPS6_NSA_22TransformInputIteratorIb7NonZeroIiEPilEENS0_5tupleIJPlS6_EEENSJ_IJSD_SD_EEES6_SK_JS6_EEE10hipError_tPvRmT3_T4_T5_T6_T7_T9_mT8_P12ihipStream_tbDpT10_ENKUlT_T0_E_clISt17integral_constantIbLb1EES16_EEDaS11_S12_EUlS11_E_NS1_11comp_targetILNS1_3genE8ELNS1_11target_archE1030ELNS1_3gpuE2ELNS1_3repE0EEENS1_30default_config_static_selectorELNS0_4arch9wavefront6targetE0EEEvT1_
		.amdhsa_group_segment_fixed_size 0
		.amdhsa_private_segment_fixed_size 0
		.amdhsa_kernarg_size 136
		.amdhsa_user_sgpr_count 15
		.amdhsa_user_sgpr_dispatch_ptr 0
		.amdhsa_user_sgpr_queue_ptr 0
		.amdhsa_user_sgpr_kernarg_segment_ptr 1
		.amdhsa_user_sgpr_dispatch_id 0
		.amdhsa_user_sgpr_private_segment_size 0
		.amdhsa_wavefront_size32 1
		.amdhsa_uses_dynamic_stack 0
		.amdhsa_enable_private_segment 0
		.amdhsa_system_sgpr_workgroup_id_x 1
		.amdhsa_system_sgpr_workgroup_id_y 0
		.amdhsa_system_sgpr_workgroup_id_z 0
		.amdhsa_system_sgpr_workgroup_info 0
		.amdhsa_system_vgpr_workitem_id 0
		.amdhsa_next_free_vgpr 1
		.amdhsa_next_free_sgpr 1
		.amdhsa_reserve_vcc 0
		.amdhsa_float_round_mode_32 0
		.amdhsa_float_round_mode_16_64 0
		.amdhsa_float_denorm_mode_32 3
		.amdhsa_float_denorm_mode_16_64 3
		.amdhsa_dx10_clamp 1
		.amdhsa_ieee_mode 1
		.amdhsa_fp16_overflow 0
		.amdhsa_workgroup_processor_mode 1
		.amdhsa_memory_ordered 1
		.amdhsa_forward_progress 0
		.amdhsa_shared_vgpr_count 0
		.amdhsa_exception_fp_ieee_invalid_op 0
		.amdhsa_exception_fp_denorm_src 0
		.amdhsa_exception_fp_ieee_div_zero 0
		.amdhsa_exception_fp_ieee_overflow 0
		.amdhsa_exception_fp_ieee_underflow 0
		.amdhsa_exception_fp_ieee_inexact 0
		.amdhsa_exception_int_div_zero 0
	.end_amdhsa_kernel
	.section	.text._ZN7rocprim17ROCPRIM_400000_NS6detail17trampoline_kernelINS0_14default_configENS1_25partition_config_selectorILNS1_17partition_subalgoE5ElNS0_10empty_typeEbEEZZNS1_14partition_implILS5_5ELb0ES3_mN6hipcub16HIPCUB_304000_NS21CountingInputIteratorIllEEPS6_NSA_22TransformInputIteratorIb7NonZeroIiEPilEENS0_5tupleIJPlS6_EEENSJ_IJSD_SD_EEES6_SK_JS6_EEE10hipError_tPvRmT3_T4_T5_T6_T7_T9_mT8_P12ihipStream_tbDpT10_ENKUlT_T0_E_clISt17integral_constantIbLb1EES16_EEDaS11_S12_EUlS11_E_NS1_11comp_targetILNS1_3genE8ELNS1_11target_archE1030ELNS1_3gpuE2ELNS1_3repE0EEENS1_30default_config_static_selectorELNS0_4arch9wavefront6targetE0EEEvT1_,"axG",@progbits,_ZN7rocprim17ROCPRIM_400000_NS6detail17trampoline_kernelINS0_14default_configENS1_25partition_config_selectorILNS1_17partition_subalgoE5ElNS0_10empty_typeEbEEZZNS1_14partition_implILS5_5ELb0ES3_mN6hipcub16HIPCUB_304000_NS21CountingInputIteratorIllEEPS6_NSA_22TransformInputIteratorIb7NonZeroIiEPilEENS0_5tupleIJPlS6_EEENSJ_IJSD_SD_EEES6_SK_JS6_EEE10hipError_tPvRmT3_T4_T5_T6_T7_T9_mT8_P12ihipStream_tbDpT10_ENKUlT_T0_E_clISt17integral_constantIbLb1EES16_EEDaS11_S12_EUlS11_E_NS1_11comp_targetILNS1_3genE8ELNS1_11target_archE1030ELNS1_3gpuE2ELNS1_3repE0EEENS1_30default_config_static_selectorELNS0_4arch9wavefront6targetE0EEEvT1_,comdat
.Lfunc_end200:
	.size	_ZN7rocprim17ROCPRIM_400000_NS6detail17trampoline_kernelINS0_14default_configENS1_25partition_config_selectorILNS1_17partition_subalgoE5ElNS0_10empty_typeEbEEZZNS1_14partition_implILS5_5ELb0ES3_mN6hipcub16HIPCUB_304000_NS21CountingInputIteratorIllEEPS6_NSA_22TransformInputIteratorIb7NonZeroIiEPilEENS0_5tupleIJPlS6_EEENSJ_IJSD_SD_EEES6_SK_JS6_EEE10hipError_tPvRmT3_T4_T5_T6_T7_T9_mT8_P12ihipStream_tbDpT10_ENKUlT_T0_E_clISt17integral_constantIbLb1EES16_EEDaS11_S12_EUlS11_E_NS1_11comp_targetILNS1_3genE8ELNS1_11target_archE1030ELNS1_3gpuE2ELNS1_3repE0EEENS1_30default_config_static_selectorELNS0_4arch9wavefront6targetE0EEEvT1_, .Lfunc_end200-_ZN7rocprim17ROCPRIM_400000_NS6detail17trampoline_kernelINS0_14default_configENS1_25partition_config_selectorILNS1_17partition_subalgoE5ElNS0_10empty_typeEbEEZZNS1_14partition_implILS5_5ELb0ES3_mN6hipcub16HIPCUB_304000_NS21CountingInputIteratorIllEEPS6_NSA_22TransformInputIteratorIb7NonZeroIiEPilEENS0_5tupleIJPlS6_EEENSJ_IJSD_SD_EEES6_SK_JS6_EEE10hipError_tPvRmT3_T4_T5_T6_T7_T9_mT8_P12ihipStream_tbDpT10_ENKUlT_T0_E_clISt17integral_constantIbLb1EES16_EEDaS11_S12_EUlS11_E_NS1_11comp_targetILNS1_3genE8ELNS1_11target_archE1030ELNS1_3gpuE2ELNS1_3repE0EEENS1_30default_config_static_selectorELNS0_4arch9wavefront6targetE0EEEvT1_
                                        ; -- End function
	.section	.AMDGPU.csdata,"",@progbits
; Kernel info:
; codeLenInByte = 0
; NumSgprs: 0
; NumVgprs: 0
; ScratchSize: 0
; MemoryBound: 0
; FloatMode: 240
; IeeeMode: 1
; LDSByteSize: 0 bytes/workgroup (compile time only)
; SGPRBlocks: 0
; VGPRBlocks: 0
; NumSGPRsForWavesPerEU: 1
; NumVGPRsForWavesPerEU: 1
; Occupancy: 16
; WaveLimiterHint : 0
; COMPUTE_PGM_RSRC2:SCRATCH_EN: 0
; COMPUTE_PGM_RSRC2:USER_SGPR: 15
; COMPUTE_PGM_RSRC2:TRAP_HANDLER: 0
; COMPUTE_PGM_RSRC2:TGID_X_EN: 1
; COMPUTE_PGM_RSRC2:TGID_Y_EN: 0
; COMPUTE_PGM_RSRC2:TGID_Z_EN: 0
; COMPUTE_PGM_RSRC2:TIDIG_COMP_CNT: 0
	.section	.text._ZN7rocprim17ROCPRIM_400000_NS6detail17trampoline_kernelINS0_14default_configENS1_25partition_config_selectorILNS1_17partition_subalgoE5ElNS0_10empty_typeEbEEZZNS1_14partition_implILS5_5ELb0ES3_mN6hipcub16HIPCUB_304000_NS21CountingInputIteratorIllEEPS6_NSA_22TransformInputIteratorIb7NonZeroIiEPilEENS0_5tupleIJPlS6_EEENSJ_IJSD_SD_EEES6_SK_JS6_EEE10hipError_tPvRmT3_T4_T5_T6_T7_T9_mT8_P12ihipStream_tbDpT10_ENKUlT_T0_E_clISt17integral_constantIbLb1EES15_IbLb0EEEEDaS11_S12_EUlS11_E_NS1_11comp_targetILNS1_3genE0ELNS1_11target_archE4294967295ELNS1_3gpuE0ELNS1_3repE0EEENS1_30default_config_static_selectorELNS0_4arch9wavefront6targetE0EEEvT1_,"axG",@progbits,_ZN7rocprim17ROCPRIM_400000_NS6detail17trampoline_kernelINS0_14default_configENS1_25partition_config_selectorILNS1_17partition_subalgoE5ElNS0_10empty_typeEbEEZZNS1_14partition_implILS5_5ELb0ES3_mN6hipcub16HIPCUB_304000_NS21CountingInputIteratorIllEEPS6_NSA_22TransformInputIteratorIb7NonZeroIiEPilEENS0_5tupleIJPlS6_EEENSJ_IJSD_SD_EEES6_SK_JS6_EEE10hipError_tPvRmT3_T4_T5_T6_T7_T9_mT8_P12ihipStream_tbDpT10_ENKUlT_T0_E_clISt17integral_constantIbLb1EES15_IbLb0EEEEDaS11_S12_EUlS11_E_NS1_11comp_targetILNS1_3genE0ELNS1_11target_archE4294967295ELNS1_3gpuE0ELNS1_3repE0EEENS1_30default_config_static_selectorELNS0_4arch9wavefront6targetE0EEEvT1_,comdat
	.protected	_ZN7rocprim17ROCPRIM_400000_NS6detail17trampoline_kernelINS0_14default_configENS1_25partition_config_selectorILNS1_17partition_subalgoE5ElNS0_10empty_typeEbEEZZNS1_14partition_implILS5_5ELb0ES3_mN6hipcub16HIPCUB_304000_NS21CountingInputIteratorIllEEPS6_NSA_22TransformInputIteratorIb7NonZeroIiEPilEENS0_5tupleIJPlS6_EEENSJ_IJSD_SD_EEES6_SK_JS6_EEE10hipError_tPvRmT3_T4_T5_T6_T7_T9_mT8_P12ihipStream_tbDpT10_ENKUlT_T0_E_clISt17integral_constantIbLb1EES15_IbLb0EEEEDaS11_S12_EUlS11_E_NS1_11comp_targetILNS1_3genE0ELNS1_11target_archE4294967295ELNS1_3gpuE0ELNS1_3repE0EEENS1_30default_config_static_selectorELNS0_4arch9wavefront6targetE0EEEvT1_ ; -- Begin function _ZN7rocprim17ROCPRIM_400000_NS6detail17trampoline_kernelINS0_14default_configENS1_25partition_config_selectorILNS1_17partition_subalgoE5ElNS0_10empty_typeEbEEZZNS1_14partition_implILS5_5ELb0ES3_mN6hipcub16HIPCUB_304000_NS21CountingInputIteratorIllEEPS6_NSA_22TransformInputIteratorIb7NonZeroIiEPilEENS0_5tupleIJPlS6_EEENSJ_IJSD_SD_EEES6_SK_JS6_EEE10hipError_tPvRmT3_T4_T5_T6_T7_T9_mT8_P12ihipStream_tbDpT10_ENKUlT_T0_E_clISt17integral_constantIbLb1EES15_IbLb0EEEEDaS11_S12_EUlS11_E_NS1_11comp_targetILNS1_3genE0ELNS1_11target_archE4294967295ELNS1_3gpuE0ELNS1_3repE0EEENS1_30default_config_static_selectorELNS0_4arch9wavefront6targetE0EEEvT1_
	.globl	_ZN7rocprim17ROCPRIM_400000_NS6detail17trampoline_kernelINS0_14default_configENS1_25partition_config_selectorILNS1_17partition_subalgoE5ElNS0_10empty_typeEbEEZZNS1_14partition_implILS5_5ELb0ES3_mN6hipcub16HIPCUB_304000_NS21CountingInputIteratorIllEEPS6_NSA_22TransformInputIteratorIb7NonZeroIiEPilEENS0_5tupleIJPlS6_EEENSJ_IJSD_SD_EEES6_SK_JS6_EEE10hipError_tPvRmT3_T4_T5_T6_T7_T9_mT8_P12ihipStream_tbDpT10_ENKUlT_T0_E_clISt17integral_constantIbLb1EES15_IbLb0EEEEDaS11_S12_EUlS11_E_NS1_11comp_targetILNS1_3genE0ELNS1_11target_archE4294967295ELNS1_3gpuE0ELNS1_3repE0EEENS1_30default_config_static_selectorELNS0_4arch9wavefront6targetE0EEEvT1_
	.p2align	8
	.type	_ZN7rocprim17ROCPRIM_400000_NS6detail17trampoline_kernelINS0_14default_configENS1_25partition_config_selectorILNS1_17partition_subalgoE5ElNS0_10empty_typeEbEEZZNS1_14partition_implILS5_5ELb0ES3_mN6hipcub16HIPCUB_304000_NS21CountingInputIteratorIllEEPS6_NSA_22TransformInputIteratorIb7NonZeroIiEPilEENS0_5tupleIJPlS6_EEENSJ_IJSD_SD_EEES6_SK_JS6_EEE10hipError_tPvRmT3_T4_T5_T6_T7_T9_mT8_P12ihipStream_tbDpT10_ENKUlT_T0_E_clISt17integral_constantIbLb1EES15_IbLb0EEEEDaS11_S12_EUlS11_E_NS1_11comp_targetILNS1_3genE0ELNS1_11target_archE4294967295ELNS1_3gpuE0ELNS1_3repE0EEENS1_30default_config_static_selectorELNS0_4arch9wavefront6targetE0EEEvT1_,@function
_ZN7rocprim17ROCPRIM_400000_NS6detail17trampoline_kernelINS0_14default_configENS1_25partition_config_selectorILNS1_17partition_subalgoE5ElNS0_10empty_typeEbEEZZNS1_14partition_implILS5_5ELb0ES3_mN6hipcub16HIPCUB_304000_NS21CountingInputIteratorIllEEPS6_NSA_22TransformInputIteratorIb7NonZeroIiEPilEENS0_5tupleIJPlS6_EEENSJ_IJSD_SD_EEES6_SK_JS6_EEE10hipError_tPvRmT3_T4_T5_T6_T7_T9_mT8_P12ihipStream_tbDpT10_ENKUlT_T0_E_clISt17integral_constantIbLb1EES15_IbLb0EEEEDaS11_S12_EUlS11_E_NS1_11comp_targetILNS1_3genE0ELNS1_11target_archE4294967295ELNS1_3gpuE0ELNS1_3repE0EEENS1_30default_config_static_selectorELNS0_4arch9wavefront6targetE0EEEvT1_: ; @_ZN7rocprim17ROCPRIM_400000_NS6detail17trampoline_kernelINS0_14default_configENS1_25partition_config_selectorILNS1_17partition_subalgoE5ElNS0_10empty_typeEbEEZZNS1_14partition_implILS5_5ELb0ES3_mN6hipcub16HIPCUB_304000_NS21CountingInputIteratorIllEEPS6_NSA_22TransformInputIteratorIb7NonZeroIiEPilEENS0_5tupleIJPlS6_EEENSJ_IJSD_SD_EEES6_SK_JS6_EEE10hipError_tPvRmT3_T4_T5_T6_T7_T9_mT8_P12ihipStream_tbDpT10_ENKUlT_T0_E_clISt17integral_constantIbLb1EES15_IbLb0EEEEDaS11_S12_EUlS11_E_NS1_11comp_targetILNS1_3genE0ELNS1_11target_archE4294967295ELNS1_3gpuE0ELNS1_3repE0EEENS1_30default_config_static_selectorELNS0_4arch9wavefront6targetE0EEEvT1_
; %bb.0:
	.section	.rodata,"a",@progbits
	.p2align	6, 0x0
	.amdhsa_kernel _ZN7rocprim17ROCPRIM_400000_NS6detail17trampoline_kernelINS0_14default_configENS1_25partition_config_selectorILNS1_17partition_subalgoE5ElNS0_10empty_typeEbEEZZNS1_14partition_implILS5_5ELb0ES3_mN6hipcub16HIPCUB_304000_NS21CountingInputIteratorIllEEPS6_NSA_22TransformInputIteratorIb7NonZeroIiEPilEENS0_5tupleIJPlS6_EEENSJ_IJSD_SD_EEES6_SK_JS6_EEE10hipError_tPvRmT3_T4_T5_T6_T7_T9_mT8_P12ihipStream_tbDpT10_ENKUlT_T0_E_clISt17integral_constantIbLb1EES15_IbLb0EEEEDaS11_S12_EUlS11_E_NS1_11comp_targetILNS1_3genE0ELNS1_11target_archE4294967295ELNS1_3gpuE0ELNS1_3repE0EEENS1_30default_config_static_selectorELNS0_4arch9wavefront6targetE0EEEvT1_
		.amdhsa_group_segment_fixed_size 0
		.amdhsa_private_segment_fixed_size 0
		.amdhsa_kernarg_size 120
		.amdhsa_user_sgpr_count 15
		.amdhsa_user_sgpr_dispatch_ptr 0
		.amdhsa_user_sgpr_queue_ptr 0
		.amdhsa_user_sgpr_kernarg_segment_ptr 1
		.amdhsa_user_sgpr_dispatch_id 0
		.amdhsa_user_sgpr_private_segment_size 0
		.amdhsa_wavefront_size32 1
		.amdhsa_uses_dynamic_stack 0
		.amdhsa_enable_private_segment 0
		.amdhsa_system_sgpr_workgroup_id_x 1
		.amdhsa_system_sgpr_workgroup_id_y 0
		.amdhsa_system_sgpr_workgroup_id_z 0
		.amdhsa_system_sgpr_workgroup_info 0
		.amdhsa_system_vgpr_workitem_id 0
		.amdhsa_next_free_vgpr 1
		.amdhsa_next_free_sgpr 1
		.amdhsa_reserve_vcc 0
		.amdhsa_float_round_mode_32 0
		.amdhsa_float_round_mode_16_64 0
		.amdhsa_float_denorm_mode_32 3
		.amdhsa_float_denorm_mode_16_64 3
		.amdhsa_dx10_clamp 1
		.amdhsa_ieee_mode 1
		.amdhsa_fp16_overflow 0
		.amdhsa_workgroup_processor_mode 1
		.amdhsa_memory_ordered 1
		.amdhsa_forward_progress 0
		.amdhsa_shared_vgpr_count 0
		.amdhsa_exception_fp_ieee_invalid_op 0
		.amdhsa_exception_fp_denorm_src 0
		.amdhsa_exception_fp_ieee_div_zero 0
		.amdhsa_exception_fp_ieee_overflow 0
		.amdhsa_exception_fp_ieee_underflow 0
		.amdhsa_exception_fp_ieee_inexact 0
		.amdhsa_exception_int_div_zero 0
	.end_amdhsa_kernel
	.section	.text._ZN7rocprim17ROCPRIM_400000_NS6detail17trampoline_kernelINS0_14default_configENS1_25partition_config_selectorILNS1_17partition_subalgoE5ElNS0_10empty_typeEbEEZZNS1_14partition_implILS5_5ELb0ES3_mN6hipcub16HIPCUB_304000_NS21CountingInputIteratorIllEEPS6_NSA_22TransformInputIteratorIb7NonZeroIiEPilEENS0_5tupleIJPlS6_EEENSJ_IJSD_SD_EEES6_SK_JS6_EEE10hipError_tPvRmT3_T4_T5_T6_T7_T9_mT8_P12ihipStream_tbDpT10_ENKUlT_T0_E_clISt17integral_constantIbLb1EES15_IbLb0EEEEDaS11_S12_EUlS11_E_NS1_11comp_targetILNS1_3genE0ELNS1_11target_archE4294967295ELNS1_3gpuE0ELNS1_3repE0EEENS1_30default_config_static_selectorELNS0_4arch9wavefront6targetE0EEEvT1_,"axG",@progbits,_ZN7rocprim17ROCPRIM_400000_NS6detail17trampoline_kernelINS0_14default_configENS1_25partition_config_selectorILNS1_17partition_subalgoE5ElNS0_10empty_typeEbEEZZNS1_14partition_implILS5_5ELb0ES3_mN6hipcub16HIPCUB_304000_NS21CountingInputIteratorIllEEPS6_NSA_22TransformInputIteratorIb7NonZeroIiEPilEENS0_5tupleIJPlS6_EEENSJ_IJSD_SD_EEES6_SK_JS6_EEE10hipError_tPvRmT3_T4_T5_T6_T7_T9_mT8_P12ihipStream_tbDpT10_ENKUlT_T0_E_clISt17integral_constantIbLb1EES15_IbLb0EEEEDaS11_S12_EUlS11_E_NS1_11comp_targetILNS1_3genE0ELNS1_11target_archE4294967295ELNS1_3gpuE0ELNS1_3repE0EEENS1_30default_config_static_selectorELNS0_4arch9wavefront6targetE0EEEvT1_,comdat
.Lfunc_end201:
	.size	_ZN7rocprim17ROCPRIM_400000_NS6detail17trampoline_kernelINS0_14default_configENS1_25partition_config_selectorILNS1_17partition_subalgoE5ElNS0_10empty_typeEbEEZZNS1_14partition_implILS5_5ELb0ES3_mN6hipcub16HIPCUB_304000_NS21CountingInputIteratorIllEEPS6_NSA_22TransformInputIteratorIb7NonZeroIiEPilEENS0_5tupleIJPlS6_EEENSJ_IJSD_SD_EEES6_SK_JS6_EEE10hipError_tPvRmT3_T4_T5_T6_T7_T9_mT8_P12ihipStream_tbDpT10_ENKUlT_T0_E_clISt17integral_constantIbLb1EES15_IbLb0EEEEDaS11_S12_EUlS11_E_NS1_11comp_targetILNS1_3genE0ELNS1_11target_archE4294967295ELNS1_3gpuE0ELNS1_3repE0EEENS1_30default_config_static_selectorELNS0_4arch9wavefront6targetE0EEEvT1_, .Lfunc_end201-_ZN7rocprim17ROCPRIM_400000_NS6detail17trampoline_kernelINS0_14default_configENS1_25partition_config_selectorILNS1_17partition_subalgoE5ElNS0_10empty_typeEbEEZZNS1_14partition_implILS5_5ELb0ES3_mN6hipcub16HIPCUB_304000_NS21CountingInputIteratorIllEEPS6_NSA_22TransformInputIteratorIb7NonZeroIiEPilEENS0_5tupleIJPlS6_EEENSJ_IJSD_SD_EEES6_SK_JS6_EEE10hipError_tPvRmT3_T4_T5_T6_T7_T9_mT8_P12ihipStream_tbDpT10_ENKUlT_T0_E_clISt17integral_constantIbLb1EES15_IbLb0EEEEDaS11_S12_EUlS11_E_NS1_11comp_targetILNS1_3genE0ELNS1_11target_archE4294967295ELNS1_3gpuE0ELNS1_3repE0EEENS1_30default_config_static_selectorELNS0_4arch9wavefront6targetE0EEEvT1_
                                        ; -- End function
	.section	.AMDGPU.csdata,"",@progbits
; Kernel info:
; codeLenInByte = 0
; NumSgprs: 0
; NumVgprs: 0
; ScratchSize: 0
; MemoryBound: 0
; FloatMode: 240
; IeeeMode: 1
; LDSByteSize: 0 bytes/workgroup (compile time only)
; SGPRBlocks: 0
; VGPRBlocks: 0
; NumSGPRsForWavesPerEU: 1
; NumVGPRsForWavesPerEU: 1
; Occupancy: 16
; WaveLimiterHint : 0
; COMPUTE_PGM_RSRC2:SCRATCH_EN: 0
; COMPUTE_PGM_RSRC2:USER_SGPR: 15
; COMPUTE_PGM_RSRC2:TRAP_HANDLER: 0
; COMPUTE_PGM_RSRC2:TGID_X_EN: 1
; COMPUTE_PGM_RSRC2:TGID_Y_EN: 0
; COMPUTE_PGM_RSRC2:TGID_Z_EN: 0
; COMPUTE_PGM_RSRC2:TIDIG_COMP_CNT: 0
	.section	.text._ZN7rocprim17ROCPRIM_400000_NS6detail17trampoline_kernelINS0_14default_configENS1_25partition_config_selectorILNS1_17partition_subalgoE5ElNS0_10empty_typeEbEEZZNS1_14partition_implILS5_5ELb0ES3_mN6hipcub16HIPCUB_304000_NS21CountingInputIteratorIllEEPS6_NSA_22TransformInputIteratorIb7NonZeroIiEPilEENS0_5tupleIJPlS6_EEENSJ_IJSD_SD_EEES6_SK_JS6_EEE10hipError_tPvRmT3_T4_T5_T6_T7_T9_mT8_P12ihipStream_tbDpT10_ENKUlT_T0_E_clISt17integral_constantIbLb1EES15_IbLb0EEEEDaS11_S12_EUlS11_E_NS1_11comp_targetILNS1_3genE5ELNS1_11target_archE942ELNS1_3gpuE9ELNS1_3repE0EEENS1_30default_config_static_selectorELNS0_4arch9wavefront6targetE0EEEvT1_,"axG",@progbits,_ZN7rocprim17ROCPRIM_400000_NS6detail17trampoline_kernelINS0_14default_configENS1_25partition_config_selectorILNS1_17partition_subalgoE5ElNS0_10empty_typeEbEEZZNS1_14partition_implILS5_5ELb0ES3_mN6hipcub16HIPCUB_304000_NS21CountingInputIteratorIllEEPS6_NSA_22TransformInputIteratorIb7NonZeroIiEPilEENS0_5tupleIJPlS6_EEENSJ_IJSD_SD_EEES6_SK_JS6_EEE10hipError_tPvRmT3_T4_T5_T6_T7_T9_mT8_P12ihipStream_tbDpT10_ENKUlT_T0_E_clISt17integral_constantIbLb1EES15_IbLb0EEEEDaS11_S12_EUlS11_E_NS1_11comp_targetILNS1_3genE5ELNS1_11target_archE942ELNS1_3gpuE9ELNS1_3repE0EEENS1_30default_config_static_selectorELNS0_4arch9wavefront6targetE0EEEvT1_,comdat
	.protected	_ZN7rocprim17ROCPRIM_400000_NS6detail17trampoline_kernelINS0_14default_configENS1_25partition_config_selectorILNS1_17partition_subalgoE5ElNS0_10empty_typeEbEEZZNS1_14partition_implILS5_5ELb0ES3_mN6hipcub16HIPCUB_304000_NS21CountingInputIteratorIllEEPS6_NSA_22TransformInputIteratorIb7NonZeroIiEPilEENS0_5tupleIJPlS6_EEENSJ_IJSD_SD_EEES6_SK_JS6_EEE10hipError_tPvRmT3_T4_T5_T6_T7_T9_mT8_P12ihipStream_tbDpT10_ENKUlT_T0_E_clISt17integral_constantIbLb1EES15_IbLb0EEEEDaS11_S12_EUlS11_E_NS1_11comp_targetILNS1_3genE5ELNS1_11target_archE942ELNS1_3gpuE9ELNS1_3repE0EEENS1_30default_config_static_selectorELNS0_4arch9wavefront6targetE0EEEvT1_ ; -- Begin function _ZN7rocprim17ROCPRIM_400000_NS6detail17trampoline_kernelINS0_14default_configENS1_25partition_config_selectorILNS1_17partition_subalgoE5ElNS0_10empty_typeEbEEZZNS1_14partition_implILS5_5ELb0ES3_mN6hipcub16HIPCUB_304000_NS21CountingInputIteratorIllEEPS6_NSA_22TransformInputIteratorIb7NonZeroIiEPilEENS0_5tupleIJPlS6_EEENSJ_IJSD_SD_EEES6_SK_JS6_EEE10hipError_tPvRmT3_T4_T5_T6_T7_T9_mT8_P12ihipStream_tbDpT10_ENKUlT_T0_E_clISt17integral_constantIbLb1EES15_IbLb0EEEEDaS11_S12_EUlS11_E_NS1_11comp_targetILNS1_3genE5ELNS1_11target_archE942ELNS1_3gpuE9ELNS1_3repE0EEENS1_30default_config_static_selectorELNS0_4arch9wavefront6targetE0EEEvT1_
	.globl	_ZN7rocprim17ROCPRIM_400000_NS6detail17trampoline_kernelINS0_14default_configENS1_25partition_config_selectorILNS1_17partition_subalgoE5ElNS0_10empty_typeEbEEZZNS1_14partition_implILS5_5ELb0ES3_mN6hipcub16HIPCUB_304000_NS21CountingInputIteratorIllEEPS6_NSA_22TransformInputIteratorIb7NonZeroIiEPilEENS0_5tupleIJPlS6_EEENSJ_IJSD_SD_EEES6_SK_JS6_EEE10hipError_tPvRmT3_T4_T5_T6_T7_T9_mT8_P12ihipStream_tbDpT10_ENKUlT_T0_E_clISt17integral_constantIbLb1EES15_IbLb0EEEEDaS11_S12_EUlS11_E_NS1_11comp_targetILNS1_3genE5ELNS1_11target_archE942ELNS1_3gpuE9ELNS1_3repE0EEENS1_30default_config_static_selectorELNS0_4arch9wavefront6targetE0EEEvT1_
	.p2align	8
	.type	_ZN7rocprim17ROCPRIM_400000_NS6detail17trampoline_kernelINS0_14default_configENS1_25partition_config_selectorILNS1_17partition_subalgoE5ElNS0_10empty_typeEbEEZZNS1_14partition_implILS5_5ELb0ES3_mN6hipcub16HIPCUB_304000_NS21CountingInputIteratorIllEEPS6_NSA_22TransformInputIteratorIb7NonZeroIiEPilEENS0_5tupleIJPlS6_EEENSJ_IJSD_SD_EEES6_SK_JS6_EEE10hipError_tPvRmT3_T4_T5_T6_T7_T9_mT8_P12ihipStream_tbDpT10_ENKUlT_T0_E_clISt17integral_constantIbLb1EES15_IbLb0EEEEDaS11_S12_EUlS11_E_NS1_11comp_targetILNS1_3genE5ELNS1_11target_archE942ELNS1_3gpuE9ELNS1_3repE0EEENS1_30default_config_static_selectorELNS0_4arch9wavefront6targetE0EEEvT1_,@function
_ZN7rocprim17ROCPRIM_400000_NS6detail17trampoline_kernelINS0_14default_configENS1_25partition_config_selectorILNS1_17partition_subalgoE5ElNS0_10empty_typeEbEEZZNS1_14partition_implILS5_5ELb0ES3_mN6hipcub16HIPCUB_304000_NS21CountingInputIteratorIllEEPS6_NSA_22TransformInputIteratorIb7NonZeroIiEPilEENS0_5tupleIJPlS6_EEENSJ_IJSD_SD_EEES6_SK_JS6_EEE10hipError_tPvRmT3_T4_T5_T6_T7_T9_mT8_P12ihipStream_tbDpT10_ENKUlT_T0_E_clISt17integral_constantIbLb1EES15_IbLb0EEEEDaS11_S12_EUlS11_E_NS1_11comp_targetILNS1_3genE5ELNS1_11target_archE942ELNS1_3gpuE9ELNS1_3repE0EEENS1_30default_config_static_selectorELNS0_4arch9wavefront6targetE0EEEvT1_: ; @_ZN7rocprim17ROCPRIM_400000_NS6detail17trampoline_kernelINS0_14default_configENS1_25partition_config_selectorILNS1_17partition_subalgoE5ElNS0_10empty_typeEbEEZZNS1_14partition_implILS5_5ELb0ES3_mN6hipcub16HIPCUB_304000_NS21CountingInputIteratorIllEEPS6_NSA_22TransformInputIteratorIb7NonZeroIiEPilEENS0_5tupleIJPlS6_EEENSJ_IJSD_SD_EEES6_SK_JS6_EEE10hipError_tPvRmT3_T4_T5_T6_T7_T9_mT8_P12ihipStream_tbDpT10_ENKUlT_T0_E_clISt17integral_constantIbLb1EES15_IbLb0EEEEDaS11_S12_EUlS11_E_NS1_11comp_targetILNS1_3genE5ELNS1_11target_archE942ELNS1_3gpuE9ELNS1_3repE0EEENS1_30default_config_static_selectorELNS0_4arch9wavefront6targetE0EEEvT1_
; %bb.0:
	.section	.rodata,"a",@progbits
	.p2align	6, 0x0
	.amdhsa_kernel _ZN7rocprim17ROCPRIM_400000_NS6detail17trampoline_kernelINS0_14default_configENS1_25partition_config_selectorILNS1_17partition_subalgoE5ElNS0_10empty_typeEbEEZZNS1_14partition_implILS5_5ELb0ES3_mN6hipcub16HIPCUB_304000_NS21CountingInputIteratorIllEEPS6_NSA_22TransformInputIteratorIb7NonZeroIiEPilEENS0_5tupleIJPlS6_EEENSJ_IJSD_SD_EEES6_SK_JS6_EEE10hipError_tPvRmT3_T4_T5_T6_T7_T9_mT8_P12ihipStream_tbDpT10_ENKUlT_T0_E_clISt17integral_constantIbLb1EES15_IbLb0EEEEDaS11_S12_EUlS11_E_NS1_11comp_targetILNS1_3genE5ELNS1_11target_archE942ELNS1_3gpuE9ELNS1_3repE0EEENS1_30default_config_static_selectorELNS0_4arch9wavefront6targetE0EEEvT1_
		.amdhsa_group_segment_fixed_size 0
		.amdhsa_private_segment_fixed_size 0
		.amdhsa_kernarg_size 120
		.amdhsa_user_sgpr_count 15
		.amdhsa_user_sgpr_dispatch_ptr 0
		.amdhsa_user_sgpr_queue_ptr 0
		.amdhsa_user_sgpr_kernarg_segment_ptr 1
		.amdhsa_user_sgpr_dispatch_id 0
		.amdhsa_user_sgpr_private_segment_size 0
		.amdhsa_wavefront_size32 1
		.amdhsa_uses_dynamic_stack 0
		.amdhsa_enable_private_segment 0
		.amdhsa_system_sgpr_workgroup_id_x 1
		.amdhsa_system_sgpr_workgroup_id_y 0
		.amdhsa_system_sgpr_workgroup_id_z 0
		.amdhsa_system_sgpr_workgroup_info 0
		.amdhsa_system_vgpr_workitem_id 0
		.amdhsa_next_free_vgpr 1
		.amdhsa_next_free_sgpr 1
		.amdhsa_reserve_vcc 0
		.amdhsa_float_round_mode_32 0
		.amdhsa_float_round_mode_16_64 0
		.amdhsa_float_denorm_mode_32 3
		.amdhsa_float_denorm_mode_16_64 3
		.amdhsa_dx10_clamp 1
		.amdhsa_ieee_mode 1
		.amdhsa_fp16_overflow 0
		.amdhsa_workgroup_processor_mode 1
		.amdhsa_memory_ordered 1
		.amdhsa_forward_progress 0
		.amdhsa_shared_vgpr_count 0
		.amdhsa_exception_fp_ieee_invalid_op 0
		.amdhsa_exception_fp_denorm_src 0
		.amdhsa_exception_fp_ieee_div_zero 0
		.amdhsa_exception_fp_ieee_overflow 0
		.amdhsa_exception_fp_ieee_underflow 0
		.amdhsa_exception_fp_ieee_inexact 0
		.amdhsa_exception_int_div_zero 0
	.end_amdhsa_kernel
	.section	.text._ZN7rocprim17ROCPRIM_400000_NS6detail17trampoline_kernelINS0_14default_configENS1_25partition_config_selectorILNS1_17partition_subalgoE5ElNS0_10empty_typeEbEEZZNS1_14partition_implILS5_5ELb0ES3_mN6hipcub16HIPCUB_304000_NS21CountingInputIteratorIllEEPS6_NSA_22TransformInputIteratorIb7NonZeroIiEPilEENS0_5tupleIJPlS6_EEENSJ_IJSD_SD_EEES6_SK_JS6_EEE10hipError_tPvRmT3_T4_T5_T6_T7_T9_mT8_P12ihipStream_tbDpT10_ENKUlT_T0_E_clISt17integral_constantIbLb1EES15_IbLb0EEEEDaS11_S12_EUlS11_E_NS1_11comp_targetILNS1_3genE5ELNS1_11target_archE942ELNS1_3gpuE9ELNS1_3repE0EEENS1_30default_config_static_selectorELNS0_4arch9wavefront6targetE0EEEvT1_,"axG",@progbits,_ZN7rocprim17ROCPRIM_400000_NS6detail17trampoline_kernelINS0_14default_configENS1_25partition_config_selectorILNS1_17partition_subalgoE5ElNS0_10empty_typeEbEEZZNS1_14partition_implILS5_5ELb0ES3_mN6hipcub16HIPCUB_304000_NS21CountingInputIteratorIllEEPS6_NSA_22TransformInputIteratorIb7NonZeroIiEPilEENS0_5tupleIJPlS6_EEENSJ_IJSD_SD_EEES6_SK_JS6_EEE10hipError_tPvRmT3_T4_T5_T6_T7_T9_mT8_P12ihipStream_tbDpT10_ENKUlT_T0_E_clISt17integral_constantIbLb1EES15_IbLb0EEEEDaS11_S12_EUlS11_E_NS1_11comp_targetILNS1_3genE5ELNS1_11target_archE942ELNS1_3gpuE9ELNS1_3repE0EEENS1_30default_config_static_selectorELNS0_4arch9wavefront6targetE0EEEvT1_,comdat
.Lfunc_end202:
	.size	_ZN7rocprim17ROCPRIM_400000_NS6detail17trampoline_kernelINS0_14default_configENS1_25partition_config_selectorILNS1_17partition_subalgoE5ElNS0_10empty_typeEbEEZZNS1_14partition_implILS5_5ELb0ES3_mN6hipcub16HIPCUB_304000_NS21CountingInputIteratorIllEEPS6_NSA_22TransformInputIteratorIb7NonZeroIiEPilEENS0_5tupleIJPlS6_EEENSJ_IJSD_SD_EEES6_SK_JS6_EEE10hipError_tPvRmT3_T4_T5_T6_T7_T9_mT8_P12ihipStream_tbDpT10_ENKUlT_T0_E_clISt17integral_constantIbLb1EES15_IbLb0EEEEDaS11_S12_EUlS11_E_NS1_11comp_targetILNS1_3genE5ELNS1_11target_archE942ELNS1_3gpuE9ELNS1_3repE0EEENS1_30default_config_static_selectorELNS0_4arch9wavefront6targetE0EEEvT1_, .Lfunc_end202-_ZN7rocprim17ROCPRIM_400000_NS6detail17trampoline_kernelINS0_14default_configENS1_25partition_config_selectorILNS1_17partition_subalgoE5ElNS0_10empty_typeEbEEZZNS1_14partition_implILS5_5ELb0ES3_mN6hipcub16HIPCUB_304000_NS21CountingInputIteratorIllEEPS6_NSA_22TransformInputIteratorIb7NonZeroIiEPilEENS0_5tupleIJPlS6_EEENSJ_IJSD_SD_EEES6_SK_JS6_EEE10hipError_tPvRmT3_T4_T5_T6_T7_T9_mT8_P12ihipStream_tbDpT10_ENKUlT_T0_E_clISt17integral_constantIbLb1EES15_IbLb0EEEEDaS11_S12_EUlS11_E_NS1_11comp_targetILNS1_3genE5ELNS1_11target_archE942ELNS1_3gpuE9ELNS1_3repE0EEENS1_30default_config_static_selectorELNS0_4arch9wavefront6targetE0EEEvT1_
                                        ; -- End function
	.section	.AMDGPU.csdata,"",@progbits
; Kernel info:
; codeLenInByte = 0
; NumSgprs: 0
; NumVgprs: 0
; ScratchSize: 0
; MemoryBound: 0
; FloatMode: 240
; IeeeMode: 1
; LDSByteSize: 0 bytes/workgroup (compile time only)
; SGPRBlocks: 0
; VGPRBlocks: 0
; NumSGPRsForWavesPerEU: 1
; NumVGPRsForWavesPerEU: 1
; Occupancy: 16
; WaveLimiterHint : 0
; COMPUTE_PGM_RSRC2:SCRATCH_EN: 0
; COMPUTE_PGM_RSRC2:USER_SGPR: 15
; COMPUTE_PGM_RSRC2:TRAP_HANDLER: 0
; COMPUTE_PGM_RSRC2:TGID_X_EN: 1
; COMPUTE_PGM_RSRC2:TGID_Y_EN: 0
; COMPUTE_PGM_RSRC2:TGID_Z_EN: 0
; COMPUTE_PGM_RSRC2:TIDIG_COMP_CNT: 0
	.section	.text._ZN7rocprim17ROCPRIM_400000_NS6detail17trampoline_kernelINS0_14default_configENS1_25partition_config_selectorILNS1_17partition_subalgoE5ElNS0_10empty_typeEbEEZZNS1_14partition_implILS5_5ELb0ES3_mN6hipcub16HIPCUB_304000_NS21CountingInputIteratorIllEEPS6_NSA_22TransformInputIteratorIb7NonZeroIiEPilEENS0_5tupleIJPlS6_EEENSJ_IJSD_SD_EEES6_SK_JS6_EEE10hipError_tPvRmT3_T4_T5_T6_T7_T9_mT8_P12ihipStream_tbDpT10_ENKUlT_T0_E_clISt17integral_constantIbLb1EES15_IbLb0EEEEDaS11_S12_EUlS11_E_NS1_11comp_targetILNS1_3genE4ELNS1_11target_archE910ELNS1_3gpuE8ELNS1_3repE0EEENS1_30default_config_static_selectorELNS0_4arch9wavefront6targetE0EEEvT1_,"axG",@progbits,_ZN7rocprim17ROCPRIM_400000_NS6detail17trampoline_kernelINS0_14default_configENS1_25partition_config_selectorILNS1_17partition_subalgoE5ElNS0_10empty_typeEbEEZZNS1_14partition_implILS5_5ELb0ES3_mN6hipcub16HIPCUB_304000_NS21CountingInputIteratorIllEEPS6_NSA_22TransformInputIteratorIb7NonZeroIiEPilEENS0_5tupleIJPlS6_EEENSJ_IJSD_SD_EEES6_SK_JS6_EEE10hipError_tPvRmT3_T4_T5_T6_T7_T9_mT8_P12ihipStream_tbDpT10_ENKUlT_T0_E_clISt17integral_constantIbLb1EES15_IbLb0EEEEDaS11_S12_EUlS11_E_NS1_11comp_targetILNS1_3genE4ELNS1_11target_archE910ELNS1_3gpuE8ELNS1_3repE0EEENS1_30default_config_static_selectorELNS0_4arch9wavefront6targetE0EEEvT1_,comdat
	.protected	_ZN7rocprim17ROCPRIM_400000_NS6detail17trampoline_kernelINS0_14default_configENS1_25partition_config_selectorILNS1_17partition_subalgoE5ElNS0_10empty_typeEbEEZZNS1_14partition_implILS5_5ELb0ES3_mN6hipcub16HIPCUB_304000_NS21CountingInputIteratorIllEEPS6_NSA_22TransformInputIteratorIb7NonZeroIiEPilEENS0_5tupleIJPlS6_EEENSJ_IJSD_SD_EEES6_SK_JS6_EEE10hipError_tPvRmT3_T4_T5_T6_T7_T9_mT8_P12ihipStream_tbDpT10_ENKUlT_T0_E_clISt17integral_constantIbLb1EES15_IbLb0EEEEDaS11_S12_EUlS11_E_NS1_11comp_targetILNS1_3genE4ELNS1_11target_archE910ELNS1_3gpuE8ELNS1_3repE0EEENS1_30default_config_static_selectorELNS0_4arch9wavefront6targetE0EEEvT1_ ; -- Begin function _ZN7rocprim17ROCPRIM_400000_NS6detail17trampoline_kernelINS0_14default_configENS1_25partition_config_selectorILNS1_17partition_subalgoE5ElNS0_10empty_typeEbEEZZNS1_14partition_implILS5_5ELb0ES3_mN6hipcub16HIPCUB_304000_NS21CountingInputIteratorIllEEPS6_NSA_22TransformInputIteratorIb7NonZeroIiEPilEENS0_5tupleIJPlS6_EEENSJ_IJSD_SD_EEES6_SK_JS6_EEE10hipError_tPvRmT3_T4_T5_T6_T7_T9_mT8_P12ihipStream_tbDpT10_ENKUlT_T0_E_clISt17integral_constantIbLb1EES15_IbLb0EEEEDaS11_S12_EUlS11_E_NS1_11comp_targetILNS1_3genE4ELNS1_11target_archE910ELNS1_3gpuE8ELNS1_3repE0EEENS1_30default_config_static_selectorELNS0_4arch9wavefront6targetE0EEEvT1_
	.globl	_ZN7rocprim17ROCPRIM_400000_NS6detail17trampoline_kernelINS0_14default_configENS1_25partition_config_selectorILNS1_17partition_subalgoE5ElNS0_10empty_typeEbEEZZNS1_14partition_implILS5_5ELb0ES3_mN6hipcub16HIPCUB_304000_NS21CountingInputIteratorIllEEPS6_NSA_22TransformInputIteratorIb7NonZeroIiEPilEENS0_5tupleIJPlS6_EEENSJ_IJSD_SD_EEES6_SK_JS6_EEE10hipError_tPvRmT3_T4_T5_T6_T7_T9_mT8_P12ihipStream_tbDpT10_ENKUlT_T0_E_clISt17integral_constantIbLb1EES15_IbLb0EEEEDaS11_S12_EUlS11_E_NS1_11comp_targetILNS1_3genE4ELNS1_11target_archE910ELNS1_3gpuE8ELNS1_3repE0EEENS1_30default_config_static_selectorELNS0_4arch9wavefront6targetE0EEEvT1_
	.p2align	8
	.type	_ZN7rocprim17ROCPRIM_400000_NS6detail17trampoline_kernelINS0_14default_configENS1_25partition_config_selectorILNS1_17partition_subalgoE5ElNS0_10empty_typeEbEEZZNS1_14partition_implILS5_5ELb0ES3_mN6hipcub16HIPCUB_304000_NS21CountingInputIteratorIllEEPS6_NSA_22TransformInputIteratorIb7NonZeroIiEPilEENS0_5tupleIJPlS6_EEENSJ_IJSD_SD_EEES6_SK_JS6_EEE10hipError_tPvRmT3_T4_T5_T6_T7_T9_mT8_P12ihipStream_tbDpT10_ENKUlT_T0_E_clISt17integral_constantIbLb1EES15_IbLb0EEEEDaS11_S12_EUlS11_E_NS1_11comp_targetILNS1_3genE4ELNS1_11target_archE910ELNS1_3gpuE8ELNS1_3repE0EEENS1_30default_config_static_selectorELNS0_4arch9wavefront6targetE0EEEvT1_,@function
_ZN7rocprim17ROCPRIM_400000_NS6detail17trampoline_kernelINS0_14default_configENS1_25partition_config_selectorILNS1_17partition_subalgoE5ElNS0_10empty_typeEbEEZZNS1_14partition_implILS5_5ELb0ES3_mN6hipcub16HIPCUB_304000_NS21CountingInputIteratorIllEEPS6_NSA_22TransformInputIteratorIb7NonZeroIiEPilEENS0_5tupleIJPlS6_EEENSJ_IJSD_SD_EEES6_SK_JS6_EEE10hipError_tPvRmT3_T4_T5_T6_T7_T9_mT8_P12ihipStream_tbDpT10_ENKUlT_T0_E_clISt17integral_constantIbLb1EES15_IbLb0EEEEDaS11_S12_EUlS11_E_NS1_11comp_targetILNS1_3genE4ELNS1_11target_archE910ELNS1_3gpuE8ELNS1_3repE0EEENS1_30default_config_static_selectorELNS0_4arch9wavefront6targetE0EEEvT1_: ; @_ZN7rocprim17ROCPRIM_400000_NS6detail17trampoline_kernelINS0_14default_configENS1_25partition_config_selectorILNS1_17partition_subalgoE5ElNS0_10empty_typeEbEEZZNS1_14partition_implILS5_5ELb0ES3_mN6hipcub16HIPCUB_304000_NS21CountingInputIteratorIllEEPS6_NSA_22TransformInputIteratorIb7NonZeroIiEPilEENS0_5tupleIJPlS6_EEENSJ_IJSD_SD_EEES6_SK_JS6_EEE10hipError_tPvRmT3_T4_T5_T6_T7_T9_mT8_P12ihipStream_tbDpT10_ENKUlT_T0_E_clISt17integral_constantIbLb1EES15_IbLb0EEEEDaS11_S12_EUlS11_E_NS1_11comp_targetILNS1_3genE4ELNS1_11target_archE910ELNS1_3gpuE8ELNS1_3repE0EEENS1_30default_config_static_selectorELNS0_4arch9wavefront6targetE0EEEvT1_
; %bb.0:
	.section	.rodata,"a",@progbits
	.p2align	6, 0x0
	.amdhsa_kernel _ZN7rocprim17ROCPRIM_400000_NS6detail17trampoline_kernelINS0_14default_configENS1_25partition_config_selectorILNS1_17partition_subalgoE5ElNS0_10empty_typeEbEEZZNS1_14partition_implILS5_5ELb0ES3_mN6hipcub16HIPCUB_304000_NS21CountingInputIteratorIllEEPS6_NSA_22TransformInputIteratorIb7NonZeroIiEPilEENS0_5tupleIJPlS6_EEENSJ_IJSD_SD_EEES6_SK_JS6_EEE10hipError_tPvRmT3_T4_T5_T6_T7_T9_mT8_P12ihipStream_tbDpT10_ENKUlT_T0_E_clISt17integral_constantIbLb1EES15_IbLb0EEEEDaS11_S12_EUlS11_E_NS1_11comp_targetILNS1_3genE4ELNS1_11target_archE910ELNS1_3gpuE8ELNS1_3repE0EEENS1_30default_config_static_selectorELNS0_4arch9wavefront6targetE0EEEvT1_
		.amdhsa_group_segment_fixed_size 0
		.amdhsa_private_segment_fixed_size 0
		.amdhsa_kernarg_size 120
		.amdhsa_user_sgpr_count 15
		.amdhsa_user_sgpr_dispatch_ptr 0
		.amdhsa_user_sgpr_queue_ptr 0
		.amdhsa_user_sgpr_kernarg_segment_ptr 1
		.amdhsa_user_sgpr_dispatch_id 0
		.amdhsa_user_sgpr_private_segment_size 0
		.amdhsa_wavefront_size32 1
		.amdhsa_uses_dynamic_stack 0
		.amdhsa_enable_private_segment 0
		.amdhsa_system_sgpr_workgroup_id_x 1
		.amdhsa_system_sgpr_workgroup_id_y 0
		.amdhsa_system_sgpr_workgroup_id_z 0
		.amdhsa_system_sgpr_workgroup_info 0
		.amdhsa_system_vgpr_workitem_id 0
		.amdhsa_next_free_vgpr 1
		.amdhsa_next_free_sgpr 1
		.amdhsa_reserve_vcc 0
		.amdhsa_float_round_mode_32 0
		.amdhsa_float_round_mode_16_64 0
		.amdhsa_float_denorm_mode_32 3
		.amdhsa_float_denorm_mode_16_64 3
		.amdhsa_dx10_clamp 1
		.amdhsa_ieee_mode 1
		.amdhsa_fp16_overflow 0
		.amdhsa_workgroup_processor_mode 1
		.amdhsa_memory_ordered 1
		.amdhsa_forward_progress 0
		.amdhsa_shared_vgpr_count 0
		.amdhsa_exception_fp_ieee_invalid_op 0
		.amdhsa_exception_fp_denorm_src 0
		.amdhsa_exception_fp_ieee_div_zero 0
		.amdhsa_exception_fp_ieee_overflow 0
		.amdhsa_exception_fp_ieee_underflow 0
		.amdhsa_exception_fp_ieee_inexact 0
		.amdhsa_exception_int_div_zero 0
	.end_amdhsa_kernel
	.section	.text._ZN7rocprim17ROCPRIM_400000_NS6detail17trampoline_kernelINS0_14default_configENS1_25partition_config_selectorILNS1_17partition_subalgoE5ElNS0_10empty_typeEbEEZZNS1_14partition_implILS5_5ELb0ES3_mN6hipcub16HIPCUB_304000_NS21CountingInputIteratorIllEEPS6_NSA_22TransformInputIteratorIb7NonZeroIiEPilEENS0_5tupleIJPlS6_EEENSJ_IJSD_SD_EEES6_SK_JS6_EEE10hipError_tPvRmT3_T4_T5_T6_T7_T9_mT8_P12ihipStream_tbDpT10_ENKUlT_T0_E_clISt17integral_constantIbLb1EES15_IbLb0EEEEDaS11_S12_EUlS11_E_NS1_11comp_targetILNS1_3genE4ELNS1_11target_archE910ELNS1_3gpuE8ELNS1_3repE0EEENS1_30default_config_static_selectorELNS0_4arch9wavefront6targetE0EEEvT1_,"axG",@progbits,_ZN7rocprim17ROCPRIM_400000_NS6detail17trampoline_kernelINS0_14default_configENS1_25partition_config_selectorILNS1_17partition_subalgoE5ElNS0_10empty_typeEbEEZZNS1_14partition_implILS5_5ELb0ES3_mN6hipcub16HIPCUB_304000_NS21CountingInputIteratorIllEEPS6_NSA_22TransformInputIteratorIb7NonZeroIiEPilEENS0_5tupleIJPlS6_EEENSJ_IJSD_SD_EEES6_SK_JS6_EEE10hipError_tPvRmT3_T4_T5_T6_T7_T9_mT8_P12ihipStream_tbDpT10_ENKUlT_T0_E_clISt17integral_constantIbLb1EES15_IbLb0EEEEDaS11_S12_EUlS11_E_NS1_11comp_targetILNS1_3genE4ELNS1_11target_archE910ELNS1_3gpuE8ELNS1_3repE0EEENS1_30default_config_static_selectorELNS0_4arch9wavefront6targetE0EEEvT1_,comdat
.Lfunc_end203:
	.size	_ZN7rocprim17ROCPRIM_400000_NS6detail17trampoline_kernelINS0_14default_configENS1_25partition_config_selectorILNS1_17partition_subalgoE5ElNS0_10empty_typeEbEEZZNS1_14partition_implILS5_5ELb0ES3_mN6hipcub16HIPCUB_304000_NS21CountingInputIteratorIllEEPS6_NSA_22TransformInputIteratorIb7NonZeroIiEPilEENS0_5tupleIJPlS6_EEENSJ_IJSD_SD_EEES6_SK_JS6_EEE10hipError_tPvRmT3_T4_T5_T6_T7_T9_mT8_P12ihipStream_tbDpT10_ENKUlT_T0_E_clISt17integral_constantIbLb1EES15_IbLb0EEEEDaS11_S12_EUlS11_E_NS1_11comp_targetILNS1_3genE4ELNS1_11target_archE910ELNS1_3gpuE8ELNS1_3repE0EEENS1_30default_config_static_selectorELNS0_4arch9wavefront6targetE0EEEvT1_, .Lfunc_end203-_ZN7rocprim17ROCPRIM_400000_NS6detail17trampoline_kernelINS0_14default_configENS1_25partition_config_selectorILNS1_17partition_subalgoE5ElNS0_10empty_typeEbEEZZNS1_14partition_implILS5_5ELb0ES3_mN6hipcub16HIPCUB_304000_NS21CountingInputIteratorIllEEPS6_NSA_22TransformInputIteratorIb7NonZeroIiEPilEENS0_5tupleIJPlS6_EEENSJ_IJSD_SD_EEES6_SK_JS6_EEE10hipError_tPvRmT3_T4_T5_T6_T7_T9_mT8_P12ihipStream_tbDpT10_ENKUlT_T0_E_clISt17integral_constantIbLb1EES15_IbLb0EEEEDaS11_S12_EUlS11_E_NS1_11comp_targetILNS1_3genE4ELNS1_11target_archE910ELNS1_3gpuE8ELNS1_3repE0EEENS1_30default_config_static_selectorELNS0_4arch9wavefront6targetE0EEEvT1_
                                        ; -- End function
	.section	.AMDGPU.csdata,"",@progbits
; Kernel info:
; codeLenInByte = 0
; NumSgprs: 0
; NumVgprs: 0
; ScratchSize: 0
; MemoryBound: 0
; FloatMode: 240
; IeeeMode: 1
; LDSByteSize: 0 bytes/workgroup (compile time only)
; SGPRBlocks: 0
; VGPRBlocks: 0
; NumSGPRsForWavesPerEU: 1
; NumVGPRsForWavesPerEU: 1
; Occupancy: 15
; WaveLimiterHint : 0
; COMPUTE_PGM_RSRC2:SCRATCH_EN: 0
; COMPUTE_PGM_RSRC2:USER_SGPR: 15
; COMPUTE_PGM_RSRC2:TRAP_HANDLER: 0
; COMPUTE_PGM_RSRC2:TGID_X_EN: 1
; COMPUTE_PGM_RSRC2:TGID_Y_EN: 0
; COMPUTE_PGM_RSRC2:TGID_Z_EN: 0
; COMPUTE_PGM_RSRC2:TIDIG_COMP_CNT: 0
	.section	.text._ZN7rocprim17ROCPRIM_400000_NS6detail17trampoline_kernelINS0_14default_configENS1_25partition_config_selectorILNS1_17partition_subalgoE5ElNS0_10empty_typeEbEEZZNS1_14partition_implILS5_5ELb0ES3_mN6hipcub16HIPCUB_304000_NS21CountingInputIteratorIllEEPS6_NSA_22TransformInputIteratorIb7NonZeroIiEPilEENS0_5tupleIJPlS6_EEENSJ_IJSD_SD_EEES6_SK_JS6_EEE10hipError_tPvRmT3_T4_T5_T6_T7_T9_mT8_P12ihipStream_tbDpT10_ENKUlT_T0_E_clISt17integral_constantIbLb1EES15_IbLb0EEEEDaS11_S12_EUlS11_E_NS1_11comp_targetILNS1_3genE3ELNS1_11target_archE908ELNS1_3gpuE7ELNS1_3repE0EEENS1_30default_config_static_selectorELNS0_4arch9wavefront6targetE0EEEvT1_,"axG",@progbits,_ZN7rocprim17ROCPRIM_400000_NS6detail17trampoline_kernelINS0_14default_configENS1_25partition_config_selectorILNS1_17partition_subalgoE5ElNS0_10empty_typeEbEEZZNS1_14partition_implILS5_5ELb0ES3_mN6hipcub16HIPCUB_304000_NS21CountingInputIteratorIllEEPS6_NSA_22TransformInputIteratorIb7NonZeroIiEPilEENS0_5tupleIJPlS6_EEENSJ_IJSD_SD_EEES6_SK_JS6_EEE10hipError_tPvRmT3_T4_T5_T6_T7_T9_mT8_P12ihipStream_tbDpT10_ENKUlT_T0_E_clISt17integral_constantIbLb1EES15_IbLb0EEEEDaS11_S12_EUlS11_E_NS1_11comp_targetILNS1_3genE3ELNS1_11target_archE908ELNS1_3gpuE7ELNS1_3repE0EEENS1_30default_config_static_selectorELNS0_4arch9wavefront6targetE0EEEvT1_,comdat
	.protected	_ZN7rocprim17ROCPRIM_400000_NS6detail17trampoline_kernelINS0_14default_configENS1_25partition_config_selectorILNS1_17partition_subalgoE5ElNS0_10empty_typeEbEEZZNS1_14partition_implILS5_5ELb0ES3_mN6hipcub16HIPCUB_304000_NS21CountingInputIteratorIllEEPS6_NSA_22TransformInputIteratorIb7NonZeroIiEPilEENS0_5tupleIJPlS6_EEENSJ_IJSD_SD_EEES6_SK_JS6_EEE10hipError_tPvRmT3_T4_T5_T6_T7_T9_mT8_P12ihipStream_tbDpT10_ENKUlT_T0_E_clISt17integral_constantIbLb1EES15_IbLb0EEEEDaS11_S12_EUlS11_E_NS1_11comp_targetILNS1_3genE3ELNS1_11target_archE908ELNS1_3gpuE7ELNS1_3repE0EEENS1_30default_config_static_selectorELNS0_4arch9wavefront6targetE0EEEvT1_ ; -- Begin function _ZN7rocprim17ROCPRIM_400000_NS6detail17trampoline_kernelINS0_14default_configENS1_25partition_config_selectorILNS1_17partition_subalgoE5ElNS0_10empty_typeEbEEZZNS1_14partition_implILS5_5ELb0ES3_mN6hipcub16HIPCUB_304000_NS21CountingInputIteratorIllEEPS6_NSA_22TransformInputIteratorIb7NonZeroIiEPilEENS0_5tupleIJPlS6_EEENSJ_IJSD_SD_EEES6_SK_JS6_EEE10hipError_tPvRmT3_T4_T5_T6_T7_T9_mT8_P12ihipStream_tbDpT10_ENKUlT_T0_E_clISt17integral_constantIbLb1EES15_IbLb0EEEEDaS11_S12_EUlS11_E_NS1_11comp_targetILNS1_3genE3ELNS1_11target_archE908ELNS1_3gpuE7ELNS1_3repE0EEENS1_30default_config_static_selectorELNS0_4arch9wavefront6targetE0EEEvT1_
	.globl	_ZN7rocprim17ROCPRIM_400000_NS6detail17trampoline_kernelINS0_14default_configENS1_25partition_config_selectorILNS1_17partition_subalgoE5ElNS0_10empty_typeEbEEZZNS1_14partition_implILS5_5ELb0ES3_mN6hipcub16HIPCUB_304000_NS21CountingInputIteratorIllEEPS6_NSA_22TransformInputIteratorIb7NonZeroIiEPilEENS0_5tupleIJPlS6_EEENSJ_IJSD_SD_EEES6_SK_JS6_EEE10hipError_tPvRmT3_T4_T5_T6_T7_T9_mT8_P12ihipStream_tbDpT10_ENKUlT_T0_E_clISt17integral_constantIbLb1EES15_IbLb0EEEEDaS11_S12_EUlS11_E_NS1_11comp_targetILNS1_3genE3ELNS1_11target_archE908ELNS1_3gpuE7ELNS1_3repE0EEENS1_30default_config_static_selectorELNS0_4arch9wavefront6targetE0EEEvT1_
	.p2align	8
	.type	_ZN7rocprim17ROCPRIM_400000_NS6detail17trampoline_kernelINS0_14default_configENS1_25partition_config_selectorILNS1_17partition_subalgoE5ElNS0_10empty_typeEbEEZZNS1_14partition_implILS5_5ELb0ES3_mN6hipcub16HIPCUB_304000_NS21CountingInputIteratorIllEEPS6_NSA_22TransformInputIteratorIb7NonZeroIiEPilEENS0_5tupleIJPlS6_EEENSJ_IJSD_SD_EEES6_SK_JS6_EEE10hipError_tPvRmT3_T4_T5_T6_T7_T9_mT8_P12ihipStream_tbDpT10_ENKUlT_T0_E_clISt17integral_constantIbLb1EES15_IbLb0EEEEDaS11_S12_EUlS11_E_NS1_11comp_targetILNS1_3genE3ELNS1_11target_archE908ELNS1_3gpuE7ELNS1_3repE0EEENS1_30default_config_static_selectorELNS0_4arch9wavefront6targetE0EEEvT1_,@function
_ZN7rocprim17ROCPRIM_400000_NS6detail17trampoline_kernelINS0_14default_configENS1_25partition_config_selectorILNS1_17partition_subalgoE5ElNS0_10empty_typeEbEEZZNS1_14partition_implILS5_5ELb0ES3_mN6hipcub16HIPCUB_304000_NS21CountingInputIteratorIllEEPS6_NSA_22TransformInputIteratorIb7NonZeroIiEPilEENS0_5tupleIJPlS6_EEENSJ_IJSD_SD_EEES6_SK_JS6_EEE10hipError_tPvRmT3_T4_T5_T6_T7_T9_mT8_P12ihipStream_tbDpT10_ENKUlT_T0_E_clISt17integral_constantIbLb1EES15_IbLb0EEEEDaS11_S12_EUlS11_E_NS1_11comp_targetILNS1_3genE3ELNS1_11target_archE908ELNS1_3gpuE7ELNS1_3repE0EEENS1_30default_config_static_selectorELNS0_4arch9wavefront6targetE0EEEvT1_: ; @_ZN7rocprim17ROCPRIM_400000_NS6detail17trampoline_kernelINS0_14default_configENS1_25partition_config_selectorILNS1_17partition_subalgoE5ElNS0_10empty_typeEbEEZZNS1_14partition_implILS5_5ELb0ES3_mN6hipcub16HIPCUB_304000_NS21CountingInputIteratorIllEEPS6_NSA_22TransformInputIteratorIb7NonZeroIiEPilEENS0_5tupleIJPlS6_EEENSJ_IJSD_SD_EEES6_SK_JS6_EEE10hipError_tPvRmT3_T4_T5_T6_T7_T9_mT8_P12ihipStream_tbDpT10_ENKUlT_T0_E_clISt17integral_constantIbLb1EES15_IbLb0EEEEDaS11_S12_EUlS11_E_NS1_11comp_targetILNS1_3genE3ELNS1_11target_archE908ELNS1_3gpuE7ELNS1_3repE0EEENS1_30default_config_static_selectorELNS0_4arch9wavefront6targetE0EEEvT1_
; %bb.0:
	.section	.rodata,"a",@progbits
	.p2align	6, 0x0
	.amdhsa_kernel _ZN7rocprim17ROCPRIM_400000_NS6detail17trampoline_kernelINS0_14default_configENS1_25partition_config_selectorILNS1_17partition_subalgoE5ElNS0_10empty_typeEbEEZZNS1_14partition_implILS5_5ELb0ES3_mN6hipcub16HIPCUB_304000_NS21CountingInputIteratorIllEEPS6_NSA_22TransformInputIteratorIb7NonZeroIiEPilEENS0_5tupleIJPlS6_EEENSJ_IJSD_SD_EEES6_SK_JS6_EEE10hipError_tPvRmT3_T4_T5_T6_T7_T9_mT8_P12ihipStream_tbDpT10_ENKUlT_T0_E_clISt17integral_constantIbLb1EES15_IbLb0EEEEDaS11_S12_EUlS11_E_NS1_11comp_targetILNS1_3genE3ELNS1_11target_archE908ELNS1_3gpuE7ELNS1_3repE0EEENS1_30default_config_static_selectorELNS0_4arch9wavefront6targetE0EEEvT1_
		.amdhsa_group_segment_fixed_size 0
		.amdhsa_private_segment_fixed_size 0
		.amdhsa_kernarg_size 120
		.amdhsa_user_sgpr_count 15
		.amdhsa_user_sgpr_dispatch_ptr 0
		.amdhsa_user_sgpr_queue_ptr 0
		.amdhsa_user_sgpr_kernarg_segment_ptr 1
		.amdhsa_user_sgpr_dispatch_id 0
		.amdhsa_user_sgpr_private_segment_size 0
		.amdhsa_wavefront_size32 1
		.amdhsa_uses_dynamic_stack 0
		.amdhsa_enable_private_segment 0
		.amdhsa_system_sgpr_workgroup_id_x 1
		.amdhsa_system_sgpr_workgroup_id_y 0
		.amdhsa_system_sgpr_workgroup_id_z 0
		.amdhsa_system_sgpr_workgroup_info 0
		.amdhsa_system_vgpr_workitem_id 0
		.amdhsa_next_free_vgpr 1
		.amdhsa_next_free_sgpr 1
		.amdhsa_reserve_vcc 0
		.amdhsa_float_round_mode_32 0
		.amdhsa_float_round_mode_16_64 0
		.amdhsa_float_denorm_mode_32 3
		.amdhsa_float_denorm_mode_16_64 3
		.amdhsa_dx10_clamp 1
		.amdhsa_ieee_mode 1
		.amdhsa_fp16_overflow 0
		.amdhsa_workgroup_processor_mode 1
		.amdhsa_memory_ordered 1
		.amdhsa_forward_progress 0
		.amdhsa_shared_vgpr_count 0
		.amdhsa_exception_fp_ieee_invalid_op 0
		.amdhsa_exception_fp_denorm_src 0
		.amdhsa_exception_fp_ieee_div_zero 0
		.amdhsa_exception_fp_ieee_overflow 0
		.amdhsa_exception_fp_ieee_underflow 0
		.amdhsa_exception_fp_ieee_inexact 0
		.amdhsa_exception_int_div_zero 0
	.end_amdhsa_kernel
	.section	.text._ZN7rocprim17ROCPRIM_400000_NS6detail17trampoline_kernelINS0_14default_configENS1_25partition_config_selectorILNS1_17partition_subalgoE5ElNS0_10empty_typeEbEEZZNS1_14partition_implILS5_5ELb0ES3_mN6hipcub16HIPCUB_304000_NS21CountingInputIteratorIllEEPS6_NSA_22TransformInputIteratorIb7NonZeroIiEPilEENS0_5tupleIJPlS6_EEENSJ_IJSD_SD_EEES6_SK_JS6_EEE10hipError_tPvRmT3_T4_T5_T6_T7_T9_mT8_P12ihipStream_tbDpT10_ENKUlT_T0_E_clISt17integral_constantIbLb1EES15_IbLb0EEEEDaS11_S12_EUlS11_E_NS1_11comp_targetILNS1_3genE3ELNS1_11target_archE908ELNS1_3gpuE7ELNS1_3repE0EEENS1_30default_config_static_selectorELNS0_4arch9wavefront6targetE0EEEvT1_,"axG",@progbits,_ZN7rocprim17ROCPRIM_400000_NS6detail17trampoline_kernelINS0_14default_configENS1_25partition_config_selectorILNS1_17partition_subalgoE5ElNS0_10empty_typeEbEEZZNS1_14partition_implILS5_5ELb0ES3_mN6hipcub16HIPCUB_304000_NS21CountingInputIteratorIllEEPS6_NSA_22TransformInputIteratorIb7NonZeroIiEPilEENS0_5tupleIJPlS6_EEENSJ_IJSD_SD_EEES6_SK_JS6_EEE10hipError_tPvRmT3_T4_T5_T6_T7_T9_mT8_P12ihipStream_tbDpT10_ENKUlT_T0_E_clISt17integral_constantIbLb1EES15_IbLb0EEEEDaS11_S12_EUlS11_E_NS1_11comp_targetILNS1_3genE3ELNS1_11target_archE908ELNS1_3gpuE7ELNS1_3repE0EEENS1_30default_config_static_selectorELNS0_4arch9wavefront6targetE0EEEvT1_,comdat
.Lfunc_end204:
	.size	_ZN7rocprim17ROCPRIM_400000_NS6detail17trampoline_kernelINS0_14default_configENS1_25partition_config_selectorILNS1_17partition_subalgoE5ElNS0_10empty_typeEbEEZZNS1_14partition_implILS5_5ELb0ES3_mN6hipcub16HIPCUB_304000_NS21CountingInputIteratorIllEEPS6_NSA_22TransformInputIteratorIb7NonZeroIiEPilEENS0_5tupleIJPlS6_EEENSJ_IJSD_SD_EEES6_SK_JS6_EEE10hipError_tPvRmT3_T4_T5_T6_T7_T9_mT8_P12ihipStream_tbDpT10_ENKUlT_T0_E_clISt17integral_constantIbLb1EES15_IbLb0EEEEDaS11_S12_EUlS11_E_NS1_11comp_targetILNS1_3genE3ELNS1_11target_archE908ELNS1_3gpuE7ELNS1_3repE0EEENS1_30default_config_static_selectorELNS0_4arch9wavefront6targetE0EEEvT1_, .Lfunc_end204-_ZN7rocprim17ROCPRIM_400000_NS6detail17trampoline_kernelINS0_14default_configENS1_25partition_config_selectorILNS1_17partition_subalgoE5ElNS0_10empty_typeEbEEZZNS1_14partition_implILS5_5ELb0ES3_mN6hipcub16HIPCUB_304000_NS21CountingInputIteratorIllEEPS6_NSA_22TransformInputIteratorIb7NonZeroIiEPilEENS0_5tupleIJPlS6_EEENSJ_IJSD_SD_EEES6_SK_JS6_EEE10hipError_tPvRmT3_T4_T5_T6_T7_T9_mT8_P12ihipStream_tbDpT10_ENKUlT_T0_E_clISt17integral_constantIbLb1EES15_IbLb0EEEEDaS11_S12_EUlS11_E_NS1_11comp_targetILNS1_3genE3ELNS1_11target_archE908ELNS1_3gpuE7ELNS1_3repE0EEENS1_30default_config_static_selectorELNS0_4arch9wavefront6targetE0EEEvT1_
                                        ; -- End function
	.section	.AMDGPU.csdata,"",@progbits
; Kernel info:
; codeLenInByte = 0
; NumSgprs: 0
; NumVgprs: 0
; ScratchSize: 0
; MemoryBound: 0
; FloatMode: 240
; IeeeMode: 1
; LDSByteSize: 0 bytes/workgroup (compile time only)
; SGPRBlocks: 0
; VGPRBlocks: 0
; NumSGPRsForWavesPerEU: 1
; NumVGPRsForWavesPerEU: 1
; Occupancy: 16
; WaveLimiterHint : 0
; COMPUTE_PGM_RSRC2:SCRATCH_EN: 0
; COMPUTE_PGM_RSRC2:USER_SGPR: 15
; COMPUTE_PGM_RSRC2:TRAP_HANDLER: 0
; COMPUTE_PGM_RSRC2:TGID_X_EN: 1
; COMPUTE_PGM_RSRC2:TGID_Y_EN: 0
; COMPUTE_PGM_RSRC2:TGID_Z_EN: 0
; COMPUTE_PGM_RSRC2:TIDIG_COMP_CNT: 0
	.section	.text._ZN7rocprim17ROCPRIM_400000_NS6detail17trampoline_kernelINS0_14default_configENS1_25partition_config_selectorILNS1_17partition_subalgoE5ElNS0_10empty_typeEbEEZZNS1_14partition_implILS5_5ELb0ES3_mN6hipcub16HIPCUB_304000_NS21CountingInputIteratorIllEEPS6_NSA_22TransformInputIteratorIb7NonZeroIiEPilEENS0_5tupleIJPlS6_EEENSJ_IJSD_SD_EEES6_SK_JS6_EEE10hipError_tPvRmT3_T4_T5_T6_T7_T9_mT8_P12ihipStream_tbDpT10_ENKUlT_T0_E_clISt17integral_constantIbLb1EES15_IbLb0EEEEDaS11_S12_EUlS11_E_NS1_11comp_targetILNS1_3genE2ELNS1_11target_archE906ELNS1_3gpuE6ELNS1_3repE0EEENS1_30default_config_static_selectorELNS0_4arch9wavefront6targetE0EEEvT1_,"axG",@progbits,_ZN7rocprim17ROCPRIM_400000_NS6detail17trampoline_kernelINS0_14default_configENS1_25partition_config_selectorILNS1_17partition_subalgoE5ElNS0_10empty_typeEbEEZZNS1_14partition_implILS5_5ELb0ES3_mN6hipcub16HIPCUB_304000_NS21CountingInputIteratorIllEEPS6_NSA_22TransformInputIteratorIb7NonZeroIiEPilEENS0_5tupleIJPlS6_EEENSJ_IJSD_SD_EEES6_SK_JS6_EEE10hipError_tPvRmT3_T4_T5_T6_T7_T9_mT8_P12ihipStream_tbDpT10_ENKUlT_T0_E_clISt17integral_constantIbLb1EES15_IbLb0EEEEDaS11_S12_EUlS11_E_NS1_11comp_targetILNS1_3genE2ELNS1_11target_archE906ELNS1_3gpuE6ELNS1_3repE0EEENS1_30default_config_static_selectorELNS0_4arch9wavefront6targetE0EEEvT1_,comdat
	.protected	_ZN7rocprim17ROCPRIM_400000_NS6detail17trampoline_kernelINS0_14default_configENS1_25partition_config_selectorILNS1_17partition_subalgoE5ElNS0_10empty_typeEbEEZZNS1_14partition_implILS5_5ELb0ES3_mN6hipcub16HIPCUB_304000_NS21CountingInputIteratorIllEEPS6_NSA_22TransformInputIteratorIb7NonZeroIiEPilEENS0_5tupleIJPlS6_EEENSJ_IJSD_SD_EEES6_SK_JS6_EEE10hipError_tPvRmT3_T4_T5_T6_T7_T9_mT8_P12ihipStream_tbDpT10_ENKUlT_T0_E_clISt17integral_constantIbLb1EES15_IbLb0EEEEDaS11_S12_EUlS11_E_NS1_11comp_targetILNS1_3genE2ELNS1_11target_archE906ELNS1_3gpuE6ELNS1_3repE0EEENS1_30default_config_static_selectorELNS0_4arch9wavefront6targetE0EEEvT1_ ; -- Begin function _ZN7rocprim17ROCPRIM_400000_NS6detail17trampoline_kernelINS0_14default_configENS1_25partition_config_selectorILNS1_17partition_subalgoE5ElNS0_10empty_typeEbEEZZNS1_14partition_implILS5_5ELb0ES3_mN6hipcub16HIPCUB_304000_NS21CountingInputIteratorIllEEPS6_NSA_22TransformInputIteratorIb7NonZeroIiEPilEENS0_5tupleIJPlS6_EEENSJ_IJSD_SD_EEES6_SK_JS6_EEE10hipError_tPvRmT3_T4_T5_T6_T7_T9_mT8_P12ihipStream_tbDpT10_ENKUlT_T0_E_clISt17integral_constantIbLb1EES15_IbLb0EEEEDaS11_S12_EUlS11_E_NS1_11comp_targetILNS1_3genE2ELNS1_11target_archE906ELNS1_3gpuE6ELNS1_3repE0EEENS1_30default_config_static_selectorELNS0_4arch9wavefront6targetE0EEEvT1_
	.globl	_ZN7rocprim17ROCPRIM_400000_NS6detail17trampoline_kernelINS0_14default_configENS1_25partition_config_selectorILNS1_17partition_subalgoE5ElNS0_10empty_typeEbEEZZNS1_14partition_implILS5_5ELb0ES3_mN6hipcub16HIPCUB_304000_NS21CountingInputIteratorIllEEPS6_NSA_22TransformInputIteratorIb7NonZeroIiEPilEENS0_5tupleIJPlS6_EEENSJ_IJSD_SD_EEES6_SK_JS6_EEE10hipError_tPvRmT3_T4_T5_T6_T7_T9_mT8_P12ihipStream_tbDpT10_ENKUlT_T0_E_clISt17integral_constantIbLb1EES15_IbLb0EEEEDaS11_S12_EUlS11_E_NS1_11comp_targetILNS1_3genE2ELNS1_11target_archE906ELNS1_3gpuE6ELNS1_3repE0EEENS1_30default_config_static_selectorELNS0_4arch9wavefront6targetE0EEEvT1_
	.p2align	8
	.type	_ZN7rocprim17ROCPRIM_400000_NS6detail17trampoline_kernelINS0_14default_configENS1_25partition_config_selectorILNS1_17partition_subalgoE5ElNS0_10empty_typeEbEEZZNS1_14partition_implILS5_5ELb0ES3_mN6hipcub16HIPCUB_304000_NS21CountingInputIteratorIllEEPS6_NSA_22TransformInputIteratorIb7NonZeroIiEPilEENS0_5tupleIJPlS6_EEENSJ_IJSD_SD_EEES6_SK_JS6_EEE10hipError_tPvRmT3_T4_T5_T6_T7_T9_mT8_P12ihipStream_tbDpT10_ENKUlT_T0_E_clISt17integral_constantIbLb1EES15_IbLb0EEEEDaS11_S12_EUlS11_E_NS1_11comp_targetILNS1_3genE2ELNS1_11target_archE906ELNS1_3gpuE6ELNS1_3repE0EEENS1_30default_config_static_selectorELNS0_4arch9wavefront6targetE0EEEvT1_,@function
_ZN7rocprim17ROCPRIM_400000_NS6detail17trampoline_kernelINS0_14default_configENS1_25partition_config_selectorILNS1_17partition_subalgoE5ElNS0_10empty_typeEbEEZZNS1_14partition_implILS5_5ELb0ES3_mN6hipcub16HIPCUB_304000_NS21CountingInputIteratorIllEEPS6_NSA_22TransformInputIteratorIb7NonZeroIiEPilEENS0_5tupleIJPlS6_EEENSJ_IJSD_SD_EEES6_SK_JS6_EEE10hipError_tPvRmT3_T4_T5_T6_T7_T9_mT8_P12ihipStream_tbDpT10_ENKUlT_T0_E_clISt17integral_constantIbLb1EES15_IbLb0EEEEDaS11_S12_EUlS11_E_NS1_11comp_targetILNS1_3genE2ELNS1_11target_archE906ELNS1_3gpuE6ELNS1_3repE0EEENS1_30default_config_static_selectorELNS0_4arch9wavefront6targetE0EEEvT1_: ; @_ZN7rocprim17ROCPRIM_400000_NS6detail17trampoline_kernelINS0_14default_configENS1_25partition_config_selectorILNS1_17partition_subalgoE5ElNS0_10empty_typeEbEEZZNS1_14partition_implILS5_5ELb0ES3_mN6hipcub16HIPCUB_304000_NS21CountingInputIteratorIllEEPS6_NSA_22TransformInputIteratorIb7NonZeroIiEPilEENS0_5tupleIJPlS6_EEENSJ_IJSD_SD_EEES6_SK_JS6_EEE10hipError_tPvRmT3_T4_T5_T6_T7_T9_mT8_P12ihipStream_tbDpT10_ENKUlT_T0_E_clISt17integral_constantIbLb1EES15_IbLb0EEEEDaS11_S12_EUlS11_E_NS1_11comp_targetILNS1_3genE2ELNS1_11target_archE906ELNS1_3gpuE6ELNS1_3repE0EEENS1_30default_config_static_selectorELNS0_4arch9wavefront6targetE0EEEvT1_
; %bb.0:
	.section	.rodata,"a",@progbits
	.p2align	6, 0x0
	.amdhsa_kernel _ZN7rocprim17ROCPRIM_400000_NS6detail17trampoline_kernelINS0_14default_configENS1_25partition_config_selectorILNS1_17partition_subalgoE5ElNS0_10empty_typeEbEEZZNS1_14partition_implILS5_5ELb0ES3_mN6hipcub16HIPCUB_304000_NS21CountingInputIteratorIllEEPS6_NSA_22TransformInputIteratorIb7NonZeroIiEPilEENS0_5tupleIJPlS6_EEENSJ_IJSD_SD_EEES6_SK_JS6_EEE10hipError_tPvRmT3_T4_T5_T6_T7_T9_mT8_P12ihipStream_tbDpT10_ENKUlT_T0_E_clISt17integral_constantIbLb1EES15_IbLb0EEEEDaS11_S12_EUlS11_E_NS1_11comp_targetILNS1_3genE2ELNS1_11target_archE906ELNS1_3gpuE6ELNS1_3repE0EEENS1_30default_config_static_selectorELNS0_4arch9wavefront6targetE0EEEvT1_
		.amdhsa_group_segment_fixed_size 0
		.amdhsa_private_segment_fixed_size 0
		.amdhsa_kernarg_size 120
		.amdhsa_user_sgpr_count 15
		.amdhsa_user_sgpr_dispatch_ptr 0
		.amdhsa_user_sgpr_queue_ptr 0
		.amdhsa_user_sgpr_kernarg_segment_ptr 1
		.amdhsa_user_sgpr_dispatch_id 0
		.amdhsa_user_sgpr_private_segment_size 0
		.amdhsa_wavefront_size32 1
		.amdhsa_uses_dynamic_stack 0
		.amdhsa_enable_private_segment 0
		.amdhsa_system_sgpr_workgroup_id_x 1
		.amdhsa_system_sgpr_workgroup_id_y 0
		.amdhsa_system_sgpr_workgroup_id_z 0
		.amdhsa_system_sgpr_workgroup_info 0
		.amdhsa_system_vgpr_workitem_id 0
		.amdhsa_next_free_vgpr 1
		.amdhsa_next_free_sgpr 1
		.amdhsa_reserve_vcc 0
		.amdhsa_float_round_mode_32 0
		.amdhsa_float_round_mode_16_64 0
		.amdhsa_float_denorm_mode_32 3
		.amdhsa_float_denorm_mode_16_64 3
		.amdhsa_dx10_clamp 1
		.amdhsa_ieee_mode 1
		.amdhsa_fp16_overflow 0
		.amdhsa_workgroup_processor_mode 1
		.amdhsa_memory_ordered 1
		.amdhsa_forward_progress 0
		.amdhsa_shared_vgpr_count 0
		.amdhsa_exception_fp_ieee_invalid_op 0
		.amdhsa_exception_fp_denorm_src 0
		.amdhsa_exception_fp_ieee_div_zero 0
		.amdhsa_exception_fp_ieee_overflow 0
		.amdhsa_exception_fp_ieee_underflow 0
		.amdhsa_exception_fp_ieee_inexact 0
		.amdhsa_exception_int_div_zero 0
	.end_amdhsa_kernel
	.section	.text._ZN7rocprim17ROCPRIM_400000_NS6detail17trampoline_kernelINS0_14default_configENS1_25partition_config_selectorILNS1_17partition_subalgoE5ElNS0_10empty_typeEbEEZZNS1_14partition_implILS5_5ELb0ES3_mN6hipcub16HIPCUB_304000_NS21CountingInputIteratorIllEEPS6_NSA_22TransformInputIteratorIb7NonZeroIiEPilEENS0_5tupleIJPlS6_EEENSJ_IJSD_SD_EEES6_SK_JS6_EEE10hipError_tPvRmT3_T4_T5_T6_T7_T9_mT8_P12ihipStream_tbDpT10_ENKUlT_T0_E_clISt17integral_constantIbLb1EES15_IbLb0EEEEDaS11_S12_EUlS11_E_NS1_11comp_targetILNS1_3genE2ELNS1_11target_archE906ELNS1_3gpuE6ELNS1_3repE0EEENS1_30default_config_static_selectorELNS0_4arch9wavefront6targetE0EEEvT1_,"axG",@progbits,_ZN7rocprim17ROCPRIM_400000_NS6detail17trampoline_kernelINS0_14default_configENS1_25partition_config_selectorILNS1_17partition_subalgoE5ElNS0_10empty_typeEbEEZZNS1_14partition_implILS5_5ELb0ES3_mN6hipcub16HIPCUB_304000_NS21CountingInputIteratorIllEEPS6_NSA_22TransformInputIteratorIb7NonZeroIiEPilEENS0_5tupleIJPlS6_EEENSJ_IJSD_SD_EEES6_SK_JS6_EEE10hipError_tPvRmT3_T4_T5_T6_T7_T9_mT8_P12ihipStream_tbDpT10_ENKUlT_T0_E_clISt17integral_constantIbLb1EES15_IbLb0EEEEDaS11_S12_EUlS11_E_NS1_11comp_targetILNS1_3genE2ELNS1_11target_archE906ELNS1_3gpuE6ELNS1_3repE0EEENS1_30default_config_static_selectorELNS0_4arch9wavefront6targetE0EEEvT1_,comdat
.Lfunc_end205:
	.size	_ZN7rocprim17ROCPRIM_400000_NS6detail17trampoline_kernelINS0_14default_configENS1_25partition_config_selectorILNS1_17partition_subalgoE5ElNS0_10empty_typeEbEEZZNS1_14partition_implILS5_5ELb0ES3_mN6hipcub16HIPCUB_304000_NS21CountingInputIteratorIllEEPS6_NSA_22TransformInputIteratorIb7NonZeroIiEPilEENS0_5tupleIJPlS6_EEENSJ_IJSD_SD_EEES6_SK_JS6_EEE10hipError_tPvRmT3_T4_T5_T6_T7_T9_mT8_P12ihipStream_tbDpT10_ENKUlT_T0_E_clISt17integral_constantIbLb1EES15_IbLb0EEEEDaS11_S12_EUlS11_E_NS1_11comp_targetILNS1_3genE2ELNS1_11target_archE906ELNS1_3gpuE6ELNS1_3repE0EEENS1_30default_config_static_selectorELNS0_4arch9wavefront6targetE0EEEvT1_, .Lfunc_end205-_ZN7rocprim17ROCPRIM_400000_NS6detail17trampoline_kernelINS0_14default_configENS1_25partition_config_selectorILNS1_17partition_subalgoE5ElNS0_10empty_typeEbEEZZNS1_14partition_implILS5_5ELb0ES3_mN6hipcub16HIPCUB_304000_NS21CountingInputIteratorIllEEPS6_NSA_22TransformInputIteratorIb7NonZeroIiEPilEENS0_5tupleIJPlS6_EEENSJ_IJSD_SD_EEES6_SK_JS6_EEE10hipError_tPvRmT3_T4_T5_T6_T7_T9_mT8_P12ihipStream_tbDpT10_ENKUlT_T0_E_clISt17integral_constantIbLb1EES15_IbLb0EEEEDaS11_S12_EUlS11_E_NS1_11comp_targetILNS1_3genE2ELNS1_11target_archE906ELNS1_3gpuE6ELNS1_3repE0EEENS1_30default_config_static_selectorELNS0_4arch9wavefront6targetE0EEEvT1_
                                        ; -- End function
	.section	.AMDGPU.csdata,"",@progbits
; Kernel info:
; codeLenInByte = 0
; NumSgprs: 0
; NumVgprs: 0
; ScratchSize: 0
; MemoryBound: 0
; FloatMode: 240
; IeeeMode: 1
; LDSByteSize: 0 bytes/workgroup (compile time only)
; SGPRBlocks: 0
; VGPRBlocks: 0
; NumSGPRsForWavesPerEU: 1
; NumVGPRsForWavesPerEU: 1
; Occupancy: 16
; WaveLimiterHint : 0
; COMPUTE_PGM_RSRC2:SCRATCH_EN: 0
; COMPUTE_PGM_RSRC2:USER_SGPR: 15
; COMPUTE_PGM_RSRC2:TRAP_HANDLER: 0
; COMPUTE_PGM_RSRC2:TGID_X_EN: 1
; COMPUTE_PGM_RSRC2:TGID_Y_EN: 0
; COMPUTE_PGM_RSRC2:TGID_Z_EN: 0
; COMPUTE_PGM_RSRC2:TIDIG_COMP_CNT: 0
	.section	.text._ZN7rocprim17ROCPRIM_400000_NS6detail17trampoline_kernelINS0_14default_configENS1_25partition_config_selectorILNS1_17partition_subalgoE5ElNS0_10empty_typeEbEEZZNS1_14partition_implILS5_5ELb0ES3_mN6hipcub16HIPCUB_304000_NS21CountingInputIteratorIllEEPS6_NSA_22TransformInputIteratorIb7NonZeroIiEPilEENS0_5tupleIJPlS6_EEENSJ_IJSD_SD_EEES6_SK_JS6_EEE10hipError_tPvRmT3_T4_T5_T6_T7_T9_mT8_P12ihipStream_tbDpT10_ENKUlT_T0_E_clISt17integral_constantIbLb1EES15_IbLb0EEEEDaS11_S12_EUlS11_E_NS1_11comp_targetILNS1_3genE10ELNS1_11target_archE1200ELNS1_3gpuE4ELNS1_3repE0EEENS1_30default_config_static_selectorELNS0_4arch9wavefront6targetE0EEEvT1_,"axG",@progbits,_ZN7rocprim17ROCPRIM_400000_NS6detail17trampoline_kernelINS0_14default_configENS1_25partition_config_selectorILNS1_17partition_subalgoE5ElNS0_10empty_typeEbEEZZNS1_14partition_implILS5_5ELb0ES3_mN6hipcub16HIPCUB_304000_NS21CountingInputIteratorIllEEPS6_NSA_22TransformInputIteratorIb7NonZeroIiEPilEENS0_5tupleIJPlS6_EEENSJ_IJSD_SD_EEES6_SK_JS6_EEE10hipError_tPvRmT3_T4_T5_T6_T7_T9_mT8_P12ihipStream_tbDpT10_ENKUlT_T0_E_clISt17integral_constantIbLb1EES15_IbLb0EEEEDaS11_S12_EUlS11_E_NS1_11comp_targetILNS1_3genE10ELNS1_11target_archE1200ELNS1_3gpuE4ELNS1_3repE0EEENS1_30default_config_static_selectorELNS0_4arch9wavefront6targetE0EEEvT1_,comdat
	.protected	_ZN7rocprim17ROCPRIM_400000_NS6detail17trampoline_kernelINS0_14default_configENS1_25partition_config_selectorILNS1_17partition_subalgoE5ElNS0_10empty_typeEbEEZZNS1_14partition_implILS5_5ELb0ES3_mN6hipcub16HIPCUB_304000_NS21CountingInputIteratorIllEEPS6_NSA_22TransformInputIteratorIb7NonZeroIiEPilEENS0_5tupleIJPlS6_EEENSJ_IJSD_SD_EEES6_SK_JS6_EEE10hipError_tPvRmT3_T4_T5_T6_T7_T9_mT8_P12ihipStream_tbDpT10_ENKUlT_T0_E_clISt17integral_constantIbLb1EES15_IbLb0EEEEDaS11_S12_EUlS11_E_NS1_11comp_targetILNS1_3genE10ELNS1_11target_archE1200ELNS1_3gpuE4ELNS1_3repE0EEENS1_30default_config_static_selectorELNS0_4arch9wavefront6targetE0EEEvT1_ ; -- Begin function _ZN7rocprim17ROCPRIM_400000_NS6detail17trampoline_kernelINS0_14default_configENS1_25partition_config_selectorILNS1_17partition_subalgoE5ElNS0_10empty_typeEbEEZZNS1_14partition_implILS5_5ELb0ES3_mN6hipcub16HIPCUB_304000_NS21CountingInputIteratorIllEEPS6_NSA_22TransformInputIteratorIb7NonZeroIiEPilEENS0_5tupleIJPlS6_EEENSJ_IJSD_SD_EEES6_SK_JS6_EEE10hipError_tPvRmT3_T4_T5_T6_T7_T9_mT8_P12ihipStream_tbDpT10_ENKUlT_T0_E_clISt17integral_constantIbLb1EES15_IbLb0EEEEDaS11_S12_EUlS11_E_NS1_11comp_targetILNS1_3genE10ELNS1_11target_archE1200ELNS1_3gpuE4ELNS1_3repE0EEENS1_30default_config_static_selectorELNS0_4arch9wavefront6targetE0EEEvT1_
	.globl	_ZN7rocprim17ROCPRIM_400000_NS6detail17trampoline_kernelINS0_14default_configENS1_25partition_config_selectorILNS1_17partition_subalgoE5ElNS0_10empty_typeEbEEZZNS1_14partition_implILS5_5ELb0ES3_mN6hipcub16HIPCUB_304000_NS21CountingInputIteratorIllEEPS6_NSA_22TransformInputIteratorIb7NonZeroIiEPilEENS0_5tupleIJPlS6_EEENSJ_IJSD_SD_EEES6_SK_JS6_EEE10hipError_tPvRmT3_T4_T5_T6_T7_T9_mT8_P12ihipStream_tbDpT10_ENKUlT_T0_E_clISt17integral_constantIbLb1EES15_IbLb0EEEEDaS11_S12_EUlS11_E_NS1_11comp_targetILNS1_3genE10ELNS1_11target_archE1200ELNS1_3gpuE4ELNS1_3repE0EEENS1_30default_config_static_selectorELNS0_4arch9wavefront6targetE0EEEvT1_
	.p2align	8
	.type	_ZN7rocprim17ROCPRIM_400000_NS6detail17trampoline_kernelINS0_14default_configENS1_25partition_config_selectorILNS1_17partition_subalgoE5ElNS0_10empty_typeEbEEZZNS1_14partition_implILS5_5ELb0ES3_mN6hipcub16HIPCUB_304000_NS21CountingInputIteratorIllEEPS6_NSA_22TransformInputIteratorIb7NonZeroIiEPilEENS0_5tupleIJPlS6_EEENSJ_IJSD_SD_EEES6_SK_JS6_EEE10hipError_tPvRmT3_T4_T5_T6_T7_T9_mT8_P12ihipStream_tbDpT10_ENKUlT_T0_E_clISt17integral_constantIbLb1EES15_IbLb0EEEEDaS11_S12_EUlS11_E_NS1_11comp_targetILNS1_3genE10ELNS1_11target_archE1200ELNS1_3gpuE4ELNS1_3repE0EEENS1_30default_config_static_selectorELNS0_4arch9wavefront6targetE0EEEvT1_,@function
_ZN7rocprim17ROCPRIM_400000_NS6detail17trampoline_kernelINS0_14default_configENS1_25partition_config_selectorILNS1_17partition_subalgoE5ElNS0_10empty_typeEbEEZZNS1_14partition_implILS5_5ELb0ES3_mN6hipcub16HIPCUB_304000_NS21CountingInputIteratorIllEEPS6_NSA_22TransformInputIteratorIb7NonZeroIiEPilEENS0_5tupleIJPlS6_EEENSJ_IJSD_SD_EEES6_SK_JS6_EEE10hipError_tPvRmT3_T4_T5_T6_T7_T9_mT8_P12ihipStream_tbDpT10_ENKUlT_T0_E_clISt17integral_constantIbLb1EES15_IbLb0EEEEDaS11_S12_EUlS11_E_NS1_11comp_targetILNS1_3genE10ELNS1_11target_archE1200ELNS1_3gpuE4ELNS1_3repE0EEENS1_30default_config_static_selectorELNS0_4arch9wavefront6targetE0EEEvT1_: ; @_ZN7rocprim17ROCPRIM_400000_NS6detail17trampoline_kernelINS0_14default_configENS1_25partition_config_selectorILNS1_17partition_subalgoE5ElNS0_10empty_typeEbEEZZNS1_14partition_implILS5_5ELb0ES3_mN6hipcub16HIPCUB_304000_NS21CountingInputIteratorIllEEPS6_NSA_22TransformInputIteratorIb7NonZeroIiEPilEENS0_5tupleIJPlS6_EEENSJ_IJSD_SD_EEES6_SK_JS6_EEE10hipError_tPvRmT3_T4_T5_T6_T7_T9_mT8_P12ihipStream_tbDpT10_ENKUlT_T0_E_clISt17integral_constantIbLb1EES15_IbLb0EEEEDaS11_S12_EUlS11_E_NS1_11comp_targetILNS1_3genE10ELNS1_11target_archE1200ELNS1_3gpuE4ELNS1_3repE0EEENS1_30default_config_static_selectorELNS0_4arch9wavefront6targetE0EEEvT1_
; %bb.0:
	.section	.rodata,"a",@progbits
	.p2align	6, 0x0
	.amdhsa_kernel _ZN7rocprim17ROCPRIM_400000_NS6detail17trampoline_kernelINS0_14default_configENS1_25partition_config_selectorILNS1_17partition_subalgoE5ElNS0_10empty_typeEbEEZZNS1_14partition_implILS5_5ELb0ES3_mN6hipcub16HIPCUB_304000_NS21CountingInputIteratorIllEEPS6_NSA_22TransformInputIteratorIb7NonZeroIiEPilEENS0_5tupleIJPlS6_EEENSJ_IJSD_SD_EEES6_SK_JS6_EEE10hipError_tPvRmT3_T4_T5_T6_T7_T9_mT8_P12ihipStream_tbDpT10_ENKUlT_T0_E_clISt17integral_constantIbLb1EES15_IbLb0EEEEDaS11_S12_EUlS11_E_NS1_11comp_targetILNS1_3genE10ELNS1_11target_archE1200ELNS1_3gpuE4ELNS1_3repE0EEENS1_30default_config_static_selectorELNS0_4arch9wavefront6targetE0EEEvT1_
		.amdhsa_group_segment_fixed_size 0
		.amdhsa_private_segment_fixed_size 0
		.amdhsa_kernarg_size 120
		.amdhsa_user_sgpr_count 15
		.amdhsa_user_sgpr_dispatch_ptr 0
		.amdhsa_user_sgpr_queue_ptr 0
		.amdhsa_user_sgpr_kernarg_segment_ptr 1
		.amdhsa_user_sgpr_dispatch_id 0
		.amdhsa_user_sgpr_private_segment_size 0
		.amdhsa_wavefront_size32 1
		.amdhsa_uses_dynamic_stack 0
		.amdhsa_enable_private_segment 0
		.amdhsa_system_sgpr_workgroup_id_x 1
		.amdhsa_system_sgpr_workgroup_id_y 0
		.amdhsa_system_sgpr_workgroup_id_z 0
		.amdhsa_system_sgpr_workgroup_info 0
		.amdhsa_system_vgpr_workitem_id 0
		.amdhsa_next_free_vgpr 1
		.amdhsa_next_free_sgpr 1
		.amdhsa_reserve_vcc 0
		.amdhsa_float_round_mode_32 0
		.amdhsa_float_round_mode_16_64 0
		.amdhsa_float_denorm_mode_32 3
		.amdhsa_float_denorm_mode_16_64 3
		.amdhsa_dx10_clamp 1
		.amdhsa_ieee_mode 1
		.amdhsa_fp16_overflow 0
		.amdhsa_workgroup_processor_mode 1
		.amdhsa_memory_ordered 1
		.amdhsa_forward_progress 0
		.amdhsa_shared_vgpr_count 0
		.amdhsa_exception_fp_ieee_invalid_op 0
		.amdhsa_exception_fp_denorm_src 0
		.amdhsa_exception_fp_ieee_div_zero 0
		.amdhsa_exception_fp_ieee_overflow 0
		.amdhsa_exception_fp_ieee_underflow 0
		.amdhsa_exception_fp_ieee_inexact 0
		.amdhsa_exception_int_div_zero 0
	.end_amdhsa_kernel
	.section	.text._ZN7rocprim17ROCPRIM_400000_NS6detail17trampoline_kernelINS0_14default_configENS1_25partition_config_selectorILNS1_17partition_subalgoE5ElNS0_10empty_typeEbEEZZNS1_14partition_implILS5_5ELb0ES3_mN6hipcub16HIPCUB_304000_NS21CountingInputIteratorIllEEPS6_NSA_22TransformInputIteratorIb7NonZeroIiEPilEENS0_5tupleIJPlS6_EEENSJ_IJSD_SD_EEES6_SK_JS6_EEE10hipError_tPvRmT3_T4_T5_T6_T7_T9_mT8_P12ihipStream_tbDpT10_ENKUlT_T0_E_clISt17integral_constantIbLb1EES15_IbLb0EEEEDaS11_S12_EUlS11_E_NS1_11comp_targetILNS1_3genE10ELNS1_11target_archE1200ELNS1_3gpuE4ELNS1_3repE0EEENS1_30default_config_static_selectorELNS0_4arch9wavefront6targetE0EEEvT1_,"axG",@progbits,_ZN7rocprim17ROCPRIM_400000_NS6detail17trampoline_kernelINS0_14default_configENS1_25partition_config_selectorILNS1_17partition_subalgoE5ElNS0_10empty_typeEbEEZZNS1_14partition_implILS5_5ELb0ES3_mN6hipcub16HIPCUB_304000_NS21CountingInputIteratorIllEEPS6_NSA_22TransformInputIteratorIb7NonZeroIiEPilEENS0_5tupleIJPlS6_EEENSJ_IJSD_SD_EEES6_SK_JS6_EEE10hipError_tPvRmT3_T4_T5_T6_T7_T9_mT8_P12ihipStream_tbDpT10_ENKUlT_T0_E_clISt17integral_constantIbLb1EES15_IbLb0EEEEDaS11_S12_EUlS11_E_NS1_11comp_targetILNS1_3genE10ELNS1_11target_archE1200ELNS1_3gpuE4ELNS1_3repE0EEENS1_30default_config_static_selectorELNS0_4arch9wavefront6targetE0EEEvT1_,comdat
.Lfunc_end206:
	.size	_ZN7rocprim17ROCPRIM_400000_NS6detail17trampoline_kernelINS0_14default_configENS1_25partition_config_selectorILNS1_17partition_subalgoE5ElNS0_10empty_typeEbEEZZNS1_14partition_implILS5_5ELb0ES3_mN6hipcub16HIPCUB_304000_NS21CountingInputIteratorIllEEPS6_NSA_22TransformInputIteratorIb7NonZeroIiEPilEENS0_5tupleIJPlS6_EEENSJ_IJSD_SD_EEES6_SK_JS6_EEE10hipError_tPvRmT3_T4_T5_T6_T7_T9_mT8_P12ihipStream_tbDpT10_ENKUlT_T0_E_clISt17integral_constantIbLb1EES15_IbLb0EEEEDaS11_S12_EUlS11_E_NS1_11comp_targetILNS1_3genE10ELNS1_11target_archE1200ELNS1_3gpuE4ELNS1_3repE0EEENS1_30default_config_static_selectorELNS0_4arch9wavefront6targetE0EEEvT1_, .Lfunc_end206-_ZN7rocprim17ROCPRIM_400000_NS6detail17trampoline_kernelINS0_14default_configENS1_25partition_config_selectorILNS1_17partition_subalgoE5ElNS0_10empty_typeEbEEZZNS1_14partition_implILS5_5ELb0ES3_mN6hipcub16HIPCUB_304000_NS21CountingInputIteratorIllEEPS6_NSA_22TransformInputIteratorIb7NonZeroIiEPilEENS0_5tupleIJPlS6_EEENSJ_IJSD_SD_EEES6_SK_JS6_EEE10hipError_tPvRmT3_T4_T5_T6_T7_T9_mT8_P12ihipStream_tbDpT10_ENKUlT_T0_E_clISt17integral_constantIbLb1EES15_IbLb0EEEEDaS11_S12_EUlS11_E_NS1_11comp_targetILNS1_3genE10ELNS1_11target_archE1200ELNS1_3gpuE4ELNS1_3repE0EEENS1_30default_config_static_selectorELNS0_4arch9wavefront6targetE0EEEvT1_
                                        ; -- End function
	.section	.AMDGPU.csdata,"",@progbits
; Kernel info:
; codeLenInByte = 0
; NumSgprs: 0
; NumVgprs: 0
; ScratchSize: 0
; MemoryBound: 0
; FloatMode: 240
; IeeeMode: 1
; LDSByteSize: 0 bytes/workgroup (compile time only)
; SGPRBlocks: 0
; VGPRBlocks: 0
; NumSGPRsForWavesPerEU: 1
; NumVGPRsForWavesPerEU: 1
; Occupancy: 16
; WaveLimiterHint : 0
; COMPUTE_PGM_RSRC2:SCRATCH_EN: 0
; COMPUTE_PGM_RSRC2:USER_SGPR: 15
; COMPUTE_PGM_RSRC2:TRAP_HANDLER: 0
; COMPUTE_PGM_RSRC2:TGID_X_EN: 1
; COMPUTE_PGM_RSRC2:TGID_Y_EN: 0
; COMPUTE_PGM_RSRC2:TGID_Z_EN: 0
; COMPUTE_PGM_RSRC2:TIDIG_COMP_CNT: 0
	.section	.text._ZN7rocprim17ROCPRIM_400000_NS6detail17trampoline_kernelINS0_14default_configENS1_25partition_config_selectorILNS1_17partition_subalgoE5ElNS0_10empty_typeEbEEZZNS1_14partition_implILS5_5ELb0ES3_mN6hipcub16HIPCUB_304000_NS21CountingInputIteratorIllEEPS6_NSA_22TransformInputIteratorIb7NonZeroIiEPilEENS0_5tupleIJPlS6_EEENSJ_IJSD_SD_EEES6_SK_JS6_EEE10hipError_tPvRmT3_T4_T5_T6_T7_T9_mT8_P12ihipStream_tbDpT10_ENKUlT_T0_E_clISt17integral_constantIbLb1EES15_IbLb0EEEEDaS11_S12_EUlS11_E_NS1_11comp_targetILNS1_3genE9ELNS1_11target_archE1100ELNS1_3gpuE3ELNS1_3repE0EEENS1_30default_config_static_selectorELNS0_4arch9wavefront6targetE0EEEvT1_,"axG",@progbits,_ZN7rocprim17ROCPRIM_400000_NS6detail17trampoline_kernelINS0_14default_configENS1_25partition_config_selectorILNS1_17partition_subalgoE5ElNS0_10empty_typeEbEEZZNS1_14partition_implILS5_5ELb0ES3_mN6hipcub16HIPCUB_304000_NS21CountingInputIteratorIllEEPS6_NSA_22TransformInputIteratorIb7NonZeroIiEPilEENS0_5tupleIJPlS6_EEENSJ_IJSD_SD_EEES6_SK_JS6_EEE10hipError_tPvRmT3_T4_T5_T6_T7_T9_mT8_P12ihipStream_tbDpT10_ENKUlT_T0_E_clISt17integral_constantIbLb1EES15_IbLb0EEEEDaS11_S12_EUlS11_E_NS1_11comp_targetILNS1_3genE9ELNS1_11target_archE1100ELNS1_3gpuE3ELNS1_3repE0EEENS1_30default_config_static_selectorELNS0_4arch9wavefront6targetE0EEEvT1_,comdat
	.protected	_ZN7rocprim17ROCPRIM_400000_NS6detail17trampoline_kernelINS0_14default_configENS1_25partition_config_selectorILNS1_17partition_subalgoE5ElNS0_10empty_typeEbEEZZNS1_14partition_implILS5_5ELb0ES3_mN6hipcub16HIPCUB_304000_NS21CountingInputIteratorIllEEPS6_NSA_22TransformInputIteratorIb7NonZeroIiEPilEENS0_5tupleIJPlS6_EEENSJ_IJSD_SD_EEES6_SK_JS6_EEE10hipError_tPvRmT3_T4_T5_T6_T7_T9_mT8_P12ihipStream_tbDpT10_ENKUlT_T0_E_clISt17integral_constantIbLb1EES15_IbLb0EEEEDaS11_S12_EUlS11_E_NS1_11comp_targetILNS1_3genE9ELNS1_11target_archE1100ELNS1_3gpuE3ELNS1_3repE0EEENS1_30default_config_static_selectorELNS0_4arch9wavefront6targetE0EEEvT1_ ; -- Begin function _ZN7rocprim17ROCPRIM_400000_NS6detail17trampoline_kernelINS0_14default_configENS1_25partition_config_selectorILNS1_17partition_subalgoE5ElNS0_10empty_typeEbEEZZNS1_14partition_implILS5_5ELb0ES3_mN6hipcub16HIPCUB_304000_NS21CountingInputIteratorIllEEPS6_NSA_22TransformInputIteratorIb7NonZeroIiEPilEENS0_5tupleIJPlS6_EEENSJ_IJSD_SD_EEES6_SK_JS6_EEE10hipError_tPvRmT3_T4_T5_T6_T7_T9_mT8_P12ihipStream_tbDpT10_ENKUlT_T0_E_clISt17integral_constantIbLb1EES15_IbLb0EEEEDaS11_S12_EUlS11_E_NS1_11comp_targetILNS1_3genE9ELNS1_11target_archE1100ELNS1_3gpuE3ELNS1_3repE0EEENS1_30default_config_static_selectorELNS0_4arch9wavefront6targetE0EEEvT1_
	.globl	_ZN7rocprim17ROCPRIM_400000_NS6detail17trampoline_kernelINS0_14default_configENS1_25partition_config_selectorILNS1_17partition_subalgoE5ElNS0_10empty_typeEbEEZZNS1_14partition_implILS5_5ELb0ES3_mN6hipcub16HIPCUB_304000_NS21CountingInputIteratorIllEEPS6_NSA_22TransformInputIteratorIb7NonZeroIiEPilEENS0_5tupleIJPlS6_EEENSJ_IJSD_SD_EEES6_SK_JS6_EEE10hipError_tPvRmT3_T4_T5_T6_T7_T9_mT8_P12ihipStream_tbDpT10_ENKUlT_T0_E_clISt17integral_constantIbLb1EES15_IbLb0EEEEDaS11_S12_EUlS11_E_NS1_11comp_targetILNS1_3genE9ELNS1_11target_archE1100ELNS1_3gpuE3ELNS1_3repE0EEENS1_30default_config_static_selectorELNS0_4arch9wavefront6targetE0EEEvT1_
	.p2align	8
	.type	_ZN7rocprim17ROCPRIM_400000_NS6detail17trampoline_kernelINS0_14default_configENS1_25partition_config_selectorILNS1_17partition_subalgoE5ElNS0_10empty_typeEbEEZZNS1_14partition_implILS5_5ELb0ES3_mN6hipcub16HIPCUB_304000_NS21CountingInputIteratorIllEEPS6_NSA_22TransformInputIteratorIb7NonZeroIiEPilEENS0_5tupleIJPlS6_EEENSJ_IJSD_SD_EEES6_SK_JS6_EEE10hipError_tPvRmT3_T4_T5_T6_T7_T9_mT8_P12ihipStream_tbDpT10_ENKUlT_T0_E_clISt17integral_constantIbLb1EES15_IbLb0EEEEDaS11_S12_EUlS11_E_NS1_11comp_targetILNS1_3genE9ELNS1_11target_archE1100ELNS1_3gpuE3ELNS1_3repE0EEENS1_30default_config_static_selectorELNS0_4arch9wavefront6targetE0EEEvT1_,@function
_ZN7rocprim17ROCPRIM_400000_NS6detail17trampoline_kernelINS0_14default_configENS1_25partition_config_selectorILNS1_17partition_subalgoE5ElNS0_10empty_typeEbEEZZNS1_14partition_implILS5_5ELb0ES3_mN6hipcub16HIPCUB_304000_NS21CountingInputIteratorIllEEPS6_NSA_22TransformInputIteratorIb7NonZeroIiEPilEENS0_5tupleIJPlS6_EEENSJ_IJSD_SD_EEES6_SK_JS6_EEE10hipError_tPvRmT3_T4_T5_T6_T7_T9_mT8_P12ihipStream_tbDpT10_ENKUlT_T0_E_clISt17integral_constantIbLb1EES15_IbLb0EEEEDaS11_S12_EUlS11_E_NS1_11comp_targetILNS1_3genE9ELNS1_11target_archE1100ELNS1_3gpuE3ELNS1_3repE0EEENS1_30default_config_static_selectorELNS0_4arch9wavefront6targetE0EEEvT1_: ; @_ZN7rocprim17ROCPRIM_400000_NS6detail17trampoline_kernelINS0_14default_configENS1_25partition_config_selectorILNS1_17partition_subalgoE5ElNS0_10empty_typeEbEEZZNS1_14partition_implILS5_5ELb0ES3_mN6hipcub16HIPCUB_304000_NS21CountingInputIteratorIllEEPS6_NSA_22TransformInputIteratorIb7NonZeroIiEPilEENS0_5tupleIJPlS6_EEENSJ_IJSD_SD_EEES6_SK_JS6_EEE10hipError_tPvRmT3_T4_T5_T6_T7_T9_mT8_P12ihipStream_tbDpT10_ENKUlT_T0_E_clISt17integral_constantIbLb1EES15_IbLb0EEEEDaS11_S12_EUlS11_E_NS1_11comp_targetILNS1_3genE9ELNS1_11target_archE1100ELNS1_3gpuE3ELNS1_3repE0EEENS1_30default_config_static_selectorELNS0_4arch9wavefront6targetE0EEEvT1_
; %bb.0:
	s_clause 0x4
	s_load_b128 s[8:11], s[0:1], 0x8
	s_load_b128 s[4:7], s[0:1], 0x48
	s_load_b32 s14, s[0:1], 0x70
	s_load_b64 s[2:3], s[0:1], 0x58
	s_load_b64 s[12:13], s[0:1], 0x20
	s_waitcnt lgkmcnt(0)
	s_add_u32 s18, s10, s8
	s_load_b64 s[6:7], s[6:7], 0x0
	s_mul_i32 s17, s14, 0x300
	s_addc_u32 s19, s11, s9
	s_add_i32 s14, s14, -1
	s_add_u32 s8, s10, s17
	s_addc_u32 s9, s11, 0
	s_cmp_eq_u32 s15, s14
	v_cmp_ge_u64_e64 s3, s[8:9], s[2:3]
	s_cselect_b32 s14, -1, 0
	s_mul_i32 s8, s15, 0x300
	s_mov_b32 s9, 0
	s_delay_alu instid0(VALU_DEP_1) | instskip(NEXT) | instid1(SALU_CYCLE_1)
	s_and_b32 s3, s14, s3
	s_xor_b32 s16, s3, -1
	s_mov_b32 s3, -1
	s_and_b32 vcc_lo, exec_lo, s16
	s_cbranch_vccz .LBB207_2
; %bb.1:
	s_add_u32 s3, s18, s8
	s_addc_u32 s20, s19, 0
	v_add_co_u32 v1, s3, s3, v0
	s_delay_alu instid0(VALU_DEP_1) | instskip(SKIP_1) | instid1(VALU_DEP_3)
	v_add_co_ci_u32_e64 v2, null, s20, 0, s3
	v_lshlrev_b32_e32 v13, 3, v0
	v_add_co_u32 v3, vcc_lo, 0x80, v1
	s_delay_alu instid0(VALU_DEP_3)
	v_add_co_ci_u32_e32 v4, vcc_lo, 0, v2, vcc_lo
	v_add_co_u32 v5, vcc_lo, 0x100, v1
	v_add_co_ci_u32_e32 v6, vcc_lo, 0, v2, vcc_lo
	v_add_co_u32 v7, vcc_lo, 0x180, v1
	;; [unrolled: 2-line block ×4, first 2 shown]
	v_add_co_ci_u32_e32 v12, vcc_lo, 0, v2, vcc_lo
	ds_store_2addr_stride64_b64 v13, v[1:2], v[3:4] offset1:2
	ds_store_2addr_stride64_b64 v13, v[5:6], v[7:8] offset0:4 offset1:6
	ds_store_2addr_stride64_b64 v13, v[9:10], v[11:12] offset0:8 offset1:10
	s_waitcnt lgkmcnt(0)
	s_mov_b32 s3, s9
	s_barrier
.LBB207_2:
	v_or_b32_e32 v17, 0x100, v0
	v_or_b32_e32 v16, 0x180, v0
	;; [unrolled: 1-line block ×4, first 2 shown]
	s_and_not1_b32 vcc_lo, exec_lo, s3
	s_cbranch_vccnz .LBB207_4
; %bb.3:
	v_or_b32_e32 v3, 0x80, v0
	s_add_u32 s3, s18, s8
	s_addc_u32 s18, s19, 0
	v_add_co_u32 v1, s19, s3, v0
	s_delay_alu instid0(VALU_DEP_1) | instskip(SKIP_1) | instid1(VALU_DEP_1)
	v_add_co_ci_u32_e64 v2, null, s18, 0, s19
	v_add_co_u32 v3, s19, s3, v3
	v_add_co_ci_u32_e64 v4, null, s18, 0, s19
	v_add_co_u32 v5, s19, s3, v17
	s_delay_alu instid0(VALU_DEP_1) | instskip(SKIP_1) | instid1(VALU_DEP_1)
	v_add_co_ci_u32_e64 v6, null, s18, 0, s19
	v_add_co_u32 v7, s19, s3, v16
	v_add_co_ci_u32_e64 v8, null, s18, 0, s19
	v_add_co_u32 v9, s19, s3, v14
	v_lshlrev_b32_e32 v15, 3, v0
	v_add_co_u32 v11, s3, s3, v13
	v_add_co_ci_u32_e64 v10, null, s18, 0, s19
	v_add_co_ci_u32_e64 v12, null, s18, 0, s3
	ds_store_2addr_stride64_b64 v15, v[1:2], v[3:4] offset1:2
	ds_store_2addr_stride64_b64 v15, v[5:6], v[7:8] offset0:4 offset1:6
	ds_store_2addr_stride64_b64 v15, v[9:10], v[11:12] offset0:8 offset1:10
	s_waitcnt lgkmcnt(0)
	s_barrier
.LBB207_4:
	v_mul_u32_u24_e32 v1, 6, v0
	s_waitcnt lgkmcnt(0)
	buffer_gl0_inv
	s_lshl_b64 s[18:19], s[10:11], 2
	s_delay_alu instid0(SALU_CYCLE_1)
	s_add_u32 s3, s12, s18
	v_lshlrev_b32_e32 v15, 3, v1
	s_addc_u32 s11, s13, s19
	s_lshl_b64 s[8:9], s[8:9], 2
	ds_load_b128 v[9:12], v15
	ds_load_b128 v[5:8], v15 offset:16
	ds_load_b128 v[1:4], v15 offset:32
	s_add_u32 s12, s3, s8
	s_addc_u32 s13, s11, s9
	s_and_b32 vcc_lo, exec_lo, s16
	s_mov_b32 s3, -1
	s_waitcnt lgkmcnt(0)
	s_barrier
	buffer_gl0_inv
	s_cbranch_vccz .LBB207_6
; %bb.5:
	v_lshlrev_b32_e32 v18, 2, v0
	s_mov_b32 s3, 0
	s_clause 0x5
	global_load_b32 v19, v18, s[12:13]
	global_load_b32 v20, v18, s[12:13] offset:512
	global_load_b32 v21, v18, s[12:13] offset:1024
	;; [unrolled: 1-line block ×5, first 2 shown]
	s_waitcnt vmcnt(5)
	v_cmp_ne_u32_e32 vcc_lo, 0, v19
	v_cndmask_b32_e64 v19, 0, 1, vcc_lo
	s_waitcnt vmcnt(4)
	v_cmp_ne_u32_e32 vcc_lo, 0, v20
	v_cndmask_b32_e64 v20, 0, 1, vcc_lo
	;; [unrolled: 3-line block ×6, first 2 shown]
	ds_store_b8 v0, v19
	ds_store_b8 v0, v20 offset:128
	ds_store_b8 v0, v21 offset:256
	;; [unrolled: 1-line block ×5, first 2 shown]
	s_waitcnt lgkmcnt(0)
	s_barrier
.LBB207_6:
	s_load_b64 s[8:9], s[0:1], 0x68
	s_and_not1_b32 vcc_lo, exec_lo, s3
	s_cbranch_vccnz .LBB207_20
; %bb.7:
	s_add_i32 s17, s17, s10
	v_dual_mov_b32 v18, 0 :: v_dual_mov_b32 v19, 0
	s_sub_i32 s2, s2, s17
	s_mov_b32 s3, exec_lo
	s_addk_i32 s2, 0x300
	s_delay_alu instid0(SALU_CYCLE_1)
	v_cmpx_gt_u32_e64 s2, v0
	s_cbranch_execz .LBB207_9
; %bb.8:
	v_lshlrev_b32_e32 v19, 2, v0
	global_load_b32 v19, v19, s[12:13]
	s_waitcnt vmcnt(0)
	v_cmp_ne_u32_e32 vcc_lo, 0, v19
	v_cndmask_b32_e64 v19, 0, 1, vcc_lo
.LBB207_9:
	s_or_b32 exec_lo, exec_lo, s3
	v_or_b32_e32 v20, 0x80, v0
	s_mov_b32 s3, exec_lo
	s_delay_alu instid0(VALU_DEP_1)
	v_cmpx_gt_u32_e64 s2, v20
	s_cbranch_execz .LBB207_11
; %bb.10:
	v_lshlrev_b32_e32 v18, 2, v0
	global_load_b32 v18, v18, s[12:13] offset:512
	s_waitcnt vmcnt(0)
	v_cmp_ne_u32_e32 vcc_lo, 0, v18
	v_cndmask_b32_e64 v18, 0, 1, vcc_lo
.LBB207_11:
	s_or_b32 exec_lo, exec_lo, s3
	v_cmp_gt_u32_e32 vcc_lo, s2, v17
	v_dual_mov_b32 v17, 0 :: v_dual_mov_b32 v20, 0
	s_and_saveexec_b32 s3, vcc_lo
	s_cbranch_execz .LBB207_13
; %bb.12:
	v_lshlrev_b32_e32 v20, 2, v0
	global_load_b32 v20, v20, s[12:13] offset:1024
	s_waitcnt vmcnt(0)
	v_cmp_ne_u32_e32 vcc_lo, 0, v20
	v_cndmask_b32_e64 v20, 0, 1, vcc_lo
.LBB207_13:
	s_or_b32 exec_lo, exec_lo, s3
	s_delay_alu instid0(SALU_CYCLE_1)
	s_mov_b32 s3, exec_lo
	v_cmpx_gt_u32_e64 s2, v16
	s_cbranch_execz .LBB207_15
; %bb.14:
	v_lshlrev_b32_e32 v16, 2, v0
	global_load_b32 v16, v16, s[12:13] offset:1536
	s_waitcnt vmcnt(0)
	v_cmp_ne_u32_e32 vcc_lo, 0, v16
	v_cndmask_b32_e64 v17, 0, 1, vcc_lo
.LBB207_15:
	s_or_b32 exec_lo, exec_lo, s3
	v_cmp_gt_u32_e32 vcc_lo, s2, v14
	v_mov_b32_e32 v14, 0
	v_mov_b32_e32 v16, 0
	s_and_saveexec_b32 s3, vcc_lo
	s_cbranch_execz .LBB207_17
; %bb.16:
	v_lshlrev_b32_e32 v16, 2, v0
	global_load_b32 v16, v16, s[12:13] offset:2048
	s_waitcnt vmcnt(0)
	v_cmp_ne_u32_e32 vcc_lo, 0, v16
	v_cndmask_b32_e64 v16, 0, 1, vcc_lo
.LBB207_17:
	s_or_b32 exec_lo, exec_lo, s3
	v_cmp_gt_u32_e32 vcc_lo, s2, v13
	s_and_saveexec_b32 s2, vcc_lo
	s_cbranch_execz .LBB207_19
; %bb.18:
	v_lshlrev_b32_e32 v13, 2, v0
	global_load_b32 v13, v13, s[12:13] offset:2560
	s_waitcnt vmcnt(0)
	v_cmp_ne_u32_e32 vcc_lo, 0, v13
	v_cndmask_b32_e64 v14, 0, 1, vcc_lo
.LBB207_19:
	s_or_b32 exec_lo, exec_lo, s2
	ds_store_b8 v0, v19
	ds_store_b8 v0, v18 offset:128
	ds_store_b8 v0, v20 offset:256
	;; [unrolled: 1-line block ×5, first 2 shown]
	s_waitcnt lgkmcnt(0)
	s_barrier
.LBB207_20:
	v_mad_i32_i24 v43, 0xffffffd6, v0, v15
	s_waitcnt lgkmcnt(0)
	buffer_gl0_inv
	v_mbcnt_lo_u32_b32 v42, -1, 0
	s_cmp_lg_u32 s15, 0
	s_mov_b32 s3, -1
	ds_load_u16 v36, v43
	ds_load_u16 v33, v43 offset:2
	ds_load_u16 v31, v43 offset:4
	v_mov_b32_e32 v14, 0
	v_and_b32_e32 v44, 15, v42
	s_waitcnt lgkmcnt(0)
	s_barrier
	buffer_gl0_inv
	v_and_b32_e32 v41, 0xff, v36
	v_lshrrev_b16 v34, 8, v36
	v_lshrrev_b16 v35, 8, v33
	v_and_b32_e32 v39, 0xff, v33
	v_lshrrev_b16 v32, 8, v31
	v_and_b32_e32 v37, 0xff, v31
	v_and_b32_e32 v40, 0xffff, v34
	;; [unrolled: 1-line block ×3, first 2 shown]
	s_delay_alu instid0(VALU_DEP_4) | instskip(NEXT) | instid1(VALU_DEP_3)
	v_and_b32_e32 v16, 0xffff, v32
	v_add_co_u32 v13, s2, v40, v41
	s_delay_alu instid0(VALU_DEP_1) | instskip(SKIP_1) | instid1(VALU_DEP_3)
	v_add_co_ci_u32_e64 v15, null, 0, 0, s2
	v_cmp_ne_u32_e64 s2, 0, v44
	v_add_co_u32 v13, vcc_lo, v13, v39
	s_delay_alu instid0(VALU_DEP_3) | instskip(NEXT) | instid1(VALU_DEP_2)
	v_add_co_ci_u32_e32 v15, vcc_lo, 0, v15, vcc_lo
	v_add_co_u32 v13, vcc_lo, v13, v38
	s_delay_alu instid0(VALU_DEP_2) | instskip(NEXT) | instid1(VALU_DEP_2)
	v_add_co_ci_u32_e32 v15, vcc_lo, 0, v15, vcc_lo
	v_add_co_u32 v13, vcc_lo, v13, v37
	s_delay_alu instid0(VALU_DEP_2) | instskip(NEXT) | instid1(VALU_DEP_2)
	v_add_co_ci_u32_e32 v15, vcc_lo, 0, v15, vcc_lo
	v_add_co_u32 v21, vcc_lo, v13, v16
	s_delay_alu instid0(VALU_DEP_2)
	v_add_co_ci_u32_e32 v22, vcc_lo, 0, v15, vcc_lo
	s_cbranch_scc0 .LBB207_89
; %bb.21:
	s_delay_alu instid0(VALU_DEP_2)
	v_mov_b32_e32 v15, v21
	v_mov_b32_dpp v13, v21 row_shr:1 row_mask:0xf bank_mask:0xf
	v_mov_b32_dpp v18, v14 row_shr:1 row_mask:0xf bank_mask:0xf
	v_dual_mov_b32 v17, v21 :: v_dual_mov_b32 v16, v22
	s_and_saveexec_b32 s3, s2
; %bb.22:
	s_delay_alu instid0(VALU_DEP_3) | instskip(SKIP_1) | instid1(VALU_DEP_2)
	v_add_co_u32 v17, vcc_lo, v21, v13
	v_add_co_ci_u32_e32 v14, vcc_lo, 0, v22, vcc_lo
	v_add_co_u32 v13, vcc_lo, 0, v17
	s_delay_alu instid0(VALU_DEP_2) | instskip(NEXT) | instid1(VALU_DEP_1)
	v_add_co_ci_u32_e32 v14, vcc_lo, v18, v14, vcc_lo
	v_dual_mov_b32 v16, v14 :: v_dual_mov_b32 v15, v13
; %bb.23:
	s_or_b32 exec_lo, exec_lo, s3
	v_mov_b32_dpp v13, v17 row_shr:2 row_mask:0xf bank_mask:0xf
	v_mov_b32_dpp v18, v14 row_shr:2 row_mask:0xf bank_mask:0xf
	s_mov_b32 s3, exec_lo
	v_cmpx_lt_u32_e32 1, v44
; %bb.24:
	s_delay_alu instid0(VALU_DEP_3) | instskip(SKIP_1) | instid1(VALU_DEP_2)
	v_add_co_u32 v17, vcc_lo, v15, v13
	v_add_co_ci_u32_e32 v14, vcc_lo, 0, v16, vcc_lo
	v_add_co_u32 v13, vcc_lo, 0, v17
	s_delay_alu instid0(VALU_DEP_2) | instskip(NEXT) | instid1(VALU_DEP_1)
	v_add_co_ci_u32_e32 v14, vcc_lo, v18, v14, vcc_lo
	v_dual_mov_b32 v16, v14 :: v_dual_mov_b32 v15, v13
; %bb.25:
	s_or_b32 exec_lo, exec_lo, s3
	v_mov_b32_dpp v13, v17 row_shr:4 row_mask:0xf bank_mask:0xf
	v_mov_b32_dpp v18, v14 row_shr:4 row_mask:0xf bank_mask:0xf
	s_mov_b32 s3, exec_lo
	v_cmpx_lt_u32_e32 3, v44
; %bb.26:
	s_delay_alu instid0(VALU_DEP_3) | instskip(SKIP_1) | instid1(VALU_DEP_2)
	v_add_co_u32 v17, vcc_lo, v15, v13
	v_add_co_ci_u32_e32 v14, vcc_lo, 0, v16, vcc_lo
	v_add_co_u32 v13, vcc_lo, 0, v17
	s_delay_alu instid0(VALU_DEP_2) | instskip(NEXT) | instid1(VALU_DEP_1)
	v_add_co_ci_u32_e32 v14, vcc_lo, v18, v14, vcc_lo
	v_dual_mov_b32 v16, v14 :: v_dual_mov_b32 v15, v13
; %bb.27:
	s_or_b32 exec_lo, exec_lo, s3
	v_mov_b32_dpp v18, v17 row_shr:8 row_mask:0xf bank_mask:0xf
	v_mov_b32_dpp v13, v14 row_shr:8 row_mask:0xf bank_mask:0xf
	s_mov_b32 s3, exec_lo
	v_cmpx_lt_u32_e32 7, v44
; %bb.28:
	s_delay_alu instid0(VALU_DEP_3) | instskip(SKIP_1) | instid1(VALU_DEP_2)
	v_add_co_u32 v17, vcc_lo, v15, v18
	v_add_co_ci_u32_e32 v14, vcc_lo, 0, v16, vcc_lo
	v_add_co_u32 v15, vcc_lo, 0, v17
	s_delay_alu instid0(VALU_DEP_2) | instskip(NEXT) | instid1(VALU_DEP_1)
	v_add_co_ci_u32_e32 v16, vcc_lo, v13, v14, vcc_lo
	v_mov_b32_e32 v14, v16
; %bb.29:
	s_or_b32 exec_lo, exec_lo, s3
	ds_swizzle_b32 v13, v17 offset:swizzle(BROADCAST,32,15)
	ds_swizzle_b32 v18, v14 offset:swizzle(BROADCAST,32,15)
	v_and_b32_e32 v19, 16, v42
	s_mov_b32 s3, exec_lo
	s_delay_alu instid0(VALU_DEP_1)
	v_cmpx_ne_u32_e32 0, v19
	s_cbranch_execz .LBB207_31
; %bb.30:
	s_waitcnt lgkmcnt(1)
	v_add_co_u32 v17, vcc_lo, v15, v13
	v_add_co_ci_u32_e32 v14, vcc_lo, 0, v16, vcc_lo
	s_delay_alu instid0(VALU_DEP_2) | instskip(SKIP_1) | instid1(VALU_DEP_2)
	v_add_co_u32 v13, vcc_lo, 0, v17
	s_waitcnt lgkmcnt(0)
	v_add_co_ci_u32_e32 v14, vcc_lo, v18, v14, vcc_lo
	s_delay_alu instid0(VALU_DEP_1)
	v_dual_mov_b32 v16, v14 :: v_dual_mov_b32 v15, v13
.LBB207_31:
	s_or_b32 exec_lo, exec_lo, s3
	s_waitcnt lgkmcnt(0)
	v_or_b32_e32 v18, 31, v0
	v_lshrrev_b32_e32 v13, 5, v0
	s_mov_b32 s3, exec_lo
	s_delay_alu instid0(VALU_DEP_2)
	v_cmpx_eq_u32_e64 v18, v0
	s_cbranch_execz .LBB207_33
; %bb.32:
	s_delay_alu instid0(VALU_DEP_2)
	v_lshlrev_b32_e32 v18, 3, v13
	ds_store_b64 v18, v[15:16]
.LBB207_33:
	s_or_b32 exec_lo, exec_lo, s3
	s_delay_alu instid0(SALU_CYCLE_1)
	s_mov_b32 s3, exec_lo
	s_waitcnt lgkmcnt(0)
	s_barrier
	buffer_gl0_inv
	v_cmpx_gt_u32_e32 4, v0
	s_cbranch_execz .LBB207_39
; %bb.34:
	v_lshlrev_b32_e32 v18, 3, v0
	s_mov_b32 s10, exec_lo
	ds_load_b64 v[15:16], v18
	s_waitcnt lgkmcnt(0)
	v_dual_mov_b32 v20, v15 :: v_dual_and_b32 v19, 3, v42
	v_mov_b32_dpp v24, v15 row_shr:1 row_mask:0xf bank_mask:0xf
	v_mov_b32_dpp v23, v16 row_shr:1 row_mask:0xf bank_mask:0xf
	s_delay_alu instid0(VALU_DEP_3)
	v_cmpx_ne_u32_e32 0, v19
; %bb.35:
	s_delay_alu instid0(VALU_DEP_3) | instskip(SKIP_1) | instid1(VALU_DEP_2)
	v_add_co_u32 v20, vcc_lo, v15, v24
	v_add_co_ci_u32_e32 v16, vcc_lo, 0, v16, vcc_lo
	v_add_co_u32 v15, vcc_lo, 0, v20
	s_delay_alu instid0(VALU_DEP_2)
	v_add_co_ci_u32_e32 v16, vcc_lo, v23, v16, vcc_lo
; %bb.36:
	s_or_b32 exec_lo, exec_lo, s10
	v_mov_b32_dpp v23, v20 row_shr:2 row_mask:0xf bank_mask:0xf
	s_delay_alu instid0(VALU_DEP_2)
	v_mov_b32_dpp v20, v16 row_shr:2 row_mask:0xf bank_mask:0xf
	s_mov_b32 s10, exec_lo
	v_cmpx_lt_u32_e32 1, v19
; %bb.37:
	s_delay_alu instid0(VALU_DEP_3) | instskip(SKIP_1) | instid1(VALU_DEP_2)
	v_add_co_u32 v15, vcc_lo, v15, v23
	v_add_co_ci_u32_e32 v16, vcc_lo, 0, v16, vcc_lo
	v_add_co_u32 v15, vcc_lo, v15, 0
	s_delay_alu instid0(VALU_DEP_2)
	v_add_co_ci_u32_e32 v16, vcc_lo, v16, v20, vcc_lo
; %bb.38:
	s_or_b32 exec_lo, exec_lo, s10
	ds_store_b64 v18, v[15:16]
.LBB207_39:
	s_or_b32 exec_lo, exec_lo, s3
	v_cmp_gt_u32_e32 vcc_lo, 32, v0
	s_mov_b32 s10, exec_lo
	s_waitcnt lgkmcnt(0)
	s_barrier
	buffer_gl0_inv
                                        ; implicit-def: $vgpr23_vgpr24
	v_cmpx_lt_u32_e32 31, v0
	s_cbranch_execz .LBB207_41
; %bb.40:
	v_lshl_add_u32 v13, v13, 3, -8
	ds_load_b64 v[23:24], v13
	s_waitcnt lgkmcnt(0)
	v_add_co_u32 v17, s3, v17, v23
	s_delay_alu instid0(VALU_DEP_1)
	v_add_co_ci_u32_e64 v14, s3, v14, v24, s3
.LBB207_41:
	s_or_b32 exec_lo, exec_lo, s10
	v_add_nc_u32_e32 v13, -1, v42
	s_delay_alu instid0(VALU_DEP_1) | instskip(NEXT) | instid1(VALU_DEP_1)
	v_cmp_gt_i32_e64 s3, 0, v13
	v_cndmask_b32_e64 v13, v13, v42, s3
	v_cmp_eq_u32_e64 s3, 0, v42
	s_delay_alu instid0(VALU_DEP_2)
	v_lshlrev_b32_e32 v13, 2, v13
	ds_bpermute_b32 v29, v13, v17
	ds_bpermute_b32 v30, v13, v14
	s_and_saveexec_b32 s10, vcc_lo
	s_cbranch_execz .LBB207_84
; %bb.42:
	v_mov_b32_e32 v16, 0
	ds_load_b64 v[13:14], v16 offset:24
	s_and_saveexec_b32 s11, s3
	s_cbranch_execz .LBB207_44
; %bb.43:
	s_add_i32 s12, s15, 32
	s_mov_b32 s13, 0
	s_delay_alu instid0(SALU_CYCLE_1) | instskip(NEXT) | instid1(SALU_CYCLE_1)
	s_lshl_b64 s[12:13], s[12:13], 4
	s_add_u32 s12, s8, s12
	s_addc_u32 s13, s9, s13
	s_delay_alu instid0(SALU_CYCLE_1)
	v_dual_mov_b32 v15, 1 :: v_dual_mov_b32 v18, s13
	v_mov_b32_e32 v17, s12
	s_waitcnt lgkmcnt(0)
	;;#ASMSTART
	global_store_dwordx4 v[17:18], v[13:16] off	
s_waitcnt vmcnt(0)
	;;#ASMEND
.LBB207_44:
	s_or_b32 exec_lo, exec_lo, s11
	v_xad_u32 v25, v42, -1, s15
	s_mov_b32 s12, 0
	s_mov_b32 s11, exec_lo
	s_delay_alu instid0(VALU_DEP_1) | instskip(NEXT) | instid1(VALU_DEP_1)
	v_add_nc_u32_e32 v15, 32, v25
	v_lshlrev_b64 v[15:16], 4, v[15:16]
	s_delay_alu instid0(VALU_DEP_1) | instskip(NEXT) | instid1(VALU_DEP_2)
	v_add_co_u32 v15, vcc_lo, s8, v15
	v_add_co_ci_u32_e32 v16, vcc_lo, s9, v16, vcc_lo
	;;#ASMSTART
	global_load_dwordx4 v[17:20], v[15:16] off glc	
s_waitcnt vmcnt(0)
	;;#ASMEND
	v_and_b32_e32 v20, 0xff, v18
	v_and_b32_e32 v26, 0xff00, v18
	;; [unrolled: 1-line block ×3, first 2 shown]
	v_or3_b32 v17, v17, 0, 0
	v_and_b32_e32 v18, 0xff000000, v18
	s_delay_alu instid0(VALU_DEP_4) | instskip(SKIP_1) | instid1(VALU_DEP_4)
	v_or3_b32 v20, 0, v20, v26
	v_and_b32_e32 v26, 0xff, v19
	v_or3_b32 v17, v17, 0, 0
	s_delay_alu instid0(VALU_DEP_3) | instskip(NEXT) | instid1(VALU_DEP_3)
	v_or3_b32 v18, v20, v27, v18
	v_cmpx_eq_u16_e32 0, v26
	s_cbranch_execz .LBB207_50
; %bb.45:
	s_mov_b32 s13, 1
	.p2align	6
.LBB207_46:                             ; =>This Loop Header: Depth=1
                                        ;     Child Loop BB207_47 Depth 2
	s_delay_alu instid0(SALU_CYCLE_1)
	s_max_u32 s17, s13, 1
.LBB207_47:                             ;   Parent Loop BB207_46 Depth=1
                                        ; =>  This Inner Loop Header: Depth=2
	s_delay_alu instid0(SALU_CYCLE_1)
	s_add_i32 s17, s17, -1
	s_sleep 1
	s_cmp_eq_u32 s17, 0
	s_cbranch_scc0 .LBB207_47
; %bb.48:                               ;   in Loop: Header=BB207_46 Depth=1
	;;#ASMSTART
	global_load_dwordx4 v[17:20], v[15:16] off glc	
s_waitcnt vmcnt(0)
	;;#ASMEND
	v_and_b32_e32 v20, 0xff, v19
	s_cmp_lt_u32 s13, 32
	s_cselect_b32 s17, -1, 0
	s_delay_alu instid0(SALU_CYCLE_1) | instskip(NEXT) | instid1(VALU_DEP_1)
	s_cmp_lg_u32 s17, 0
	v_cmp_ne_u16_e32 vcc_lo, 0, v20
	s_addc_u32 s13, s13, 0
	s_or_b32 s12, vcc_lo, s12
	s_delay_alu instid0(SALU_CYCLE_1)
	s_and_not1_b32 exec_lo, exec_lo, s12
	s_cbranch_execnz .LBB207_46
; %bb.49:
	s_or_b32 exec_lo, exec_lo, s12
.LBB207_50:
	s_delay_alu instid0(SALU_CYCLE_1)
	s_or_b32 exec_lo, exec_lo, s11
	v_cmp_ne_u32_e32 vcc_lo, 31, v42
	v_and_b32_e32 v16, 0xff, v19
	v_lshlrev_b32_e64 v46, v42, -1
	s_mov_b32 s11, exec_lo
	v_add_co_ci_u32_e32 v15, vcc_lo, 0, v42, vcc_lo
	s_delay_alu instid0(VALU_DEP_3) | instskip(NEXT) | instid1(VALU_DEP_2)
	v_cmp_eq_u16_e32 vcc_lo, 2, v16
	v_dual_mov_b32 v16, v17 :: v_dual_lshlrev_b32 v45, 2, v15
	v_and_or_b32 v15, vcc_lo, v46, 0x80000000
	ds_bpermute_b32 v26, v45, v17
	ds_bpermute_b32 v20, v45, v18
	v_ctz_i32_b32_e32 v15, v15
	s_delay_alu instid0(VALU_DEP_1)
	v_cmpx_lt_u32_e64 v42, v15
	s_cbranch_execz .LBB207_52
; %bb.51:
	s_waitcnt lgkmcnt(1)
	v_add_co_u32 v16, vcc_lo, v17, v26
	v_add_co_ci_u32_e32 v18, vcc_lo, 0, v18, vcc_lo
	s_delay_alu instid0(VALU_DEP_2) | instskip(SKIP_1) | instid1(VALU_DEP_2)
	v_add_co_u32 v17, vcc_lo, 0, v16
	s_waitcnt lgkmcnt(0)
	v_add_co_ci_u32_e32 v18, vcc_lo, v20, v18, vcc_lo
.LBB207_52:
	s_or_b32 exec_lo, exec_lo, s11
	v_cmp_gt_u32_e32 vcc_lo, 30, v42
	v_add_nc_u32_e32 v48, 2, v42
	s_mov_b32 s11, exec_lo
	s_waitcnt lgkmcnt(0)
	v_cndmask_b32_e64 v20, 0, 1, vcc_lo
	s_delay_alu instid0(VALU_DEP_1) | instskip(NEXT) | instid1(VALU_DEP_1)
	v_lshlrev_b32_e32 v20, 1, v20
	v_add_lshl_u32 v47, v20, v42, 2
	ds_bpermute_b32 v26, v47, v16
	ds_bpermute_b32 v20, v47, v18
	v_cmpx_le_u32_e64 v48, v15
	s_cbranch_execz .LBB207_54
; %bb.53:
	s_waitcnt lgkmcnt(1)
	v_add_co_u32 v16, vcc_lo, v17, v26
	v_add_co_ci_u32_e32 v18, vcc_lo, 0, v18, vcc_lo
	s_delay_alu instid0(VALU_DEP_2) | instskip(SKIP_1) | instid1(VALU_DEP_2)
	v_add_co_u32 v17, vcc_lo, 0, v16
	s_waitcnt lgkmcnt(0)
	v_add_co_ci_u32_e32 v18, vcc_lo, v20, v18, vcc_lo
.LBB207_54:
	s_or_b32 exec_lo, exec_lo, s11
	v_cmp_gt_u32_e32 vcc_lo, 28, v42
	v_add_nc_u32_e32 v50, 4, v42
	s_mov_b32 s11, exec_lo
	s_waitcnt lgkmcnt(0)
	v_cndmask_b32_e64 v20, 0, 1, vcc_lo
	s_delay_alu instid0(VALU_DEP_1) | instskip(NEXT) | instid1(VALU_DEP_1)
	v_lshlrev_b32_e32 v20, 2, v20
	v_add_lshl_u32 v49, v20, v42, 2
	ds_bpermute_b32 v26, v49, v16
	ds_bpermute_b32 v20, v49, v18
	v_cmpx_le_u32_e64 v50, v15
	;; [unrolled: 22-line block ×4, first 2 shown]
	s_cbranch_execz .LBB207_60
; %bb.59:
	s_waitcnt lgkmcnt(1)
	v_add_co_u32 v15, vcc_lo, v17, v20
	v_add_co_ci_u32_e32 v18, vcc_lo, 0, v18, vcc_lo
	s_delay_alu instid0(VALU_DEP_2) | instskip(SKIP_1) | instid1(VALU_DEP_2)
	v_add_co_u32 v17, vcc_lo, v15, 0
	s_waitcnt lgkmcnt(0)
	v_add_co_ci_u32_e32 v18, vcc_lo, v18, v16, vcc_lo
.LBB207_60:
	s_or_b32 exec_lo, exec_lo, s11
	v_mov_b32_e32 v26, 0
	s_branch .LBB207_62
.LBB207_61:                             ;   in Loop: Header=BB207_62 Depth=1
	s_or_b32 exec_lo, exec_lo, s11
	v_add_co_u32 v17, vcc_lo, v17, v15
	v_subrev_nc_u32_e32 v25, 32, v25
	v_add_co_ci_u32_e32 v18, vcc_lo, v18, v16, vcc_lo
.LBB207_62:                             ; =>This Loop Header: Depth=1
                                        ;     Child Loop BB207_65 Depth 2
                                        ;       Child Loop BB207_66 Depth 3
	v_and_b32_e32 v15, 0xff, v19
	s_delay_alu instid0(VALU_DEP_1) | instskip(SKIP_2) | instid1(VALU_DEP_1)
	v_cmp_ne_u16_e32 vcc_lo, 2, v15
	v_cndmask_b32_e64 v15, 0, 1, vcc_lo
	;;#ASMSTART
	;;#ASMEND
	v_cmp_ne_u32_e32 vcc_lo, 0, v15
	s_waitcnt lgkmcnt(0)
	v_dual_mov_b32 v15, v17 :: v_dual_mov_b32 v16, v18
	s_cmp_lg_u32 vcc_lo, exec_lo
	s_cbranch_scc1 .LBB207_79
; %bb.63:                               ;   in Loop: Header=BB207_62 Depth=1
	v_lshlrev_b64 v[17:18], 4, v[25:26]
	s_mov_b32 s11, exec_lo
	s_delay_alu instid0(VALU_DEP_1) | instskip(NEXT) | instid1(VALU_DEP_2)
	v_add_co_u32 v27, vcc_lo, s8, v17
	v_add_co_ci_u32_e32 v28, vcc_lo, s9, v18, vcc_lo
	;;#ASMSTART
	global_load_dwordx4 v[17:20], v[27:28] off glc	
s_waitcnt vmcnt(0)
	;;#ASMEND
	v_and_b32_e32 v20, 0xff, v18
	v_and_b32_e32 v55, 0xff00, v18
	;; [unrolled: 1-line block ×3, first 2 shown]
	v_or3_b32 v17, v17, 0, 0
	v_and_b32_e32 v18, 0xff000000, v18
	s_delay_alu instid0(VALU_DEP_4) | instskip(SKIP_1) | instid1(VALU_DEP_4)
	v_or3_b32 v20, 0, v20, v55
	v_and_b32_e32 v55, 0xff, v19
	v_or3_b32 v17, v17, 0, 0
	s_delay_alu instid0(VALU_DEP_3) | instskip(NEXT) | instid1(VALU_DEP_3)
	v_or3_b32 v18, v20, v56, v18
	v_cmpx_eq_u16_e32 0, v55
	s_cbranch_execz .LBB207_69
; %bb.64:                               ;   in Loop: Header=BB207_62 Depth=1
	s_mov_b32 s13, 1
	s_mov_b32 s12, 0
	.p2align	6
.LBB207_65:                             ;   Parent Loop BB207_62 Depth=1
                                        ; =>  This Loop Header: Depth=2
                                        ;       Child Loop BB207_66 Depth 3
	s_max_u32 s17, s13, 1
.LBB207_66:                             ;   Parent Loop BB207_62 Depth=1
                                        ;     Parent Loop BB207_65 Depth=2
                                        ; =>    This Inner Loop Header: Depth=3
	s_delay_alu instid0(SALU_CYCLE_1)
	s_add_i32 s17, s17, -1
	s_sleep 1
	s_cmp_eq_u32 s17, 0
	s_cbranch_scc0 .LBB207_66
; %bb.67:                               ;   in Loop: Header=BB207_65 Depth=2
	;;#ASMSTART
	global_load_dwordx4 v[17:20], v[27:28] off glc	
s_waitcnt vmcnt(0)
	;;#ASMEND
	v_and_b32_e32 v20, 0xff, v19
	s_cmp_lt_u32 s13, 32
	s_cselect_b32 s17, -1, 0
	s_delay_alu instid0(SALU_CYCLE_1) | instskip(NEXT) | instid1(VALU_DEP_1)
	s_cmp_lg_u32 s17, 0
	v_cmp_ne_u16_e32 vcc_lo, 0, v20
	s_addc_u32 s13, s13, 0
	s_or_b32 s12, vcc_lo, s12
	s_delay_alu instid0(SALU_CYCLE_1)
	s_and_not1_b32 exec_lo, exec_lo, s12
	s_cbranch_execnz .LBB207_65
; %bb.68:                               ;   in Loop: Header=BB207_62 Depth=1
	s_or_b32 exec_lo, exec_lo, s12
.LBB207_69:                             ;   in Loop: Header=BB207_62 Depth=1
	s_delay_alu instid0(SALU_CYCLE_1)
	s_or_b32 exec_lo, exec_lo, s11
	v_dual_mov_b32 v27, v17 :: v_dual_and_b32 v20, 0xff, v19
	ds_bpermute_b32 v55, v45, v17
	ds_bpermute_b32 v28, v45, v18
	s_mov_b32 s11, exec_lo
	v_cmp_eq_u16_e32 vcc_lo, 2, v20
	v_and_or_b32 v20, vcc_lo, v46, 0x80000000
	s_delay_alu instid0(VALU_DEP_1) | instskip(NEXT) | instid1(VALU_DEP_1)
	v_ctz_i32_b32_e32 v20, v20
	v_cmpx_lt_u32_e64 v42, v20
	s_cbranch_execz .LBB207_71
; %bb.70:                               ;   in Loop: Header=BB207_62 Depth=1
	s_waitcnt lgkmcnt(1)
	v_add_co_u32 v27, vcc_lo, v17, v55
	v_add_co_ci_u32_e32 v18, vcc_lo, 0, v18, vcc_lo
	s_delay_alu instid0(VALU_DEP_2) | instskip(SKIP_1) | instid1(VALU_DEP_2)
	v_add_co_u32 v17, vcc_lo, 0, v27
	s_waitcnt lgkmcnt(0)
	v_add_co_ci_u32_e32 v18, vcc_lo, v28, v18, vcc_lo
.LBB207_71:                             ;   in Loop: Header=BB207_62 Depth=1
	s_or_b32 exec_lo, exec_lo, s11
	s_waitcnt lgkmcnt(1)
	ds_bpermute_b32 v55, v47, v27
	s_waitcnt lgkmcnt(1)
	ds_bpermute_b32 v28, v47, v18
	s_mov_b32 s11, exec_lo
	v_cmpx_le_u32_e64 v48, v20
	s_cbranch_execz .LBB207_73
; %bb.72:                               ;   in Loop: Header=BB207_62 Depth=1
	s_waitcnt lgkmcnt(1)
	v_add_co_u32 v27, vcc_lo, v17, v55
	v_add_co_ci_u32_e32 v18, vcc_lo, 0, v18, vcc_lo
	s_delay_alu instid0(VALU_DEP_2) | instskip(SKIP_1) | instid1(VALU_DEP_2)
	v_add_co_u32 v17, vcc_lo, 0, v27
	s_waitcnt lgkmcnt(0)
	v_add_co_ci_u32_e32 v18, vcc_lo, v28, v18, vcc_lo
.LBB207_73:                             ;   in Loop: Header=BB207_62 Depth=1
	s_or_b32 exec_lo, exec_lo, s11
	s_waitcnt lgkmcnt(1)
	ds_bpermute_b32 v55, v49, v27
	s_waitcnt lgkmcnt(1)
	ds_bpermute_b32 v28, v49, v18
	s_mov_b32 s11, exec_lo
	v_cmpx_le_u32_e64 v50, v20
	;; [unrolled: 17-line block ×3, first 2 shown]
	s_cbranch_execz .LBB207_77
; %bb.76:                               ;   in Loop: Header=BB207_62 Depth=1
	s_waitcnt lgkmcnt(1)
	v_add_co_u32 v27, vcc_lo, v17, v55
	v_add_co_ci_u32_e32 v18, vcc_lo, 0, v18, vcc_lo
	s_delay_alu instid0(VALU_DEP_2) | instskip(SKIP_1) | instid1(VALU_DEP_2)
	v_add_co_u32 v17, vcc_lo, 0, v27
	s_waitcnt lgkmcnt(0)
	v_add_co_ci_u32_e32 v18, vcc_lo, v28, v18, vcc_lo
.LBB207_77:                             ;   in Loop: Header=BB207_62 Depth=1
	s_or_b32 exec_lo, exec_lo, s11
	s_waitcnt lgkmcnt(0)
	ds_bpermute_b32 v28, v53, v27
	ds_bpermute_b32 v27, v53, v18
	s_mov_b32 s11, exec_lo
	v_cmpx_le_u32_e64 v54, v20
	s_cbranch_execz .LBB207_61
; %bb.78:                               ;   in Loop: Header=BB207_62 Depth=1
	s_waitcnt lgkmcnt(1)
	v_add_co_u32 v17, vcc_lo, v17, v28
	v_add_co_ci_u32_e32 v18, vcc_lo, 0, v18, vcc_lo
	s_delay_alu instid0(VALU_DEP_2) | instskip(SKIP_1) | instid1(VALU_DEP_2)
	v_add_co_u32 v17, vcc_lo, v17, 0
	s_waitcnt lgkmcnt(0)
	v_add_co_ci_u32_e32 v18, vcc_lo, v18, v27, vcc_lo
	s_branch .LBB207_61
.LBB207_79:                             ;   in Loop: Header=BB207_62 Depth=1
                                        ; implicit-def: $vgpr17_vgpr18
	s_cbranch_execz .LBB207_62
; %bb.80:
	s_and_saveexec_b32 s11, s3
	s_cbranch_execz .LBB207_82
; %bb.81:
	s_add_i32 s12, s15, 32
	s_mov_b32 s13, 0
	v_add_co_u32 v17, vcc_lo, v15, v13
	s_lshl_b64 s[12:13], s[12:13], 4
	v_dual_mov_b32 v19, 2 :: v_dual_mov_b32 v20, 0
	s_add_u32 s12, s8, s12
	s_addc_u32 s13, s9, s13
	v_add_co_ci_u32_e32 v18, vcc_lo, v16, v14, vcc_lo
	v_dual_mov_b32 v26, s13 :: v_dual_mov_b32 v25, s12
	;;#ASMSTART
	global_store_dwordx4 v[25:26], v[17:20] off	
s_waitcnt vmcnt(0)
	;;#ASMEND
	ds_store_b128 v20, v[13:16] offset:6144
.LBB207_82:
	s_or_b32 exec_lo, exec_lo, s11
	v_cmp_eq_u32_e32 vcc_lo, 0, v0
	s_and_b32 exec_lo, exec_lo, vcc_lo
	s_cbranch_execz .LBB207_84
; %bb.83:
	v_mov_b32_e32 v13, 0
	ds_store_b64 v13, v[15:16] offset:24
.LBB207_84:
	s_or_b32 exec_lo, exec_lo, s10
	s_waitcnt lgkmcnt(1)
	v_cndmask_b32_e64 v16, v29, v23, s3
	v_cmp_ne_u32_e32 vcc_lo, 0, v0
	v_mov_b32_e32 v15, 0
	s_waitcnt lgkmcnt(0)
	s_barrier
	buffer_gl0_inv
	v_cndmask_b32_e32 v16, 0, v16, vcc_lo
	ds_load_b64 v[13:14], v15 offset:24
	v_cndmask_b32_e64 v17, v30, v24, s3
	s_waitcnt lgkmcnt(0)
	s_barrier
	buffer_gl0_inv
	v_cndmask_b32_e32 v17, 0, v17, vcc_lo
	v_add_co_u32 v29, vcc_lo, v13, v16
	s_delay_alu instid0(VALU_DEP_2) | instskip(SKIP_3) | instid1(VALU_DEP_2)
	v_add_co_ci_u32_e32 v30, vcc_lo, v14, v17, vcc_lo
	ds_load_b128 v[13:16], v15 offset:6144
	v_add_co_u32 v27, vcc_lo, v29, v41
	v_add_co_ci_u32_e32 v28, vcc_lo, 0, v30, vcc_lo
	v_add_co_u32 v25, vcc_lo, v27, v40
	s_delay_alu instid0(VALU_DEP_2) | instskip(NEXT) | instid1(VALU_DEP_2)
	v_add_co_ci_u32_e32 v26, vcc_lo, 0, v28, vcc_lo
	v_add_co_u32 v23, vcc_lo, v25, v39
	s_delay_alu instid0(VALU_DEP_2) | instskip(NEXT) | instid1(VALU_DEP_2)
	;; [unrolled: 3-line block ×3, first 2 shown]
	v_add_co_ci_u32_e32 v20, vcc_lo, 0, v24, vcc_lo
	v_add_co_u32 v17, vcc_lo, v19, v37
	s_delay_alu instid0(VALU_DEP_2)
	v_add_co_ci_u32_e32 v18, vcc_lo, 0, v20, vcc_lo
	s_load_b64 s[10:11], s[0:1], 0x30
.LBB207_85:
	s_waitcnt lgkmcnt(0)
	v_cmp_gt_u64_e32 vcc_lo, 0x81, v[13:14]
	s_mov_b32 s0, -1
	s_cbranch_vccnz .LBB207_113
.LBB207_86:
	s_and_b32 vcc_lo, exec_lo, s0
	s_cbranch_vccnz .LBB207_132
.LBB207_87:
	v_cmp_eq_u32_e32 vcc_lo, 0, v0
	s_and_b32 s0, vcc_lo, s14
	s_delay_alu instid0(SALU_CYCLE_1)
	s_and_saveexec_b32 s1, s0
	s_cbranch_execnz .LBB207_148
.LBB207_88:
	s_nop 0
	s_sendmsg sendmsg(MSG_DEALLOC_VGPRS)
	s_endpgm
.LBB207_89:
                                        ; kill: def $vgpr13_vgpr14 killed $sgpr0_sgpr1 killed $exec
                                        ; implicit-def: $vgpr17_vgpr18
                                        ; implicit-def: $vgpr19_vgpr20
                                        ; implicit-def: $vgpr23_vgpr24
                                        ; implicit-def: $vgpr25_vgpr26
                                        ; implicit-def: $vgpr27_vgpr28
                                        ; implicit-def: $vgpr29_vgpr30
                                        ; implicit-def: $vgpr15_vgpr16
	s_load_b64 s[10:11], s[0:1], 0x30
	s_and_b32 vcc_lo, exec_lo, s3
	s_cbranch_vccz .LBB207_85
; %bb.90:
	s_waitcnt lgkmcnt(0)
	v_dual_mov_b32 v14, 0 :: v_dual_mov_b32 v15, v21
	v_mov_b32_dpp v16, v21 row_shr:1 row_mask:0xf bank_mask:0xf
	s_delay_alu instid0(VALU_DEP_2)
	v_mov_b32_dpp v13, v14 row_shr:1 row_mask:0xf bank_mask:0xf
	s_and_saveexec_b32 s0, s2
; %bb.91:
	s_delay_alu instid0(VALU_DEP_2) | instskip(SKIP_1) | instid1(VALU_DEP_2)
	v_add_co_u32 v15, vcc_lo, v21, v16
	v_add_co_ci_u32_e32 v14, vcc_lo, 0, v22, vcc_lo
	v_add_co_u32 v21, vcc_lo, 0, v15
	s_delay_alu instid0(VALU_DEP_2) | instskip(NEXT) | instid1(VALU_DEP_1)
	v_add_co_ci_u32_e32 v22, vcc_lo, v13, v14, vcc_lo
	v_mov_b32_e32 v14, v22
; %bb.92:
	s_or_b32 exec_lo, exec_lo, s0
	v_mov_b32_dpp v13, v15 row_shr:2 row_mask:0xf bank_mask:0xf
	s_delay_alu instid0(VALU_DEP_2)
	v_mov_b32_dpp v16, v14 row_shr:2 row_mask:0xf bank_mask:0xf
	s_mov_b32 s0, exec_lo
	v_cmpx_lt_u32_e32 1, v44
; %bb.93:
	s_delay_alu instid0(VALU_DEP_3) | instskip(SKIP_1) | instid1(VALU_DEP_2)
	v_add_co_u32 v15, vcc_lo, v21, v13
	v_add_co_ci_u32_e32 v14, vcc_lo, 0, v22, vcc_lo
	v_add_co_u32 v13, vcc_lo, 0, v15
	s_delay_alu instid0(VALU_DEP_2) | instskip(NEXT) | instid1(VALU_DEP_1)
	v_add_co_ci_u32_e32 v14, vcc_lo, v16, v14, vcc_lo
	v_dual_mov_b32 v22, v14 :: v_dual_mov_b32 v21, v13
; %bb.94:
	s_or_b32 exec_lo, exec_lo, s0
	v_mov_b32_dpp v13, v15 row_shr:4 row_mask:0xf bank_mask:0xf
	v_mov_b32_dpp v16, v14 row_shr:4 row_mask:0xf bank_mask:0xf
	s_mov_b32 s0, exec_lo
	v_cmpx_lt_u32_e32 3, v44
; %bb.95:
	s_delay_alu instid0(VALU_DEP_3) | instskip(SKIP_1) | instid1(VALU_DEP_2)
	v_add_co_u32 v15, vcc_lo, v21, v13
	v_add_co_ci_u32_e32 v14, vcc_lo, 0, v22, vcc_lo
	v_add_co_u32 v13, vcc_lo, 0, v15
	s_delay_alu instid0(VALU_DEP_2) | instskip(NEXT) | instid1(VALU_DEP_1)
	v_add_co_ci_u32_e32 v14, vcc_lo, v16, v14, vcc_lo
	v_dual_mov_b32 v22, v14 :: v_dual_mov_b32 v21, v13
; %bb.96:
	s_or_b32 exec_lo, exec_lo, s0
	v_mov_b32_dpp v16, v15 row_shr:8 row_mask:0xf bank_mask:0xf
	v_mov_b32_dpp v13, v14 row_shr:8 row_mask:0xf bank_mask:0xf
	s_mov_b32 s0, exec_lo
	v_cmpx_lt_u32_e32 7, v44
; %bb.97:
	s_delay_alu instid0(VALU_DEP_3) | instskip(SKIP_1) | instid1(VALU_DEP_2)
	v_add_co_u32 v15, vcc_lo, v21, v16
	v_add_co_ci_u32_e32 v14, vcc_lo, 0, v22, vcc_lo
	v_add_co_u32 v21, vcc_lo, 0, v15
	s_delay_alu instid0(VALU_DEP_2) | instskip(NEXT) | instid1(VALU_DEP_1)
	v_add_co_ci_u32_e32 v22, vcc_lo, v13, v14, vcc_lo
	v_mov_b32_e32 v14, v22
; %bb.98:
	s_or_b32 exec_lo, exec_lo, s0
	ds_swizzle_b32 v15, v15 offset:swizzle(BROADCAST,32,15)
	ds_swizzle_b32 v13, v14 offset:swizzle(BROADCAST,32,15)
	v_and_b32_e32 v14, 16, v42
	s_mov_b32 s0, exec_lo
	s_delay_alu instid0(VALU_DEP_1)
	v_cmpx_ne_u32_e32 0, v14
	s_cbranch_execz .LBB207_100
; %bb.99:
	s_waitcnt lgkmcnt(1)
	v_add_co_u32 v14, vcc_lo, v21, v15
	v_add_co_ci_u32_e32 v15, vcc_lo, 0, v22, vcc_lo
	s_delay_alu instid0(VALU_DEP_2) | instskip(SKIP_1) | instid1(VALU_DEP_2)
	v_add_co_u32 v21, vcc_lo, v14, 0
	s_waitcnt lgkmcnt(0)
	v_add_co_ci_u32_e32 v22, vcc_lo, v15, v13, vcc_lo
.LBB207_100:
	s_or_b32 exec_lo, exec_lo, s0
	s_waitcnt lgkmcnt(0)
	v_or_b32_e32 v13, 31, v0
	v_lshrrev_b32_e32 v15, 5, v0
	s_mov_b32 s0, exec_lo
	s_delay_alu instid0(VALU_DEP_2)
	v_cmpx_eq_u32_e64 v13, v0
	s_cbranch_execz .LBB207_102
; %bb.101:
	s_delay_alu instid0(VALU_DEP_2)
	v_lshlrev_b32_e32 v13, 3, v15
	ds_store_b64 v13, v[21:22]
.LBB207_102:
	s_or_b32 exec_lo, exec_lo, s0
	s_delay_alu instid0(SALU_CYCLE_1)
	s_mov_b32 s0, exec_lo
	s_waitcnt lgkmcnt(0)
	s_barrier
	buffer_gl0_inv
	v_cmpx_gt_u32_e32 4, v0
	s_cbranch_execz .LBB207_108
; %bb.103:
	v_lshlrev_b32_e32 v13, 1, v0
	s_mov_b32 s1, exec_lo
	s_delay_alu instid0(VALU_DEP_1)
	v_add_nc_u32_e32 v16, v43, v13
	ds_load_b64 v[13:14], v16
	s_waitcnt lgkmcnt(0)
	v_dual_mov_b32 v18, v13 :: v_dual_and_b32 v17, 3, v42
	v_mov_b32_dpp v20, v13 row_shr:1 row_mask:0xf bank_mask:0xf
	v_mov_b32_dpp v19, v14 row_shr:1 row_mask:0xf bank_mask:0xf
	s_delay_alu instid0(VALU_DEP_3)
	v_cmpx_ne_u32_e32 0, v17
; %bb.104:
	s_delay_alu instid0(VALU_DEP_3) | instskip(SKIP_1) | instid1(VALU_DEP_2)
	v_add_co_u32 v18, vcc_lo, v13, v20
	v_add_co_ci_u32_e32 v14, vcc_lo, 0, v14, vcc_lo
	v_add_co_u32 v13, vcc_lo, 0, v18
	s_delay_alu instid0(VALU_DEP_2)
	v_add_co_ci_u32_e32 v14, vcc_lo, v19, v14, vcc_lo
; %bb.105:
	s_or_b32 exec_lo, exec_lo, s1
	v_mov_b32_dpp v19, v18 row_shr:2 row_mask:0xf bank_mask:0xf
	s_delay_alu instid0(VALU_DEP_2)
	v_mov_b32_dpp v18, v14 row_shr:2 row_mask:0xf bank_mask:0xf
	s_mov_b32 s1, exec_lo
	v_cmpx_lt_u32_e32 1, v17
; %bb.106:
	s_delay_alu instid0(VALU_DEP_3) | instskip(SKIP_1) | instid1(VALU_DEP_2)
	v_add_co_u32 v13, vcc_lo, v13, v19
	v_add_co_ci_u32_e32 v14, vcc_lo, 0, v14, vcc_lo
	v_add_co_u32 v13, vcc_lo, v13, 0
	s_delay_alu instid0(VALU_DEP_2)
	v_add_co_ci_u32_e32 v14, vcc_lo, v14, v18, vcc_lo
; %bb.107:
	s_or_b32 exec_lo, exec_lo, s1
	ds_store_b64 v16, v[13:14]
.LBB207_108:
	s_or_b32 exec_lo, exec_lo, s0
	v_mov_b32_e32 v17, 0
	v_mov_b32_e32 v18, 0
	s_mov_b32 s0, exec_lo
	s_waitcnt lgkmcnt(0)
	s_barrier
	buffer_gl0_inv
	v_cmpx_lt_u32_e32 31, v0
	s_cbranch_execz .LBB207_110
; %bb.109:
	v_lshl_add_u32 v13, v15, 3, -8
	ds_load_b64 v[17:18], v13
.LBB207_110:
	s_or_b32 exec_lo, exec_lo, s0
	v_dual_mov_b32 v16, 0 :: v_dual_add_nc_u32 v13, -1, v42
	s_delay_alu instid0(VALU_DEP_1) | instskip(SKIP_4) | instid1(VALU_DEP_3)
	v_cmp_gt_i32_e32 vcc_lo, 0, v13
	v_cndmask_b32_e32 v13, v13, v42, vcc_lo
	s_waitcnt lgkmcnt(0)
	v_add_co_u32 v14, vcc_lo, v17, v21
	v_add_co_ci_u32_e32 v15, vcc_lo, v18, v22, vcc_lo
	v_lshlrev_b32_e32 v13, 2, v13
	v_cmp_eq_u32_e32 vcc_lo, 0, v0
	ds_bpermute_b32 v19, v13, v14
	ds_bpermute_b32 v20, v13, v15
	ds_load_b64 v[13:14], v16 offset:24
	s_and_saveexec_b32 s0, vcc_lo
	s_cbranch_execz .LBB207_112
; %bb.111:
	s_add_u32 s2, s8, 0x200
	s_addc_u32 s3, s9, 0
	s_delay_alu instid0(SALU_CYCLE_1)
	v_dual_mov_b32 v15, 2 :: v_dual_mov_b32 v22, s3
	v_mov_b32_e32 v21, s2
	s_waitcnt lgkmcnt(0)
	;;#ASMSTART
	global_store_dwordx4 v[21:22], v[13:16] off	
s_waitcnt vmcnt(0)
	;;#ASMEND
.LBB207_112:
	s_or_b32 exec_lo, exec_lo, s0
	v_cmp_eq_u32_e64 s0, 0, v42
	s_waitcnt lgkmcnt(0)
	s_barrier
	buffer_gl0_inv
	v_cndmask_b32_e64 v15, v19, v17, s0
	v_cndmask_b32_e64 v16, v20, v18, s0
	s_delay_alu instid0(VALU_DEP_2) | instskip(NEXT) | instid1(VALU_DEP_2)
	v_cndmask_b32_e64 v29, v15, 0, vcc_lo
	v_cndmask_b32_e64 v30, v16, 0, vcc_lo
	v_mov_b32_e32 v15, 0
	v_mov_b32_e32 v16, 0
	s_delay_alu instid0(VALU_DEP_4) | instskip(NEXT) | instid1(VALU_DEP_4)
	v_add_co_u32 v27, vcc_lo, v29, v41
	v_add_co_ci_u32_e32 v28, vcc_lo, 0, v30, vcc_lo
	s_delay_alu instid0(VALU_DEP_2) | instskip(NEXT) | instid1(VALU_DEP_2)
	v_add_co_u32 v25, vcc_lo, v27, v40
	v_add_co_ci_u32_e32 v26, vcc_lo, 0, v28, vcc_lo
	s_delay_alu instid0(VALU_DEP_2) | instskip(NEXT) | instid1(VALU_DEP_2)
	v_add_co_u32 v23, vcc_lo, v25, v39
	v_add_co_ci_u32_e32 v24, vcc_lo, 0, v26, vcc_lo
	s_delay_alu instid0(VALU_DEP_2) | instskip(NEXT) | instid1(VALU_DEP_2)
	v_add_co_u32 v19, vcc_lo, v23, v38
	v_add_co_ci_u32_e32 v20, vcc_lo, 0, v24, vcc_lo
	s_delay_alu instid0(VALU_DEP_2) | instskip(NEXT) | instid1(VALU_DEP_2)
	v_add_co_u32 v17, vcc_lo, v19, v37
	v_add_co_ci_u32_e32 v18, vcc_lo, 0, v20, vcc_lo
	v_cmp_gt_u64_e32 vcc_lo, 0x81, v[13:14]
	s_mov_b32 s0, -1
	s_cbranch_vccz .LBB207_86
.LBB207_113:
	v_add_co_u32 v21, vcc_lo, v15, v13
	v_add_co_ci_u32_e32 v22, vcc_lo, v16, v14, vcc_lo
	s_delay_alu instid0(VALU_DEP_1) | instskip(SKIP_1) | instid1(SALU_CYCLE_1)
	v_cmp_lt_u64_e32 vcc_lo, v[29:30], v[21:22]
	s_or_b32 s1, s16, vcc_lo
	s_and_saveexec_b32 s0, s1
	s_cbranch_execz .LBB207_116
; %bb.114:
	v_and_b32_e32 v37, 1, v36
	s_delay_alu instid0(VALU_DEP_1)
	v_cmp_eq_u32_e32 vcc_lo, 1, v37
	s_and_b32 exec_lo, exec_lo, vcc_lo
	s_cbranch_execz .LBB207_116
; %bb.115:
	v_lshlrev_b64 v[37:38], 3, v[29:30]
	s_lshl_b64 s[2:3], s[6:7], 3
	s_delay_alu instid0(SALU_CYCLE_1) | instskip(SKIP_1) | instid1(VALU_DEP_1)
	s_add_u32 s1, s10, s2
	s_addc_u32 s2, s11, s3
	v_add_co_u32 v37, vcc_lo, s1, v37
	s_delay_alu instid0(VALU_DEP_2)
	v_add_co_ci_u32_e32 v38, vcc_lo, s2, v38, vcc_lo
	global_store_b64 v[37:38], v[9:10], off
.LBB207_116:
	s_or_b32 exec_lo, exec_lo, s0
	v_cmp_lt_u64_e32 vcc_lo, v[27:28], v[21:22]
	s_or_b32 s1, s16, vcc_lo
	s_delay_alu instid0(SALU_CYCLE_1)
	s_and_saveexec_b32 s0, s1
	s_cbranch_execz .LBB207_119
; %bb.117:
	v_and_b32_e32 v30, 1, v34
	s_delay_alu instid0(VALU_DEP_1)
	v_cmp_eq_u32_e32 vcc_lo, 1, v30
	s_and_b32 exec_lo, exec_lo, vcc_lo
	s_cbranch_execz .LBB207_119
; %bb.118:
	v_lshlrev_b64 v[37:38], 3, v[27:28]
	s_lshl_b64 s[2:3], s[6:7], 3
	s_delay_alu instid0(SALU_CYCLE_1) | instskip(SKIP_1) | instid1(VALU_DEP_1)
	s_add_u32 s1, s10, s2
	s_addc_u32 s2, s11, s3
	v_add_co_u32 v37, vcc_lo, s1, v37
	s_delay_alu instid0(VALU_DEP_2)
	v_add_co_ci_u32_e32 v38, vcc_lo, s2, v38, vcc_lo
	global_store_b64 v[37:38], v[11:12], off
.LBB207_119:
	s_or_b32 exec_lo, exec_lo, s0
	v_cmp_lt_u64_e32 vcc_lo, v[25:26], v[21:22]
	s_or_b32 s1, s16, vcc_lo
	s_delay_alu instid0(SALU_CYCLE_1)
	;; [unrolled: 23-line block ×5, first 2 shown]
	s_and_saveexec_b32 s0, s1
	s_cbranch_execz .LBB207_131
; %bb.129:
	v_and_b32_e32 v20, 1, v32
	s_delay_alu instid0(VALU_DEP_1)
	v_cmp_eq_u32_e32 vcc_lo, 1, v20
	s_and_b32 exec_lo, exec_lo, vcc_lo
	s_cbranch_execz .LBB207_131
; %bb.130:
	v_lshlrev_b64 v[20:21], 3, v[17:18]
	s_lshl_b64 s[2:3], s[6:7], 3
	s_delay_alu instid0(SALU_CYCLE_1) | instskip(SKIP_1) | instid1(VALU_DEP_1)
	s_add_u32 s1, s10, s2
	s_addc_u32 s2, s11, s3
	v_add_co_u32 v20, vcc_lo, s1, v20
	s_delay_alu instid0(VALU_DEP_2)
	v_add_co_ci_u32_e32 v21, vcc_lo, s2, v21, vcc_lo
	global_store_b64 v[20:21], v[3:4], off
.LBB207_131:
	s_or_b32 exec_lo, exec_lo, s0
	s_branch .LBB207_87
.LBB207_132:
	v_and_b32_e32 v18, 1, v36
	s_mov_b32 s0, exec_lo
	s_delay_alu instid0(VALU_DEP_1)
	v_cmpx_eq_u32_e32 1, v18
	s_cbranch_execz .LBB207_134
; %bb.133:
	v_sub_nc_u32_e32 v18, v29, v15
	s_delay_alu instid0(VALU_DEP_1)
	v_lshlrev_b32_e32 v18, 3, v18
	ds_store_b64 v18, v[9:10]
.LBB207_134:
	s_or_b32 exec_lo, exec_lo, s0
	v_and_b32_e32 v9, 1, v34
	s_mov_b32 s0, exec_lo
	s_delay_alu instid0(VALU_DEP_1)
	v_cmpx_eq_u32_e32 1, v9
	s_cbranch_execz .LBB207_136
; %bb.135:
	v_sub_nc_u32_e32 v9, v27, v15
	s_delay_alu instid0(VALU_DEP_1)
	v_lshlrev_b32_e32 v9, 3, v9
	ds_store_b64 v9, v[11:12]
.LBB207_136:
	s_or_b32 exec_lo, exec_lo, s0
	;; [unrolled: 12-line block ×6, first 2 shown]
	v_mov_b32_e32 v3, 0
	s_mov_b32 s1, exec_lo
	s_waitcnt lgkmcnt(0)
	s_waitcnt_vscnt null, 0x0
	s_barrier
	buffer_gl0_inv
	v_mov_b32_e32 v1, v3
	s_delay_alu instid0(VALU_DEP_1)
	v_cmpx_gt_u64_e64 v[13:14], v[0:1]
	s_cbranch_execz .LBB207_147
; %bb.145:
	v_lshlrev_b64 v[4:5], 3, v[15:16]
	s_lshl_b64 s[2:3], s[6:7], 3
	v_or_b32_e32 v2, 0x80, v0
	s_delay_alu instid0(VALU_DEP_2) | instskip(NEXT) | instid1(VALU_DEP_3)
	v_add_co_u32 v4, vcc_lo, s10, v4
	v_add_co_ci_u32_e32 v5, vcc_lo, s11, v5, vcc_lo
	s_delay_alu instid0(VALU_DEP_2) | instskip(NEXT) | instid1(VALU_DEP_2)
	v_add_co_u32 v6, vcc_lo, v4, s2
	v_add_co_ci_u32_e32 v7, vcc_lo, s3, v5, vcc_lo
	v_dual_mov_b32 v5, v1 :: v_dual_mov_b32 v4, v0
	s_mov_b32 s2, 0
	.p2align	6
.LBB207_146:                            ; =>This Inner Loop Header: Depth=1
	s_delay_alu instid0(VALU_DEP_1) | instskip(NEXT) | instid1(VALU_DEP_2)
	v_lshlrev_b32_e32 v1, 3, v4
	v_lshlrev_b64 v[10:11], 3, v[4:5]
	v_dual_mov_b32 v5, v3 :: v_dual_mov_b32 v4, v2
	v_cmp_le_u64_e32 vcc_lo, v[13:14], v[2:3]
	v_add_nc_u32_e32 v2, 0x80, v2
	ds_load_b64 v[8:9], v1
	v_add_co_u32 v10, s0, v6, v10
	s_delay_alu instid0(VALU_DEP_1)
	v_add_co_ci_u32_e64 v11, s0, v7, v11, s0
	s_or_b32 s2, vcc_lo, s2
	s_waitcnt lgkmcnt(0)
	global_store_b64 v[10:11], v[8:9], off
	s_and_not1_b32 exec_lo, exec_lo, s2
	s_cbranch_execnz .LBB207_146
.LBB207_147:
	s_or_b32 exec_lo, exec_lo, s1
	v_cmp_eq_u32_e32 vcc_lo, 0, v0
	s_and_b32 s0, vcc_lo, s14
	s_delay_alu instid0(SALU_CYCLE_1)
	s_and_saveexec_b32 s1, s0
	s_cbranch_execz .LBB207_88
.LBB207_148:
	v_add_co_u32 v0, vcc_lo, v15, v13
	v_add_co_ci_u32_e32 v1, vcc_lo, v16, v14, vcc_lo
	v_mov_b32_e32 v2, 0
	s_delay_alu instid0(VALU_DEP_3) | instskip(NEXT) | instid1(VALU_DEP_3)
	v_add_co_u32 v0, vcc_lo, v0, s6
	v_add_co_ci_u32_e32 v1, vcc_lo, s7, v1, vcc_lo
	global_store_b64 v2, v[0:1], s[4:5]
	s_nop 0
	s_sendmsg sendmsg(MSG_DEALLOC_VGPRS)
	s_endpgm
	.section	.rodata,"a",@progbits
	.p2align	6, 0x0
	.amdhsa_kernel _ZN7rocprim17ROCPRIM_400000_NS6detail17trampoline_kernelINS0_14default_configENS1_25partition_config_selectorILNS1_17partition_subalgoE5ElNS0_10empty_typeEbEEZZNS1_14partition_implILS5_5ELb0ES3_mN6hipcub16HIPCUB_304000_NS21CountingInputIteratorIllEEPS6_NSA_22TransformInputIteratorIb7NonZeroIiEPilEENS0_5tupleIJPlS6_EEENSJ_IJSD_SD_EEES6_SK_JS6_EEE10hipError_tPvRmT3_T4_T5_T6_T7_T9_mT8_P12ihipStream_tbDpT10_ENKUlT_T0_E_clISt17integral_constantIbLb1EES15_IbLb0EEEEDaS11_S12_EUlS11_E_NS1_11comp_targetILNS1_3genE9ELNS1_11target_archE1100ELNS1_3gpuE3ELNS1_3repE0EEENS1_30default_config_static_selectorELNS0_4arch9wavefront6targetE0EEEvT1_
		.amdhsa_group_segment_fixed_size 6160
		.amdhsa_private_segment_fixed_size 0
		.amdhsa_kernarg_size 120
		.amdhsa_user_sgpr_count 15
		.amdhsa_user_sgpr_dispatch_ptr 0
		.amdhsa_user_sgpr_queue_ptr 0
		.amdhsa_user_sgpr_kernarg_segment_ptr 1
		.amdhsa_user_sgpr_dispatch_id 0
		.amdhsa_user_sgpr_private_segment_size 0
		.amdhsa_wavefront_size32 1
		.amdhsa_uses_dynamic_stack 0
		.amdhsa_enable_private_segment 0
		.amdhsa_system_sgpr_workgroup_id_x 1
		.amdhsa_system_sgpr_workgroup_id_y 0
		.amdhsa_system_sgpr_workgroup_id_z 0
		.amdhsa_system_sgpr_workgroup_info 0
		.amdhsa_system_vgpr_workitem_id 0
		.amdhsa_next_free_vgpr 57
		.amdhsa_next_free_sgpr 21
		.amdhsa_reserve_vcc 1
		.amdhsa_float_round_mode_32 0
		.amdhsa_float_round_mode_16_64 0
		.amdhsa_float_denorm_mode_32 3
		.amdhsa_float_denorm_mode_16_64 3
		.amdhsa_dx10_clamp 1
		.amdhsa_ieee_mode 1
		.amdhsa_fp16_overflow 0
		.amdhsa_workgroup_processor_mode 1
		.amdhsa_memory_ordered 1
		.amdhsa_forward_progress 0
		.amdhsa_shared_vgpr_count 0
		.amdhsa_exception_fp_ieee_invalid_op 0
		.amdhsa_exception_fp_denorm_src 0
		.amdhsa_exception_fp_ieee_div_zero 0
		.amdhsa_exception_fp_ieee_overflow 0
		.amdhsa_exception_fp_ieee_underflow 0
		.amdhsa_exception_fp_ieee_inexact 0
		.amdhsa_exception_int_div_zero 0
	.end_amdhsa_kernel
	.section	.text._ZN7rocprim17ROCPRIM_400000_NS6detail17trampoline_kernelINS0_14default_configENS1_25partition_config_selectorILNS1_17partition_subalgoE5ElNS0_10empty_typeEbEEZZNS1_14partition_implILS5_5ELb0ES3_mN6hipcub16HIPCUB_304000_NS21CountingInputIteratorIllEEPS6_NSA_22TransformInputIteratorIb7NonZeroIiEPilEENS0_5tupleIJPlS6_EEENSJ_IJSD_SD_EEES6_SK_JS6_EEE10hipError_tPvRmT3_T4_T5_T6_T7_T9_mT8_P12ihipStream_tbDpT10_ENKUlT_T0_E_clISt17integral_constantIbLb1EES15_IbLb0EEEEDaS11_S12_EUlS11_E_NS1_11comp_targetILNS1_3genE9ELNS1_11target_archE1100ELNS1_3gpuE3ELNS1_3repE0EEENS1_30default_config_static_selectorELNS0_4arch9wavefront6targetE0EEEvT1_,"axG",@progbits,_ZN7rocprim17ROCPRIM_400000_NS6detail17trampoline_kernelINS0_14default_configENS1_25partition_config_selectorILNS1_17partition_subalgoE5ElNS0_10empty_typeEbEEZZNS1_14partition_implILS5_5ELb0ES3_mN6hipcub16HIPCUB_304000_NS21CountingInputIteratorIllEEPS6_NSA_22TransformInputIteratorIb7NonZeroIiEPilEENS0_5tupleIJPlS6_EEENSJ_IJSD_SD_EEES6_SK_JS6_EEE10hipError_tPvRmT3_T4_T5_T6_T7_T9_mT8_P12ihipStream_tbDpT10_ENKUlT_T0_E_clISt17integral_constantIbLb1EES15_IbLb0EEEEDaS11_S12_EUlS11_E_NS1_11comp_targetILNS1_3genE9ELNS1_11target_archE1100ELNS1_3gpuE3ELNS1_3repE0EEENS1_30default_config_static_selectorELNS0_4arch9wavefront6targetE0EEEvT1_,comdat
.Lfunc_end207:
	.size	_ZN7rocprim17ROCPRIM_400000_NS6detail17trampoline_kernelINS0_14default_configENS1_25partition_config_selectorILNS1_17partition_subalgoE5ElNS0_10empty_typeEbEEZZNS1_14partition_implILS5_5ELb0ES3_mN6hipcub16HIPCUB_304000_NS21CountingInputIteratorIllEEPS6_NSA_22TransformInputIteratorIb7NonZeroIiEPilEENS0_5tupleIJPlS6_EEENSJ_IJSD_SD_EEES6_SK_JS6_EEE10hipError_tPvRmT3_T4_T5_T6_T7_T9_mT8_P12ihipStream_tbDpT10_ENKUlT_T0_E_clISt17integral_constantIbLb1EES15_IbLb0EEEEDaS11_S12_EUlS11_E_NS1_11comp_targetILNS1_3genE9ELNS1_11target_archE1100ELNS1_3gpuE3ELNS1_3repE0EEENS1_30default_config_static_selectorELNS0_4arch9wavefront6targetE0EEEvT1_, .Lfunc_end207-_ZN7rocprim17ROCPRIM_400000_NS6detail17trampoline_kernelINS0_14default_configENS1_25partition_config_selectorILNS1_17partition_subalgoE5ElNS0_10empty_typeEbEEZZNS1_14partition_implILS5_5ELb0ES3_mN6hipcub16HIPCUB_304000_NS21CountingInputIteratorIllEEPS6_NSA_22TransformInputIteratorIb7NonZeroIiEPilEENS0_5tupleIJPlS6_EEENSJ_IJSD_SD_EEES6_SK_JS6_EEE10hipError_tPvRmT3_T4_T5_T6_T7_T9_mT8_P12ihipStream_tbDpT10_ENKUlT_T0_E_clISt17integral_constantIbLb1EES15_IbLb0EEEEDaS11_S12_EUlS11_E_NS1_11comp_targetILNS1_3genE9ELNS1_11target_archE1100ELNS1_3gpuE3ELNS1_3repE0EEENS1_30default_config_static_selectorELNS0_4arch9wavefront6targetE0EEEvT1_
                                        ; -- End function
	.section	.AMDGPU.csdata,"",@progbits
; Kernel info:
; codeLenInByte = 6476
; NumSgprs: 23
; NumVgprs: 57
; ScratchSize: 0
; MemoryBound: 0
; FloatMode: 240
; IeeeMode: 1
; LDSByteSize: 6160 bytes/workgroup (compile time only)
; SGPRBlocks: 2
; VGPRBlocks: 7
; NumSGPRsForWavesPerEU: 23
; NumVGPRsForWavesPerEU: 57
; Occupancy: 16
; WaveLimiterHint : 1
; COMPUTE_PGM_RSRC2:SCRATCH_EN: 0
; COMPUTE_PGM_RSRC2:USER_SGPR: 15
; COMPUTE_PGM_RSRC2:TRAP_HANDLER: 0
; COMPUTE_PGM_RSRC2:TGID_X_EN: 1
; COMPUTE_PGM_RSRC2:TGID_Y_EN: 0
; COMPUTE_PGM_RSRC2:TGID_Z_EN: 0
; COMPUTE_PGM_RSRC2:TIDIG_COMP_CNT: 0
	.section	.text._ZN7rocprim17ROCPRIM_400000_NS6detail17trampoline_kernelINS0_14default_configENS1_25partition_config_selectorILNS1_17partition_subalgoE5ElNS0_10empty_typeEbEEZZNS1_14partition_implILS5_5ELb0ES3_mN6hipcub16HIPCUB_304000_NS21CountingInputIteratorIllEEPS6_NSA_22TransformInputIteratorIb7NonZeroIiEPilEENS0_5tupleIJPlS6_EEENSJ_IJSD_SD_EEES6_SK_JS6_EEE10hipError_tPvRmT3_T4_T5_T6_T7_T9_mT8_P12ihipStream_tbDpT10_ENKUlT_T0_E_clISt17integral_constantIbLb1EES15_IbLb0EEEEDaS11_S12_EUlS11_E_NS1_11comp_targetILNS1_3genE8ELNS1_11target_archE1030ELNS1_3gpuE2ELNS1_3repE0EEENS1_30default_config_static_selectorELNS0_4arch9wavefront6targetE0EEEvT1_,"axG",@progbits,_ZN7rocprim17ROCPRIM_400000_NS6detail17trampoline_kernelINS0_14default_configENS1_25partition_config_selectorILNS1_17partition_subalgoE5ElNS0_10empty_typeEbEEZZNS1_14partition_implILS5_5ELb0ES3_mN6hipcub16HIPCUB_304000_NS21CountingInputIteratorIllEEPS6_NSA_22TransformInputIteratorIb7NonZeroIiEPilEENS0_5tupleIJPlS6_EEENSJ_IJSD_SD_EEES6_SK_JS6_EEE10hipError_tPvRmT3_T4_T5_T6_T7_T9_mT8_P12ihipStream_tbDpT10_ENKUlT_T0_E_clISt17integral_constantIbLb1EES15_IbLb0EEEEDaS11_S12_EUlS11_E_NS1_11comp_targetILNS1_3genE8ELNS1_11target_archE1030ELNS1_3gpuE2ELNS1_3repE0EEENS1_30default_config_static_selectorELNS0_4arch9wavefront6targetE0EEEvT1_,comdat
	.protected	_ZN7rocprim17ROCPRIM_400000_NS6detail17trampoline_kernelINS0_14default_configENS1_25partition_config_selectorILNS1_17partition_subalgoE5ElNS0_10empty_typeEbEEZZNS1_14partition_implILS5_5ELb0ES3_mN6hipcub16HIPCUB_304000_NS21CountingInputIteratorIllEEPS6_NSA_22TransformInputIteratorIb7NonZeroIiEPilEENS0_5tupleIJPlS6_EEENSJ_IJSD_SD_EEES6_SK_JS6_EEE10hipError_tPvRmT3_T4_T5_T6_T7_T9_mT8_P12ihipStream_tbDpT10_ENKUlT_T0_E_clISt17integral_constantIbLb1EES15_IbLb0EEEEDaS11_S12_EUlS11_E_NS1_11comp_targetILNS1_3genE8ELNS1_11target_archE1030ELNS1_3gpuE2ELNS1_3repE0EEENS1_30default_config_static_selectorELNS0_4arch9wavefront6targetE0EEEvT1_ ; -- Begin function _ZN7rocprim17ROCPRIM_400000_NS6detail17trampoline_kernelINS0_14default_configENS1_25partition_config_selectorILNS1_17partition_subalgoE5ElNS0_10empty_typeEbEEZZNS1_14partition_implILS5_5ELb0ES3_mN6hipcub16HIPCUB_304000_NS21CountingInputIteratorIllEEPS6_NSA_22TransformInputIteratorIb7NonZeroIiEPilEENS0_5tupleIJPlS6_EEENSJ_IJSD_SD_EEES6_SK_JS6_EEE10hipError_tPvRmT3_T4_T5_T6_T7_T9_mT8_P12ihipStream_tbDpT10_ENKUlT_T0_E_clISt17integral_constantIbLb1EES15_IbLb0EEEEDaS11_S12_EUlS11_E_NS1_11comp_targetILNS1_3genE8ELNS1_11target_archE1030ELNS1_3gpuE2ELNS1_3repE0EEENS1_30default_config_static_selectorELNS0_4arch9wavefront6targetE0EEEvT1_
	.globl	_ZN7rocprim17ROCPRIM_400000_NS6detail17trampoline_kernelINS0_14default_configENS1_25partition_config_selectorILNS1_17partition_subalgoE5ElNS0_10empty_typeEbEEZZNS1_14partition_implILS5_5ELb0ES3_mN6hipcub16HIPCUB_304000_NS21CountingInputIteratorIllEEPS6_NSA_22TransformInputIteratorIb7NonZeroIiEPilEENS0_5tupleIJPlS6_EEENSJ_IJSD_SD_EEES6_SK_JS6_EEE10hipError_tPvRmT3_T4_T5_T6_T7_T9_mT8_P12ihipStream_tbDpT10_ENKUlT_T0_E_clISt17integral_constantIbLb1EES15_IbLb0EEEEDaS11_S12_EUlS11_E_NS1_11comp_targetILNS1_3genE8ELNS1_11target_archE1030ELNS1_3gpuE2ELNS1_3repE0EEENS1_30default_config_static_selectorELNS0_4arch9wavefront6targetE0EEEvT1_
	.p2align	8
	.type	_ZN7rocprim17ROCPRIM_400000_NS6detail17trampoline_kernelINS0_14default_configENS1_25partition_config_selectorILNS1_17partition_subalgoE5ElNS0_10empty_typeEbEEZZNS1_14partition_implILS5_5ELb0ES3_mN6hipcub16HIPCUB_304000_NS21CountingInputIteratorIllEEPS6_NSA_22TransformInputIteratorIb7NonZeroIiEPilEENS0_5tupleIJPlS6_EEENSJ_IJSD_SD_EEES6_SK_JS6_EEE10hipError_tPvRmT3_T4_T5_T6_T7_T9_mT8_P12ihipStream_tbDpT10_ENKUlT_T0_E_clISt17integral_constantIbLb1EES15_IbLb0EEEEDaS11_S12_EUlS11_E_NS1_11comp_targetILNS1_3genE8ELNS1_11target_archE1030ELNS1_3gpuE2ELNS1_3repE0EEENS1_30default_config_static_selectorELNS0_4arch9wavefront6targetE0EEEvT1_,@function
_ZN7rocprim17ROCPRIM_400000_NS6detail17trampoline_kernelINS0_14default_configENS1_25partition_config_selectorILNS1_17partition_subalgoE5ElNS0_10empty_typeEbEEZZNS1_14partition_implILS5_5ELb0ES3_mN6hipcub16HIPCUB_304000_NS21CountingInputIteratorIllEEPS6_NSA_22TransformInputIteratorIb7NonZeroIiEPilEENS0_5tupleIJPlS6_EEENSJ_IJSD_SD_EEES6_SK_JS6_EEE10hipError_tPvRmT3_T4_T5_T6_T7_T9_mT8_P12ihipStream_tbDpT10_ENKUlT_T0_E_clISt17integral_constantIbLb1EES15_IbLb0EEEEDaS11_S12_EUlS11_E_NS1_11comp_targetILNS1_3genE8ELNS1_11target_archE1030ELNS1_3gpuE2ELNS1_3repE0EEENS1_30default_config_static_selectorELNS0_4arch9wavefront6targetE0EEEvT1_: ; @_ZN7rocprim17ROCPRIM_400000_NS6detail17trampoline_kernelINS0_14default_configENS1_25partition_config_selectorILNS1_17partition_subalgoE5ElNS0_10empty_typeEbEEZZNS1_14partition_implILS5_5ELb0ES3_mN6hipcub16HIPCUB_304000_NS21CountingInputIteratorIllEEPS6_NSA_22TransformInputIteratorIb7NonZeroIiEPilEENS0_5tupleIJPlS6_EEENSJ_IJSD_SD_EEES6_SK_JS6_EEE10hipError_tPvRmT3_T4_T5_T6_T7_T9_mT8_P12ihipStream_tbDpT10_ENKUlT_T0_E_clISt17integral_constantIbLb1EES15_IbLb0EEEEDaS11_S12_EUlS11_E_NS1_11comp_targetILNS1_3genE8ELNS1_11target_archE1030ELNS1_3gpuE2ELNS1_3repE0EEENS1_30default_config_static_selectorELNS0_4arch9wavefront6targetE0EEEvT1_
; %bb.0:
	.section	.rodata,"a",@progbits
	.p2align	6, 0x0
	.amdhsa_kernel _ZN7rocprim17ROCPRIM_400000_NS6detail17trampoline_kernelINS0_14default_configENS1_25partition_config_selectorILNS1_17partition_subalgoE5ElNS0_10empty_typeEbEEZZNS1_14partition_implILS5_5ELb0ES3_mN6hipcub16HIPCUB_304000_NS21CountingInputIteratorIllEEPS6_NSA_22TransformInputIteratorIb7NonZeroIiEPilEENS0_5tupleIJPlS6_EEENSJ_IJSD_SD_EEES6_SK_JS6_EEE10hipError_tPvRmT3_T4_T5_T6_T7_T9_mT8_P12ihipStream_tbDpT10_ENKUlT_T0_E_clISt17integral_constantIbLb1EES15_IbLb0EEEEDaS11_S12_EUlS11_E_NS1_11comp_targetILNS1_3genE8ELNS1_11target_archE1030ELNS1_3gpuE2ELNS1_3repE0EEENS1_30default_config_static_selectorELNS0_4arch9wavefront6targetE0EEEvT1_
		.amdhsa_group_segment_fixed_size 0
		.amdhsa_private_segment_fixed_size 0
		.amdhsa_kernarg_size 120
		.amdhsa_user_sgpr_count 15
		.amdhsa_user_sgpr_dispatch_ptr 0
		.amdhsa_user_sgpr_queue_ptr 0
		.amdhsa_user_sgpr_kernarg_segment_ptr 1
		.amdhsa_user_sgpr_dispatch_id 0
		.amdhsa_user_sgpr_private_segment_size 0
		.amdhsa_wavefront_size32 1
		.amdhsa_uses_dynamic_stack 0
		.amdhsa_enable_private_segment 0
		.amdhsa_system_sgpr_workgroup_id_x 1
		.amdhsa_system_sgpr_workgroup_id_y 0
		.amdhsa_system_sgpr_workgroup_id_z 0
		.amdhsa_system_sgpr_workgroup_info 0
		.amdhsa_system_vgpr_workitem_id 0
		.amdhsa_next_free_vgpr 1
		.amdhsa_next_free_sgpr 1
		.amdhsa_reserve_vcc 0
		.amdhsa_float_round_mode_32 0
		.amdhsa_float_round_mode_16_64 0
		.amdhsa_float_denorm_mode_32 3
		.amdhsa_float_denorm_mode_16_64 3
		.amdhsa_dx10_clamp 1
		.amdhsa_ieee_mode 1
		.amdhsa_fp16_overflow 0
		.amdhsa_workgroup_processor_mode 1
		.amdhsa_memory_ordered 1
		.amdhsa_forward_progress 0
		.amdhsa_shared_vgpr_count 0
		.amdhsa_exception_fp_ieee_invalid_op 0
		.amdhsa_exception_fp_denorm_src 0
		.amdhsa_exception_fp_ieee_div_zero 0
		.amdhsa_exception_fp_ieee_overflow 0
		.amdhsa_exception_fp_ieee_underflow 0
		.amdhsa_exception_fp_ieee_inexact 0
		.amdhsa_exception_int_div_zero 0
	.end_amdhsa_kernel
	.section	.text._ZN7rocprim17ROCPRIM_400000_NS6detail17trampoline_kernelINS0_14default_configENS1_25partition_config_selectorILNS1_17partition_subalgoE5ElNS0_10empty_typeEbEEZZNS1_14partition_implILS5_5ELb0ES3_mN6hipcub16HIPCUB_304000_NS21CountingInputIteratorIllEEPS6_NSA_22TransformInputIteratorIb7NonZeroIiEPilEENS0_5tupleIJPlS6_EEENSJ_IJSD_SD_EEES6_SK_JS6_EEE10hipError_tPvRmT3_T4_T5_T6_T7_T9_mT8_P12ihipStream_tbDpT10_ENKUlT_T0_E_clISt17integral_constantIbLb1EES15_IbLb0EEEEDaS11_S12_EUlS11_E_NS1_11comp_targetILNS1_3genE8ELNS1_11target_archE1030ELNS1_3gpuE2ELNS1_3repE0EEENS1_30default_config_static_selectorELNS0_4arch9wavefront6targetE0EEEvT1_,"axG",@progbits,_ZN7rocprim17ROCPRIM_400000_NS6detail17trampoline_kernelINS0_14default_configENS1_25partition_config_selectorILNS1_17partition_subalgoE5ElNS0_10empty_typeEbEEZZNS1_14partition_implILS5_5ELb0ES3_mN6hipcub16HIPCUB_304000_NS21CountingInputIteratorIllEEPS6_NSA_22TransformInputIteratorIb7NonZeroIiEPilEENS0_5tupleIJPlS6_EEENSJ_IJSD_SD_EEES6_SK_JS6_EEE10hipError_tPvRmT3_T4_T5_T6_T7_T9_mT8_P12ihipStream_tbDpT10_ENKUlT_T0_E_clISt17integral_constantIbLb1EES15_IbLb0EEEEDaS11_S12_EUlS11_E_NS1_11comp_targetILNS1_3genE8ELNS1_11target_archE1030ELNS1_3gpuE2ELNS1_3repE0EEENS1_30default_config_static_selectorELNS0_4arch9wavefront6targetE0EEEvT1_,comdat
.Lfunc_end208:
	.size	_ZN7rocprim17ROCPRIM_400000_NS6detail17trampoline_kernelINS0_14default_configENS1_25partition_config_selectorILNS1_17partition_subalgoE5ElNS0_10empty_typeEbEEZZNS1_14partition_implILS5_5ELb0ES3_mN6hipcub16HIPCUB_304000_NS21CountingInputIteratorIllEEPS6_NSA_22TransformInputIteratorIb7NonZeroIiEPilEENS0_5tupleIJPlS6_EEENSJ_IJSD_SD_EEES6_SK_JS6_EEE10hipError_tPvRmT3_T4_T5_T6_T7_T9_mT8_P12ihipStream_tbDpT10_ENKUlT_T0_E_clISt17integral_constantIbLb1EES15_IbLb0EEEEDaS11_S12_EUlS11_E_NS1_11comp_targetILNS1_3genE8ELNS1_11target_archE1030ELNS1_3gpuE2ELNS1_3repE0EEENS1_30default_config_static_selectorELNS0_4arch9wavefront6targetE0EEEvT1_, .Lfunc_end208-_ZN7rocprim17ROCPRIM_400000_NS6detail17trampoline_kernelINS0_14default_configENS1_25partition_config_selectorILNS1_17partition_subalgoE5ElNS0_10empty_typeEbEEZZNS1_14partition_implILS5_5ELb0ES3_mN6hipcub16HIPCUB_304000_NS21CountingInputIteratorIllEEPS6_NSA_22TransformInputIteratorIb7NonZeroIiEPilEENS0_5tupleIJPlS6_EEENSJ_IJSD_SD_EEES6_SK_JS6_EEE10hipError_tPvRmT3_T4_T5_T6_T7_T9_mT8_P12ihipStream_tbDpT10_ENKUlT_T0_E_clISt17integral_constantIbLb1EES15_IbLb0EEEEDaS11_S12_EUlS11_E_NS1_11comp_targetILNS1_3genE8ELNS1_11target_archE1030ELNS1_3gpuE2ELNS1_3repE0EEENS1_30default_config_static_selectorELNS0_4arch9wavefront6targetE0EEEvT1_
                                        ; -- End function
	.section	.AMDGPU.csdata,"",@progbits
; Kernel info:
; codeLenInByte = 0
; NumSgprs: 0
; NumVgprs: 0
; ScratchSize: 0
; MemoryBound: 0
; FloatMode: 240
; IeeeMode: 1
; LDSByteSize: 0 bytes/workgroup (compile time only)
; SGPRBlocks: 0
; VGPRBlocks: 0
; NumSGPRsForWavesPerEU: 1
; NumVGPRsForWavesPerEU: 1
; Occupancy: 16
; WaveLimiterHint : 0
; COMPUTE_PGM_RSRC2:SCRATCH_EN: 0
; COMPUTE_PGM_RSRC2:USER_SGPR: 15
; COMPUTE_PGM_RSRC2:TRAP_HANDLER: 0
; COMPUTE_PGM_RSRC2:TGID_X_EN: 1
; COMPUTE_PGM_RSRC2:TGID_Y_EN: 0
; COMPUTE_PGM_RSRC2:TGID_Z_EN: 0
; COMPUTE_PGM_RSRC2:TIDIG_COMP_CNT: 0
	.section	.text._ZN7rocprim17ROCPRIM_400000_NS6detail17trampoline_kernelINS0_14default_configENS1_25partition_config_selectorILNS1_17partition_subalgoE5ElNS0_10empty_typeEbEEZZNS1_14partition_implILS5_5ELb0ES3_mN6hipcub16HIPCUB_304000_NS21CountingInputIteratorIllEEPS6_NSA_22TransformInputIteratorIb7NonZeroIiEPilEENS0_5tupleIJPlS6_EEENSJ_IJSD_SD_EEES6_SK_JS6_EEE10hipError_tPvRmT3_T4_T5_T6_T7_T9_mT8_P12ihipStream_tbDpT10_ENKUlT_T0_E_clISt17integral_constantIbLb0EES15_IbLb1EEEEDaS11_S12_EUlS11_E_NS1_11comp_targetILNS1_3genE0ELNS1_11target_archE4294967295ELNS1_3gpuE0ELNS1_3repE0EEENS1_30default_config_static_selectorELNS0_4arch9wavefront6targetE0EEEvT1_,"axG",@progbits,_ZN7rocprim17ROCPRIM_400000_NS6detail17trampoline_kernelINS0_14default_configENS1_25partition_config_selectorILNS1_17partition_subalgoE5ElNS0_10empty_typeEbEEZZNS1_14partition_implILS5_5ELb0ES3_mN6hipcub16HIPCUB_304000_NS21CountingInputIteratorIllEEPS6_NSA_22TransformInputIteratorIb7NonZeroIiEPilEENS0_5tupleIJPlS6_EEENSJ_IJSD_SD_EEES6_SK_JS6_EEE10hipError_tPvRmT3_T4_T5_T6_T7_T9_mT8_P12ihipStream_tbDpT10_ENKUlT_T0_E_clISt17integral_constantIbLb0EES15_IbLb1EEEEDaS11_S12_EUlS11_E_NS1_11comp_targetILNS1_3genE0ELNS1_11target_archE4294967295ELNS1_3gpuE0ELNS1_3repE0EEENS1_30default_config_static_selectorELNS0_4arch9wavefront6targetE0EEEvT1_,comdat
	.protected	_ZN7rocprim17ROCPRIM_400000_NS6detail17trampoline_kernelINS0_14default_configENS1_25partition_config_selectorILNS1_17partition_subalgoE5ElNS0_10empty_typeEbEEZZNS1_14partition_implILS5_5ELb0ES3_mN6hipcub16HIPCUB_304000_NS21CountingInputIteratorIllEEPS6_NSA_22TransformInputIteratorIb7NonZeroIiEPilEENS0_5tupleIJPlS6_EEENSJ_IJSD_SD_EEES6_SK_JS6_EEE10hipError_tPvRmT3_T4_T5_T6_T7_T9_mT8_P12ihipStream_tbDpT10_ENKUlT_T0_E_clISt17integral_constantIbLb0EES15_IbLb1EEEEDaS11_S12_EUlS11_E_NS1_11comp_targetILNS1_3genE0ELNS1_11target_archE4294967295ELNS1_3gpuE0ELNS1_3repE0EEENS1_30default_config_static_selectorELNS0_4arch9wavefront6targetE0EEEvT1_ ; -- Begin function _ZN7rocprim17ROCPRIM_400000_NS6detail17trampoline_kernelINS0_14default_configENS1_25partition_config_selectorILNS1_17partition_subalgoE5ElNS0_10empty_typeEbEEZZNS1_14partition_implILS5_5ELb0ES3_mN6hipcub16HIPCUB_304000_NS21CountingInputIteratorIllEEPS6_NSA_22TransformInputIteratorIb7NonZeroIiEPilEENS0_5tupleIJPlS6_EEENSJ_IJSD_SD_EEES6_SK_JS6_EEE10hipError_tPvRmT3_T4_T5_T6_T7_T9_mT8_P12ihipStream_tbDpT10_ENKUlT_T0_E_clISt17integral_constantIbLb0EES15_IbLb1EEEEDaS11_S12_EUlS11_E_NS1_11comp_targetILNS1_3genE0ELNS1_11target_archE4294967295ELNS1_3gpuE0ELNS1_3repE0EEENS1_30default_config_static_selectorELNS0_4arch9wavefront6targetE0EEEvT1_
	.globl	_ZN7rocprim17ROCPRIM_400000_NS6detail17trampoline_kernelINS0_14default_configENS1_25partition_config_selectorILNS1_17partition_subalgoE5ElNS0_10empty_typeEbEEZZNS1_14partition_implILS5_5ELb0ES3_mN6hipcub16HIPCUB_304000_NS21CountingInputIteratorIllEEPS6_NSA_22TransformInputIteratorIb7NonZeroIiEPilEENS0_5tupleIJPlS6_EEENSJ_IJSD_SD_EEES6_SK_JS6_EEE10hipError_tPvRmT3_T4_T5_T6_T7_T9_mT8_P12ihipStream_tbDpT10_ENKUlT_T0_E_clISt17integral_constantIbLb0EES15_IbLb1EEEEDaS11_S12_EUlS11_E_NS1_11comp_targetILNS1_3genE0ELNS1_11target_archE4294967295ELNS1_3gpuE0ELNS1_3repE0EEENS1_30default_config_static_selectorELNS0_4arch9wavefront6targetE0EEEvT1_
	.p2align	8
	.type	_ZN7rocprim17ROCPRIM_400000_NS6detail17trampoline_kernelINS0_14default_configENS1_25partition_config_selectorILNS1_17partition_subalgoE5ElNS0_10empty_typeEbEEZZNS1_14partition_implILS5_5ELb0ES3_mN6hipcub16HIPCUB_304000_NS21CountingInputIteratorIllEEPS6_NSA_22TransformInputIteratorIb7NonZeroIiEPilEENS0_5tupleIJPlS6_EEENSJ_IJSD_SD_EEES6_SK_JS6_EEE10hipError_tPvRmT3_T4_T5_T6_T7_T9_mT8_P12ihipStream_tbDpT10_ENKUlT_T0_E_clISt17integral_constantIbLb0EES15_IbLb1EEEEDaS11_S12_EUlS11_E_NS1_11comp_targetILNS1_3genE0ELNS1_11target_archE4294967295ELNS1_3gpuE0ELNS1_3repE0EEENS1_30default_config_static_selectorELNS0_4arch9wavefront6targetE0EEEvT1_,@function
_ZN7rocprim17ROCPRIM_400000_NS6detail17trampoline_kernelINS0_14default_configENS1_25partition_config_selectorILNS1_17partition_subalgoE5ElNS0_10empty_typeEbEEZZNS1_14partition_implILS5_5ELb0ES3_mN6hipcub16HIPCUB_304000_NS21CountingInputIteratorIllEEPS6_NSA_22TransformInputIteratorIb7NonZeroIiEPilEENS0_5tupleIJPlS6_EEENSJ_IJSD_SD_EEES6_SK_JS6_EEE10hipError_tPvRmT3_T4_T5_T6_T7_T9_mT8_P12ihipStream_tbDpT10_ENKUlT_T0_E_clISt17integral_constantIbLb0EES15_IbLb1EEEEDaS11_S12_EUlS11_E_NS1_11comp_targetILNS1_3genE0ELNS1_11target_archE4294967295ELNS1_3gpuE0ELNS1_3repE0EEENS1_30default_config_static_selectorELNS0_4arch9wavefront6targetE0EEEvT1_: ; @_ZN7rocprim17ROCPRIM_400000_NS6detail17trampoline_kernelINS0_14default_configENS1_25partition_config_selectorILNS1_17partition_subalgoE5ElNS0_10empty_typeEbEEZZNS1_14partition_implILS5_5ELb0ES3_mN6hipcub16HIPCUB_304000_NS21CountingInputIteratorIllEEPS6_NSA_22TransformInputIteratorIb7NonZeroIiEPilEENS0_5tupleIJPlS6_EEENSJ_IJSD_SD_EEES6_SK_JS6_EEE10hipError_tPvRmT3_T4_T5_T6_T7_T9_mT8_P12ihipStream_tbDpT10_ENKUlT_T0_E_clISt17integral_constantIbLb0EES15_IbLb1EEEEDaS11_S12_EUlS11_E_NS1_11comp_targetILNS1_3genE0ELNS1_11target_archE4294967295ELNS1_3gpuE0ELNS1_3repE0EEENS1_30default_config_static_selectorELNS0_4arch9wavefront6targetE0EEEvT1_
; %bb.0:
	.section	.rodata,"a",@progbits
	.p2align	6, 0x0
	.amdhsa_kernel _ZN7rocprim17ROCPRIM_400000_NS6detail17trampoline_kernelINS0_14default_configENS1_25partition_config_selectorILNS1_17partition_subalgoE5ElNS0_10empty_typeEbEEZZNS1_14partition_implILS5_5ELb0ES3_mN6hipcub16HIPCUB_304000_NS21CountingInputIteratorIllEEPS6_NSA_22TransformInputIteratorIb7NonZeroIiEPilEENS0_5tupleIJPlS6_EEENSJ_IJSD_SD_EEES6_SK_JS6_EEE10hipError_tPvRmT3_T4_T5_T6_T7_T9_mT8_P12ihipStream_tbDpT10_ENKUlT_T0_E_clISt17integral_constantIbLb0EES15_IbLb1EEEEDaS11_S12_EUlS11_E_NS1_11comp_targetILNS1_3genE0ELNS1_11target_archE4294967295ELNS1_3gpuE0ELNS1_3repE0EEENS1_30default_config_static_selectorELNS0_4arch9wavefront6targetE0EEEvT1_
		.amdhsa_group_segment_fixed_size 0
		.amdhsa_private_segment_fixed_size 0
		.amdhsa_kernarg_size 136
		.amdhsa_user_sgpr_count 15
		.amdhsa_user_sgpr_dispatch_ptr 0
		.amdhsa_user_sgpr_queue_ptr 0
		.amdhsa_user_sgpr_kernarg_segment_ptr 1
		.amdhsa_user_sgpr_dispatch_id 0
		.amdhsa_user_sgpr_private_segment_size 0
		.amdhsa_wavefront_size32 1
		.amdhsa_uses_dynamic_stack 0
		.amdhsa_enable_private_segment 0
		.amdhsa_system_sgpr_workgroup_id_x 1
		.amdhsa_system_sgpr_workgroup_id_y 0
		.amdhsa_system_sgpr_workgroup_id_z 0
		.amdhsa_system_sgpr_workgroup_info 0
		.amdhsa_system_vgpr_workitem_id 0
		.amdhsa_next_free_vgpr 1
		.amdhsa_next_free_sgpr 1
		.amdhsa_reserve_vcc 0
		.amdhsa_float_round_mode_32 0
		.amdhsa_float_round_mode_16_64 0
		.amdhsa_float_denorm_mode_32 3
		.amdhsa_float_denorm_mode_16_64 3
		.amdhsa_dx10_clamp 1
		.amdhsa_ieee_mode 1
		.amdhsa_fp16_overflow 0
		.amdhsa_workgroup_processor_mode 1
		.amdhsa_memory_ordered 1
		.amdhsa_forward_progress 0
		.amdhsa_shared_vgpr_count 0
		.amdhsa_exception_fp_ieee_invalid_op 0
		.amdhsa_exception_fp_denorm_src 0
		.amdhsa_exception_fp_ieee_div_zero 0
		.amdhsa_exception_fp_ieee_overflow 0
		.amdhsa_exception_fp_ieee_underflow 0
		.amdhsa_exception_fp_ieee_inexact 0
		.amdhsa_exception_int_div_zero 0
	.end_amdhsa_kernel
	.section	.text._ZN7rocprim17ROCPRIM_400000_NS6detail17trampoline_kernelINS0_14default_configENS1_25partition_config_selectorILNS1_17partition_subalgoE5ElNS0_10empty_typeEbEEZZNS1_14partition_implILS5_5ELb0ES3_mN6hipcub16HIPCUB_304000_NS21CountingInputIteratorIllEEPS6_NSA_22TransformInputIteratorIb7NonZeroIiEPilEENS0_5tupleIJPlS6_EEENSJ_IJSD_SD_EEES6_SK_JS6_EEE10hipError_tPvRmT3_T4_T5_T6_T7_T9_mT8_P12ihipStream_tbDpT10_ENKUlT_T0_E_clISt17integral_constantIbLb0EES15_IbLb1EEEEDaS11_S12_EUlS11_E_NS1_11comp_targetILNS1_3genE0ELNS1_11target_archE4294967295ELNS1_3gpuE0ELNS1_3repE0EEENS1_30default_config_static_selectorELNS0_4arch9wavefront6targetE0EEEvT1_,"axG",@progbits,_ZN7rocprim17ROCPRIM_400000_NS6detail17trampoline_kernelINS0_14default_configENS1_25partition_config_selectorILNS1_17partition_subalgoE5ElNS0_10empty_typeEbEEZZNS1_14partition_implILS5_5ELb0ES3_mN6hipcub16HIPCUB_304000_NS21CountingInputIteratorIllEEPS6_NSA_22TransformInputIteratorIb7NonZeroIiEPilEENS0_5tupleIJPlS6_EEENSJ_IJSD_SD_EEES6_SK_JS6_EEE10hipError_tPvRmT3_T4_T5_T6_T7_T9_mT8_P12ihipStream_tbDpT10_ENKUlT_T0_E_clISt17integral_constantIbLb0EES15_IbLb1EEEEDaS11_S12_EUlS11_E_NS1_11comp_targetILNS1_3genE0ELNS1_11target_archE4294967295ELNS1_3gpuE0ELNS1_3repE0EEENS1_30default_config_static_selectorELNS0_4arch9wavefront6targetE0EEEvT1_,comdat
.Lfunc_end209:
	.size	_ZN7rocprim17ROCPRIM_400000_NS6detail17trampoline_kernelINS0_14default_configENS1_25partition_config_selectorILNS1_17partition_subalgoE5ElNS0_10empty_typeEbEEZZNS1_14partition_implILS5_5ELb0ES3_mN6hipcub16HIPCUB_304000_NS21CountingInputIteratorIllEEPS6_NSA_22TransformInputIteratorIb7NonZeroIiEPilEENS0_5tupleIJPlS6_EEENSJ_IJSD_SD_EEES6_SK_JS6_EEE10hipError_tPvRmT3_T4_T5_T6_T7_T9_mT8_P12ihipStream_tbDpT10_ENKUlT_T0_E_clISt17integral_constantIbLb0EES15_IbLb1EEEEDaS11_S12_EUlS11_E_NS1_11comp_targetILNS1_3genE0ELNS1_11target_archE4294967295ELNS1_3gpuE0ELNS1_3repE0EEENS1_30default_config_static_selectorELNS0_4arch9wavefront6targetE0EEEvT1_, .Lfunc_end209-_ZN7rocprim17ROCPRIM_400000_NS6detail17trampoline_kernelINS0_14default_configENS1_25partition_config_selectorILNS1_17partition_subalgoE5ElNS0_10empty_typeEbEEZZNS1_14partition_implILS5_5ELb0ES3_mN6hipcub16HIPCUB_304000_NS21CountingInputIteratorIllEEPS6_NSA_22TransformInputIteratorIb7NonZeroIiEPilEENS0_5tupleIJPlS6_EEENSJ_IJSD_SD_EEES6_SK_JS6_EEE10hipError_tPvRmT3_T4_T5_T6_T7_T9_mT8_P12ihipStream_tbDpT10_ENKUlT_T0_E_clISt17integral_constantIbLb0EES15_IbLb1EEEEDaS11_S12_EUlS11_E_NS1_11comp_targetILNS1_3genE0ELNS1_11target_archE4294967295ELNS1_3gpuE0ELNS1_3repE0EEENS1_30default_config_static_selectorELNS0_4arch9wavefront6targetE0EEEvT1_
                                        ; -- End function
	.section	.AMDGPU.csdata,"",@progbits
; Kernel info:
; codeLenInByte = 0
; NumSgprs: 0
; NumVgprs: 0
; ScratchSize: 0
; MemoryBound: 0
; FloatMode: 240
; IeeeMode: 1
; LDSByteSize: 0 bytes/workgroup (compile time only)
; SGPRBlocks: 0
; VGPRBlocks: 0
; NumSGPRsForWavesPerEU: 1
; NumVGPRsForWavesPerEU: 1
; Occupancy: 16
; WaveLimiterHint : 0
; COMPUTE_PGM_RSRC2:SCRATCH_EN: 0
; COMPUTE_PGM_RSRC2:USER_SGPR: 15
; COMPUTE_PGM_RSRC2:TRAP_HANDLER: 0
; COMPUTE_PGM_RSRC2:TGID_X_EN: 1
; COMPUTE_PGM_RSRC2:TGID_Y_EN: 0
; COMPUTE_PGM_RSRC2:TGID_Z_EN: 0
; COMPUTE_PGM_RSRC2:TIDIG_COMP_CNT: 0
	.section	.text._ZN7rocprim17ROCPRIM_400000_NS6detail17trampoline_kernelINS0_14default_configENS1_25partition_config_selectorILNS1_17partition_subalgoE5ElNS0_10empty_typeEbEEZZNS1_14partition_implILS5_5ELb0ES3_mN6hipcub16HIPCUB_304000_NS21CountingInputIteratorIllEEPS6_NSA_22TransformInputIteratorIb7NonZeroIiEPilEENS0_5tupleIJPlS6_EEENSJ_IJSD_SD_EEES6_SK_JS6_EEE10hipError_tPvRmT3_T4_T5_T6_T7_T9_mT8_P12ihipStream_tbDpT10_ENKUlT_T0_E_clISt17integral_constantIbLb0EES15_IbLb1EEEEDaS11_S12_EUlS11_E_NS1_11comp_targetILNS1_3genE5ELNS1_11target_archE942ELNS1_3gpuE9ELNS1_3repE0EEENS1_30default_config_static_selectorELNS0_4arch9wavefront6targetE0EEEvT1_,"axG",@progbits,_ZN7rocprim17ROCPRIM_400000_NS6detail17trampoline_kernelINS0_14default_configENS1_25partition_config_selectorILNS1_17partition_subalgoE5ElNS0_10empty_typeEbEEZZNS1_14partition_implILS5_5ELb0ES3_mN6hipcub16HIPCUB_304000_NS21CountingInputIteratorIllEEPS6_NSA_22TransformInputIteratorIb7NonZeroIiEPilEENS0_5tupleIJPlS6_EEENSJ_IJSD_SD_EEES6_SK_JS6_EEE10hipError_tPvRmT3_T4_T5_T6_T7_T9_mT8_P12ihipStream_tbDpT10_ENKUlT_T0_E_clISt17integral_constantIbLb0EES15_IbLb1EEEEDaS11_S12_EUlS11_E_NS1_11comp_targetILNS1_3genE5ELNS1_11target_archE942ELNS1_3gpuE9ELNS1_3repE0EEENS1_30default_config_static_selectorELNS0_4arch9wavefront6targetE0EEEvT1_,comdat
	.protected	_ZN7rocprim17ROCPRIM_400000_NS6detail17trampoline_kernelINS0_14default_configENS1_25partition_config_selectorILNS1_17partition_subalgoE5ElNS0_10empty_typeEbEEZZNS1_14partition_implILS5_5ELb0ES3_mN6hipcub16HIPCUB_304000_NS21CountingInputIteratorIllEEPS6_NSA_22TransformInputIteratorIb7NonZeroIiEPilEENS0_5tupleIJPlS6_EEENSJ_IJSD_SD_EEES6_SK_JS6_EEE10hipError_tPvRmT3_T4_T5_T6_T7_T9_mT8_P12ihipStream_tbDpT10_ENKUlT_T0_E_clISt17integral_constantIbLb0EES15_IbLb1EEEEDaS11_S12_EUlS11_E_NS1_11comp_targetILNS1_3genE5ELNS1_11target_archE942ELNS1_3gpuE9ELNS1_3repE0EEENS1_30default_config_static_selectorELNS0_4arch9wavefront6targetE0EEEvT1_ ; -- Begin function _ZN7rocprim17ROCPRIM_400000_NS6detail17trampoline_kernelINS0_14default_configENS1_25partition_config_selectorILNS1_17partition_subalgoE5ElNS0_10empty_typeEbEEZZNS1_14partition_implILS5_5ELb0ES3_mN6hipcub16HIPCUB_304000_NS21CountingInputIteratorIllEEPS6_NSA_22TransformInputIteratorIb7NonZeroIiEPilEENS0_5tupleIJPlS6_EEENSJ_IJSD_SD_EEES6_SK_JS6_EEE10hipError_tPvRmT3_T4_T5_T6_T7_T9_mT8_P12ihipStream_tbDpT10_ENKUlT_T0_E_clISt17integral_constantIbLb0EES15_IbLb1EEEEDaS11_S12_EUlS11_E_NS1_11comp_targetILNS1_3genE5ELNS1_11target_archE942ELNS1_3gpuE9ELNS1_3repE0EEENS1_30default_config_static_selectorELNS0_4arch9wavefront6targetE0EEEvT1_
	.globl	_ZN7rocprim17ROCPRIM_400000_NS6detail17trampoline_kernelINS0_14default_configENS1_25partition_config_selectorILNS1_17partition_subalgoE5ElNS0_10empty_typeEbEEZZNS1_14partition_implILS5_5ELb0ES3_mN6hipcub16HIPCUB_304000_NS21CountingInputIteratorIllEEPS6_NSA_22TransformInputIteratorIb7NonZeroIiEPilEENS0_5tupleIJPlS6_EEENSJ_IJSD_SD_EEES6_SK_JS6_EEE10hipError_tPvRmT3_T4_T5_T6_T7_T9_mT8_P12ihipStream_tbDpT10_ENKUlT_T0_E_clISt17integral_constantIbLb0EES15_IbLb1EEEEDaS11_S12_EUlS11_E_NS1_11comp_targetILNS1_3genE5ELNS1_11target_archE942ELNS1_3gpuE9ELNS1_3repE0EEENS1_30default_config_static_selectorELNS0_4arch9wavefront6targetE0EEEvT1_
	.p2align	8
	.type	_ZN7rocprim17ROCPRIM_400000_NS6detail17trampoline_kernelINS0_14default_configENS1_25partition_config_selectorILNS1_17partition_subalgoE5ElNS0_10empty_typeEbEEZZNS1_14partition_implILS5_5ELb0ES3_mN6hipcub16HIPCUB_304000_NS21CountingInputIteratorIllEEPS6_NSA_22TransformInputIteratorIb7NonZeroIiEPilEENS0_5tupleIJPlS6_EEENSJ_IJSD_SD_EEES6_SK_JS6_EEE10hipError_tPvRmT3_T4_T5_T6_T7_T9_mT8_P12ihipStream_tbDpT10_ENKUlT_T0_E_clISt17integral_constantIbLb0EES15_IbLb1EEEEDaS11_S12_EUlS11_E_NS1_11comp_targetILNS1_3genE5ELNS1_11target_archE942ELNS1_3gpuE9ELNS1_3repE0EEENS1_30default_config_static_selectorELNS0_4arch9wavefront6targetE0EEEvT1_,@function
_ZN7rocprim17ROCPRIM_400000_NS6detail17trampoline_kernelINS0_14default_configENS1_25partition_config_selectorILNS1_17partition_subalgoE5ElNS0_10empty_typeEbEEZZNS1_14partition_implILS5_5ELb0ES3_mN6hipcub16HIPCUB_304000_NS21CountingInputIteratorIllEEPS6_NSA_22TransformInputIteratorIb7NonZeroIiEPilEENS0_5tupleIJPlS6_EEENSJ_IJSD_SD_EEES6_SK_JS6_EEE10hipError_tPvRmT3_T4_T5_T6_T7_T9_mT8_P12ihipStream_tbDpT10_ENKUlT_T0_E_clISt17integral_constantIbLb0EES15_IbLb1EEEEDaS11_S12_EUlS11_E_NS1_11comp_targetILNS1_3genE5ELNS1_11target_archE942ELNS1_3gpuE9ELNS1_3repE0EEENS1_30default_config_static_selectorELNS0_4arch9wavefront6targetE0EEEvT1_: ; @_ZN7rocprim17ROCPRIM_400000_NS6detail17trampoline_kernelINS0_14default_configENS1_25partition_config_selectorILNS1_17partition_subalgoE5ElNS0_10empty_typeEbEEZZNS1_14partition_implILS5_5ELb0ES3_mN6hipcub16HIPCUB_304000_NS21CountingInputIteratorIllEEPS6_NSA_22TransformInputIteratorIb7NonZeroIiEPilEENS0_5tupleIJPlS6_EEENSJ_IJSD_SD_EEES6_SK_JS6_EEE10hipError_tPvRmT3_T4_T5_T6_T7_T9_mT8_P12ihipStream_tbDpT10_ENKUlT_T0_E_clISt17integral_constantIbLb0EES15_IbLb1EEEEDaS11_S12_EUlS11_E_NS1_11comp_targetILNS1_3genE5ELNS1_11target_archE942ELNS1_3gpuE9ELNS1_3repE0EEENS1_30default_config_static_selectorELNS0_4arch9wavefront6targetE0EEEvT1_
; %bb.0:
	.section	.rodata,"a",@progbits
	.p2align	6, 0x0
	.amdhsa_kernel _ZN7rocprim17ROCPRIM_400000_NS6detail17trampoline_kernelINS0_14default_configENS1_25partition_config_selectorILNS1_17partition_subalgoE5ElNS0_10empty_typeEbEEZZNS1_14partition_implILS5_5ELb0ES3_mN6hipcub16HIPCUB_304000_NS21CountingInputIteratorIllEEPS6_NSA_22TransformInputIteratorIb7NonZeroIiEPilEENS0_5tupleIJPlS6_EEENSJ_IJSD_SD_EEES6_SK_JS6_EEE10hipError_tPvRmT3_T4_T5_T6_T7_T9_mT8_P12ihipStream_tbDpT10_ENKUlT_T0_E_clISt17integral_constantIbLb0EES15_IbLb1EEEEDaS11_S12_EUlS11_E_NS1_11comp_targetILNS1_3genE5ELNS1_11target_archE942ELNS1_3gpuE9ELNS1_3repE0EEENS1_30default_config_static_selectorELNS0_4arch9wavefront6targetE0EEEvT1_
		.amdhsa_group_segment_fixed_size 0
		.amdhsa_private_segment_fixed_size 0
		.amdhsa_kernarg_size 136
		.amdhsa_user_sgpr_count 15
		.amdhsa_user_sgpr_dispatch_ptr 0
		.amdhsa_user_sgpr_queue_ptr 0
		.amdhsa_user_sgpr_kernarg_segment_ptr 1
		.amdhsa_user_sgpr_dispatch_id 0
		.amdhsa_user_sgpr_private_segment_size 0
		.amdhsa_wavefront_size32 1
		.amdhsa_uses_dynamic_stack 0
		.amdhsa_enable_private_segment 0
		.amdhsa_system_sgpr_workgroup_id_x 1
		.amdhsa_system_sgpr_workgroup_id_y 0
		.amdhsa_system_sgpr_workgroup_id_z 0
		.amdhsa_system_sgpr_workgroup_info 0
		.amdhsa_system_vgpr_workitem_id 0
		.amdhsa_next_free_vgpr 1
		.amdhsa_next_free_sgpr 1
		.amdhsa_reserve_vcc 0
		.amdhsa_float_round_mode_32 0
		.amdhsa_float_round_mode_16_64 0
		.amdhsa_float_denorm_mode_32 3
		.amdhsa_float_denorm_mode_16_64 3
		.amdhsa_dx10_clamp 1
		.amdhsa_ieee_mode 1
		.amdhsa_fp16_overflow 0
		.amdhsa_workgroup_processor_mode 1
		.amdhsa_memory_ordered 1
		.amdhsa_forward_progress 0
		.amdhsa_shared_vgpr_count 0
		.amdhsa_exception_fp_ieee_invalid_op 0
		.amdhsa_exception_fp_denorm_src 0
		.amdhsa_exception_fp_ieee_div_zero 0
		.amdhsa_exception_fp_ieee_overflow 0
		.amdhsa_exception_fp_ieee_underflow 0
		.amdhsa_exception_fp_ieee_inexact 0
		.amdhsa_exception_int_div_zero 0
	.end_amdhsa_kernel
	.section	.text._ZN7rocprim17ROCPRIM_400000_NS6detail17trampoline_kernelINS0_14default_configENS1_25partition_config_selectorILNS1_17partition_subalgoE5ElNS0_10empty_typeEbEEZZNS1_14partition_implILS5_5ELb0ES3_mN6hipcub16HIPCUB_304000_NS21CountingInputIteratorIllEEPS6_NSA_22TransformInputIteratorIb7NonZeroIiEPilEENS0_5tupleIJPlS6_EEENSJ_IJSD_SD_EEES6_SK_JS6_EEE10hipError_tPvRmT3_T4_T5_T6_T7_T9_mT8_P12ihipStream_tbDpT10_ENKUlT_T0_E_clISt17integral_constantIbLb0EES15_IbLb1EEEEDaS11_S12_EUlS11_E_NS1_11comp_targetILNS1_3genE5ELNS1_11target_archE942ELNS1_3gpuE9ELNS1_3repE0EEENS1_30default_config_static_selectorELNS0_4arch9wavefront6targetE0EEEvT1_,"axG",@progbits,_ZN7rocprim17ROCPRIM_400000_NS6detail17trampoline_kernelINS0_14default_configENS1_25partition_config_selectorILNS1_17partition_subalgoE5ElNS0_10empty_typeEbEEZZNS1_14partition_implILS5_5ELb0ES3_mN6hipcub16HIPCUB_304000_NS21CountingInputIteratorIllEEPS6_NSA_22TransformInputIteratorIb7NonZeroIiEPilEENS0_5tupleIJPlS6_EEENSJ_IJSD_SD_EEES6_SK_JS6_EEE10hipError_tPvRmT3_T4_T5_T6_T7_T9_mT8_P12ihipStream_tbDpT10_ENKUlT_T0_E_clISt17integral_constantIbLb0EES15_IbLb1EEEEDaS11_S12_EUlS11_E_NS1_11comp_targetILNS1_3genE5ELNS1_11target_archE942ELNS1_3gpuE9ELNS1_3repE0EEENS1_30default_config_static_selectorELNS0_4arch9wavefront6targetE0EEEvT1_,comdat
.Lfunc_end210:
	.size	_ZN7rocprim17ROCPRIM_400000_NS6detail17trampoline_kernelINS0_14default_configENS1_25partition_config_selectorILNS1_17partition_subalgoE5ElNS0_10empty_typeEbEEZZNS1_14partition_implILS5_5ELb0ES3_mN6hipcub16HIPCUB_304000_NS21CountingInputIteratorIllEEPS6_NSA_22TransformInputIteratorIb7NonZeroIiEPilEENS0_5tupleIJPlS6_EEENSJ_IJSD_SD_EEES6_SK_JS6_EEE10hipError_tPvRmT3_T4_T5_T6_T7_T9_mT8_P12ihipStream_tbDpT10_ENKUlT_T0_E_clISt17integral_constantIbLb0EES15_IbLb1EEEEDaS11_S12_EUlS11_E_NS1_11comp_targetILNS1_3genE5ELNS1_11target_archE942ELNS1_3gpuE9ELNS1_3repE0EEENS1_30default_config_static_selectorELNS0_4arch9wavefront6targetE0EEEvT1_, .Lfunc_end210-_ZN7rocprim17ROCPRIM_400000_NS6detail17trampoline_kernelINS0_14default_configENS1_25partition_config_selectorILNS1_17partition_subalgoE5ElNS0_10empty_typeEbEEZZNS1_14partition_implILS5_5ELb0ES3_mN6hipcub16HIPCUB_304000_NS21CountingInputIteratorIllEEPS6_NSA_22TransformInputIteratorIb7NonZeroIiEPilEENS0_5tupleIJPlS6_EEENSJ_IJSD_SD_EEES6_SK_JS6_EEE10hipError_tPvRmT3_T4_T5_T6_T7_T9_mT8_P12ihipStream_tbDpT10_ENKUlT_T0_E_clISt17integral_constantIbLb0EES15_IbLb1EEEEDaS11_S12_EUlS11_E_NS1_11comp_targetILNS1_3genE5ELNS1_11target_archE942ELNS1_3gpuE9ELNS1_3repE0EEENS1_30default_config_static_selectorELNS0_4arch9wavefront6targetE0EEEvT1_
                                        ; -- End function
	.section	.AMDGPU.csdata,"",@progbits
; Kernel info:
; codeLenInByte = 0
; NumSgprs: 0
; NumVgprs: 0
; ScratchSize: 0
; MemoryBound: 0
; FloatMode: 240
; IeeeMode: 1
; LDSByteSize: 0 bytes/workgroup (compile time only)
; SGPRBlocks: 0
; VGPRBlocks: 0
; NumSGPRsForWavesPerEU: 1
; NumVGPRsForWavesPerEU: 1
; Occupancy: 16
; WaveLimiterHint : 0
; COMPUTE_PGM_RSRC2:SCRATCH_EN: 0
; COMPUTE_PGM_RSRC2:USER_SGPR: 15
; COMPUTE_PGM_RSRC2:TRAP_HANDLER: 0
; COMPUTE_PGM_RSRC2:TGID_X_EN: 1
; COMPUTE_PGM_RSRC2:TGID_Y_EN: 0
; COMPUTE_PGM_RSRC2:TGID_Z_EN: 0
; COMPUTE_PGM_RSRC2:TIDIG_COMP_CNT: 0
	.section	.text._ZN7rocprim17ROCPRIM_400000_NS6detail17trampoline_kernelINS0_14default_configENS1_25partition_config_selectorILNS1_17partition_subalgoE5ElNS0_10empty_typeEbEEZZNS1_14partition_implILS5_5ELb0ES3_mN6hipcub16HIPCUB_304000_NS21CountingInputIteratorIllEEPS6_NSA_22TransformInputIteratorIb7NonZeroIiEPilEENS0_5tupleIJPlS6_EEENSJ_IJSD_SD_EEES6_SK_JS6_EEE10hipError_tPvRmT3_T4_T5_T6_T7_T9_mT8_P12ihipStream_tbDpT10_ENKUlT_T0_E_clISt17integral_constantIbLb0EES15_IbLb1EEEEDaS11_S12_EUlS11_E_NS1_11comp_targetILNS1_3genE4ELNS1_11target_archE910ELNS1_3gpuE8ELNS1_3repE0EEENS1_30default_config_static_selectorELNS0_4arch9wavefront6targetE0EEEvT1_,"axG",@progbits,_ZN7rocprim17ROCPRIM_400000_NS6detail17trampoline_kernelINS0_14default_configENS1_25partition_config_selectorILNS1_17partition_subalgoE5ElNS0_10empty_typeEbEEZZNS1_14partition_implILS5_5ELb0ES3_mN6hipcub16HIPCUB_304000_NS21CountingInputIteratorIllEEPS6_NSA_22TransformInputIteratorIb7NonZeroIiEPilEENS0_5tupleIJPlS6_EEENSJ_IJSD_SD_EEES6_SK_JS6_EEE10hipError_tPvRmT3_T4_T5_T6_T7_T9_mT8_P12ihipStream_tbDpT10_ENKUlT_T0_E_clISt17integral_constantIbLb0EES15_IbLb1EEEEDaS11_S12_EUlS11_E_NS1_11comp_targetILNS1_3genE4ELNS1_11target_archE910ELNS1_3gpuE8ELNS1_3repE0EEENS1_30default_config_static_selectorELNS0_4arch9wavefront6targetE0EEEvT1_,comdat
	.protected	_ZN7rocprim17ROCPRIM_400000_NS6detail17trampoline_kernelINS0_14default_configENS1_25partition_config_selectorILNS1_17partition_subalgoE5ElNS0_10empty_typeEbEEZZNS1_14partition_implILS5_5ELb0ES3_mN6hipcub16HIPCUB_304000_NS21CountingInputIteratorIllEEPS6_NSA_22TransformInputIteratorIb7NonZeroIiEPilEENS0_5tupleIJPlS6_EEENSJ_IJSD_SD_EEES6_SK_JS6_EEE10hipError_tPvRmT3_T4_T5_T6_T7_T9_mT8_P12ihipStream_tbDpT10_ENKUlT_T0_E_clISt17integral_constantIbLb0EES15_IbLb1EEEEDaS11_S12_EUlS11_E_NS1_11comp_targetILNS1_3genE4ELNS1_11target_archE910ELNS1_3gpuE8ELNS1_3repE0EEENS1_30default_config_static_selectorELNS0_4arch9wavefront6targetE0EEEvT1_ ; -- Begin function _ZN7rocprim17ROCPRIM_400000_NS6detail17trampoline_kernelINS0_14default_configENS1_25partition_config_selectorILNS1_17partition_subalgoE5ElNS0_10empty_typeEbEEZZNS1_14partition_implILS5_5ELb0ES3_mN6hipcub16HIPCUB_304000_NS21CountingInputIteratorIllEEPS6_NSA_22TransformInputIteratorIb7NonZeroIiEPilEENS0_5tupleIJPlS6_EEENSJ_IJSD_SD_EEES6_SK_JS6_EEE10hipError_tPvRmT3_T4_T5_T6_T7_T9_mT8_P12ihipStream_tbDpT10_ENKUlT_T0_E_clISt17integral_constantIbLb0EES15_IbLb1EEEEDaS11_S12_EUlS11_E_NS1_11comp_targetILNS1_3genE4ELNS1_11target_archE910ELNS1_3gpuE8ELNS1_3repE0EEENS1_30default_config_static_selectorELNS0_4arch9wavefront6targetE0EEEvT1_
	.globl	_ZN7rocprim17ROCPRIM_400000_NS6detail17trampoline_kernelINS0_14default_configENS1_25partition_config_selectorILNS1_17partition_subalgoE5ElNS0_10empty_typeEbEEZZNS1_14partition_implILS5_5ELb0ES3_mN6hipcub16HIPCUB_304000_NS21CountingInputIteratorIllEEPS6_NSA_22TransformInputIteratorIb7NonZeroIiEPilEENS0_5tupleIJPlS6_EEENSJ_IJSD_SD_EEES6_SK_JS6_EEE10hipError_tPvRmT3_T4_T5_T6_T7_T9_mT8_P12ihipStream_tbDpT10_ENKUlT_T0_E_clISt17integral_constantIbLb0EES15_IbLb1EEEEDaS11_S12_EUlS11_E_NS1_11comp_targetILNS1_3genE4ELNS1_11target_archE910ELNS1_3gpuE8ELNS1_3repE0EEENS1_30default_config_static_selectorELNS0_4arch9wavefront6targetE0EEEvT1_
	.p2align	8
	.type	_ZN7rocprim17ROCPRIM_400000_NS6detail17trampoline_kernelINS0_14default_configENS1_25partition_config_selectorILNS1_17partition_subalgoE5ElNS0_10empty_typeEbEEZZNS1_14partition_implILS5_5ELb0ES3_mN6hipcub16HIPCUB_304000_NS21CountingInputIteratorIllEEPS6_NSA_22TransformInputIteratorIb7NonZeroIiEPilEENS0_5tupleIJPlS6_EEENSJ_IJSD_SD_EEES6_SK_JS6_EEE10hipError_tPvRmT3_T4_T5_T6_T7_T9_mT8_P12ihipStream_tbDpT10_ENKUlT_T0_E_clISt17integral_constantIbLb0EES15_IbLb1EEEEDaS11_S12_EUlS11_E_NS1_11comp_targetILNS1_3genE4ELNS1_11target_archE910ELNS1_3gpuE8ELNS1_3repE0EEENS1_30default_config_static_selectorELNS0_4arch9wavefront6targetE0EEEvT1_,@function
_ZN7rocprim17ROCPRIM_400000_NS6detail17trampoline_kernelINS0_14default_configENS1_25partition_config_selectorILNS1_17partition_subalgoE5ElNS0_10empty_typeEbEEZZNS1_14partition_implILS5_5ELb0ES3_mN6hipcub16HIPCUB_304000_NS21CountingInputIteratorIllEEPS6_NSA_22TransformInputIteratorIb7NonZeroIiEPilEENS0_5tupleIJPlS6_EEENSJ_IJSD_SD_EEES6_SK_JS6_EEE10hipError_tPvRmT3_T4_T5_T6_T7_T9_mT8_P12ihipStream_tbDpT10_ENKUlT_T0_E_clISt17integral_constantIbLb0EES15_IbLb1EEEEDaS11_S12_EUlS11_E_NS1_11comp_targetILNS1_3genE4ELNS1_11target_archE910ELNS1_3gpuE8ELNS1_3repE0EEENS1_30default_config_static_selectorELNS0_4arch9wavefront6targetE0EEEvT1_: ; @_ZN7rocprim17ROCPRIM_400000_NS6detail17trampoline_kernelINS0_14default_configENS1_25partition_config_selectorILNS1_17partition_subalgoE5ElNS0_10empty_typeEbEEZZNS1_14partition_implILS5_5ELb0ES3_mN6hipcub16HIPCUB_304000_NS21CountingInputIteratorIllEEPS6_NSA_22TransformInputIteratorIb7NonZeroIiEPilEENS0_5tupleIJPlS6_EEENSJ_IJSD_SD_EEES6_SK_JS6_EEE10hipError_tPvRmT3_T4_T5_T6_T7_T9_mT8_P12ihipStream_tbDpT10_ENKUlT_T0_E_clISt17integral_constantIbLb0EES15_IbLb1EEEEDaS11_S12_EUlS11_E_NS1_11comp_targetILNS1_3genE4ELNS1_11target_archE910ELNS1_3gpuE8ELNS1_3repE0EEENS1_30default_config_static_selectorELNS0_4arch9wavefront6targetE0EEEvT1_
; %bb.0:
	.section	.rodata,"a",@progbits
	.p2align	6, 0x0
	.amdhsa_kernel _ZN7rocprim17ROCPRIM_400000_NS6detail17trampoline_kernelINS0_14default_configENS1_25partition_config_selectorILNS1_17partition_subalgoE5ElNS0_10empty_typeEbEEZZNS1_14partition_implILS5_5ELb0ES3_mN6hipcub16HIPCUB_304000_NS21CountingInputIteratorIllEEPS6_NSA_22TransformInputIteratorIb7NonZeroIiEPilEENS0_5tupleIJPlS6_EEENSJ_IJSD_SD_EEES6_SK_JS6_EEE10hipError_tPvRmT3_T4_T5_T6_T7_T9_mT8_P12ihipStream_tbDpT10_ENKUlT_T0_E_clISt17integral_constantIbLb0EES15_IbLb1EEEEDaS11_S12_EUlS11_E_NS1_11comp_targetILNS1_3genE4ELNS1_11target_archE910ELNS1_3gpuE8ELNS1_3repE0EEENS1_30default_config_static_selectorELNS0_4arch9wavefront6targetE0EEEvT1_
		.amdhsa_group_segment_fixed_size 0
		.amdhsa_private_segment_fixed_size 0
		.amdhsa_kernarg_size 136
		.amdhsa_user_sgpr_count 15
		.amdhsa_user_sgpr_dispatch_ptr 0
		.amdhsa_user_sgpr_queue_ptr 0
		.amdhsa_user_sgpr_kernarg_segment_ptr 1
		.amdhsa_user_sgpr_dispatch_id 0
		.amdhsa_user_sgpr_private_segment_size 0
		.amdhsa_wavefront_size32 1
		.amdhsa_uses_dynamic_stack 0
		.amdhsa_enable_private_segment 0
		.amdhsa_system_sgpr_workgroup_id_x 1
		.amdhsa_system_sgpr_workgroup_id_y 0
		.amdhsa_system_sgpr_workgroup_id_z 0
		.amdhsa_system_sgpr_workgroup_info 0
		.amdhsa_system_vgpr_workitem_id 0
		.amdhsa_next_free_vgpr 1
		.amdhsa_next_free_sgpr 1
		.amdhsa_reserve_vcc 0
		.amdhsa_float_round_mode_32 0
		.amdhsa_float_round_mode_16_64 0
		.amdhsa_float_denorm_mode_32 3
		.amdhsa_float_denorm_mode_16_64 3
		.amdhsa_dx10_clamp 1
		.amdhsa_ieee_mode 1
		.amdhsa_fp16_overflow 0
		.amdhsa_workgroup_processor_mode 1
		.amdhsa_memory_ordered 1
		.amdhsa_forward_progress 0
		.amdhsa_shared_vgpr_count 0
		.amdhsa_exception_fp_ieee_invalid_op 0
		.amdhsa_exception_fp_denorm_src 0
		.amdhsa_exception_fp_ieee_div_zero 0
		.amdhsa_exception_fp_ieee_overflow 0
		.amdhsa_exception_fp_ieee_underflow 0
		.amdhsa_exception_fp_ieee_inexact 0
		.amdhsa_exception_int_div_zero 0
	.end_amdhsa_kernel
	.section	.text._ZN7rocprim17ROCPRIM_400000_NS6detail17trampoline_kernelINS0_14default_configENS1_25partition_config_selectorILNS1_17partition_subalgoE5ElNS0_10empty_typeEbEEZZNS1_14partition_implILS5_5ELb0ES3_mN6hipcub16HIPCUB_304000_NS21CountingInputIteratorIllEEPS6_NSA_22TransformInputIteratorIb7NonZeroIiEPilEENS0_5tupleIJPlS6_EEENSJ_IJSD_SD_EEES6_SK_JS6_EEE10hipError_tPvRmT3_T4_T5_T6_T7_T9_mT8_P12ihipStream_tbDpT10_ENKUlT_T0_E_clISt17integral_constantIbLb0EES15_IbLb1EEEEDaS11_S12_EUlS11_E_NS1_11comp_targetILNS1_3genE4ELNS1_11target_archE910ELNS1_3gpuE8ELNS1_3repE0EEENS1_30default_config_static_selectorELNS0_4arch9wavefront6targetE0EEEvT1_,"axG",@progbits,_ZN7rocprim17ROCPRIM_400000_NS6detail17trampoline_kernelINS0_14default_configENS1_25partition_config_selectorILNS1_17partition_subalgoE5ElNS0_10empty_typeEbEEZZNS1_14partition_implILS5_5ELb0ES3_mN6hipcub16HIPCUB_304000_NS21CountingInputIteratorIllEEPS6_NSA_22TransformInputIteratorIb7NonZeroIiEPilEENS0_5tupleIJPlS6_EEENSJ_IJSD_SD_EEES6_SK_JS6_EEE10hipError_tPvRmT3_T4_T5_T6_T7_T9_mT8_P12ihipStream_tbDpT10_ENKUlT_T0_E_clISt17integral_constantIbLb0EES15_IbLb1EEEEDaS11_S12_EUlS11_E_NS1_11comp_targetILNS1_3genE4ELNS1_11target_archE910ELNS1_3gpuE8ELNS1_3repE0EEENS1_30default_config_static_selectorELNS0_4arch9wavefront6targetE0EEEvT1_,comdat
.Lfunc_end211:
	.size	_ZN7rocprim17ROCPRIM_400000_NS6detail17trampoline_kernelINS0_14default_configENS1_25partition_config_selectorILNS1_17partition_subalgoE5ElNS0_10empty_typeEbEEZZNS1_14partition_implILS5_5ELb0ES3_mN6hipcub16HIPCUB_304000_NS21CountingInputIteratorIllEEPS6_NSA_22TransformInputIteratorIb7NonZeroIiEPilEENS0_5tupleIJPlS6_EEENSJ_IJSD_SD_EEES6_SK_JS6_EEE10hipError_tPvRmT3_T4_T5_T6_T7_T9_mT8_P12ihipStream_tbDpT10_ENKUlT_T0_E_clISt17integral_constantIbLb0EES15_IbLb1EEEEDaS11_S12_EUlS11_E_NS1_11comp_targetILNS1_3genE4ELNS1_11target_archE910ELNS1_3gpuE8ELNS1_3repE0EEENS1_30default_config_static_selectorELNS0_4arch9wavefront6targetE0EEEvT1_, .Lfunc_end211-_ZN7rocprim17ROCPRIM_400000_NS6detail17trampoline_kernelINS0_14default_configENS1_25partition_config_selectorILNS1_17partition_subalgoE5ElNS0_10empty_typeEbEEZZNS1_14partition_implILS5_5ELb0ES3_mN6hipcub16HIPCUB_304000_NS21CountingInputIteratorIllEEPS6_NSA_22TransformInputIteratorIb7NonZeroIiEPilEENS0_5tupleIJPlS6_EEENSJ_IJSD_SD_EEES6_SK_JS6_EEE10hipError_tPvRmT3_T4_T5_T6_T7_T9_mT8_P12ihipStream_tbDpT10_ENKUlT_T0_E_clISt17integral_constantIbLb0EES15_IbLb1EEEEDaS11_S12_EUlS11_E_NS1_11comp_targetILNS1_3genE4ELNS1_11target_archE910ELNS1_3gpuE8ELNS1_3repE0EEENS1_30default_config_static_selectorELNS0_4arch9wavefront6targetE0EEEvT1_
                                        ; -- End function
	.section	.AMDGPU.csdata,"",@progbits
; Kernel info:
; codeLenInByte = 0
; NumSgprs: 0
; NumVgprs: 0
; ScratchSize: 0
; MemoryBound: 0
; FloatMode: 240
; IeeeMode: 1
; LDSByteSize: 0 bytes/workgroup (compile time only)
; SGPRBlocks: 0
; VGPRBlocks: 0
; NumSGPRsForWavesPerEU: 1
; NumVGPRsForWavesPerEU: 1
; Occupancy: 15
; WaveLimiterHint : 0
; COMPUTE_PGM_RSRC2:SCRATCH_EN: 0
; COMPUTE_PGM_RSRC2:USER_SGPR: 15
; COMPUTE_PGM_RSRC2:TRAP_HANDLER: 0
; COMPUTE_PGM_RSRC2:TGID_X_EN: 1
; COMPUTE_PGM_RSRC2:TGID_Y_EN: 0
; COMPUTE_PGM_RSRC2:TGID_Z_EN: 0
; COMPUTE_PGM_RSRC2:TIDIG_COMP_CNT: 0
	.section	.text._ZN7rocprim17ROCPRIM_400000_NS6detail17trampoline_kernelINS0_14default_configENS1_25partition_config_selectorILNS1_17partition_subalgoE5ElNS0_10empty_typeEbEEZZNS1_14partition_implILS5_5ELb0ES3_mN6hipcub16HIPCUB_304000_NS21CountingInputIteratorIllEEPS6_NSA_22TransformInputIteratorIb7NonZeroIiEPilEENS0_5tupleIJPlS6_EEENSJ_IJSD_SD_EEES6_SK_JS6_EEE10hipError_tPvRmT3_T4_T5_T6_T7_T9_mT8_P12ihipStream_tbDpT10_ENKUlT_T0_E_clISt17integral_constantIbLb0EES15_IbLb1EEEEDaS11_S12_EUlS11_E_NS1_11comp_targetILNS1_3genE3ELNS1_11target_archE908ELNS1_3gpuE7ELNS1_3repE0EEENS1_30default_config_static_selectorELNS0_4arch9wavefront6targetE0EEEvT1_,"axG",@progbits,_ZN7rocprim17ROCPRIM_400000_NS6detail17trampoline_kernelINS0_14default_configENS1_25partition_config_selectorILNS1_17partition_subalgoE5ElNS0_10empty_typeEbEEZZNS1_14partition_implILS5_5ELb0ES3_mN6hipcub16HIPCUB_304000_NS21CountingInputIteratorIllEEPS6_NSA_22TransformInputIteratorIb7NonZeroIiEPilEENS0_5tupleIJPlS6_EEENSJ_IJSD_SD_EEES6_SK_JS6_EEE10hipError_tPvRmT3_T4_T5_T6_T7_T9_mT8_P12ihipStream_tbDpT10_ENKUlT_T0_E_clISt17integral_constantIbLb0EES15_IbLb1EEEEDaS11_S12_EUlS11_E_NS1_11comp_targetILNS1_3genE3ELNS1_11target_archE908ELNS1_3gpuE7ELNS1_3repE0EEENS1_30default_config_static_selectorELNS0_4arch9wavefront6targetE0EEEvT1_,comdat
	.protected	_ZN7rocprim17ROCPRIM_400000_NS6detail17trampoline_kernelINS0_14default_configENS1_25partition_config_selectorILNS1_17partition_subalgoE5ElNS0_10empty_typeEbEEZZNS1_14partition_implILS5_5ELb0ES3_mN6hipcub16HIPCUB_304000_NS21CountingInputIteratorIllEEPS6_NSA_22TransformInputIteratorIb7NonZeroIiEPilEENS0_5tupleIJPlS6_EEENSJ_IJSD_SD_EEES6_SK_JS6_EEE10hipError_tPvRmT3_T4_T5_T6_T7_T9_mT8_P12ihipStream_tbDpT10_ENKUlT_T0_E_clISt17integral_constantIbLb0EES15_IbLb1EEEEDaS11_S12_EUlS11_E_NS1_11comp_targetILNS1_3genE3ELNS1_11target_archE908ELNS1_3gpuE7ELNS1_3repE0EEENS1_30default_config_static_selectorELNS0_4arch9wavefront6targetE0EEEvT1_ ; -- Begin function _ZN7rocprim17ROCPRIM_400000_NS6detail17trampoline_kernelINS0_14default_configENS1_25partition_config_selectorILNS1_17partition_subalgoE5ElNS0_10empty_typeEbEEZZNS1_14partition_implILS5_5ELb0ES3_mN6hipcub16HIPCUB_304000_NS21CountingInputIteratorIllEEPS6_NSA_22TransformInputIteratorIb7NonZeroIiEPilEENS0_5tupleIJPlS6_EEENSJ_IJSD_SD_EEES6_SK_JS6_EEE10hipError_tPvRmT3_T4_T5_T6_T7_T9_mT8_P12ihipStream_tbDpT10_ENKUlT_T0_E_clISt17integral_constantIbLb0EES15_IbLb1EEEEDaS11_S12_EUlS11_E_NS1_11comp_targetILNS1_3genE3ELNS1_11target_archE908ELNS1_3gpuE7ELNS1_3repE0EEENS1_30default_config_static_selectorELNS0_4arch9wavefront6targetE0EEEvT1_
	.globl	_ZN7rocprim17ROCPRIM_400000_NS6detail17trampoline_kernelINS0_14default_configENS1_25partition_config_selectorILNS1_17partition_subalgoE5ElNS0_10empty_typeEbEEZZNS1_14partition_implILS5_5ELb0ES3_mN6hipcub16HIPCUB_304000_NS21CountingInputIteratorIllEEPS6_NSA_22TransformInputIteratorIb7NonZeroIiEPilEENS0_5tupleIJPlS6_EEENSJ_IJSD_SD_EEES6_SK_JS6_EEE10hipError_tPvRmT3_T4_T5_T6_T7_T9_mT8_P12ihipStream_tbDpT10_ENKUlT_T0_E_clISt17integral_constantIbLb0EES15_IbLb1EEEEDaS11_S12_EUlS11_E_NS1_11comp_targetILNS1_3genE3ELNS1_11target_archE908ELNS1_3gpuE7ELNS1_3repE0EEENS1_30default_config_static_selectorELNS0_4arch9wavefront6targetE0EEEvT1_
	.p2align	8
	.type	_ZN7rocprim17ROCPRIM_400000_NS6detail17trampoline_kernelINS0_14default_configENS1_25partition_config_selectorILNS1_17partition_subalgoE5ElNS0_10empty_typeEbEEZZNS1_14partition_implILS5_5ELb0ES3_mN6hipcub16HIPCUB_304000_NS21CountingInputIteratorIllEEPS6_NSA_22TransformInputIteratorIb7NonZeroIiEPilEENS0_5tupleIJPlS6_EEENSJ_IJSD_SD_EEES6_SK_JS6_EEE10hipError_tPvRmT3_T4_T5_T6_T7_T9_mT8_P12ihipStream_tbDpT10_ENKUlT_T0_E_clISt17integral_constantIbLb0EES15_IbLb1EEEEDaS11_S12_EUlS11_E_NS1_11comp_targetILNS1_3genE3ELNS1_11target_archE908ELNS1_3gpuE7ELNS1_3repE0EEENS1_30default_config_static_selectorELNS0_4arch9wavefront6targetE0EEEvT1_,@function
_ZN7rocprim17ROCPRIM_400000_NS6detail17trampoline_kernelINS0_14default_configENS1_25partition_config_selectorILNS1_17partition_subalgoE5ElNS0_10empty_typeEbEEZZNS1_14partition_implILS5_5ELb0ES3_mN6hipcub16HIPCUB_304000_NS21CountingInputIteratorIllEEPS6_NSA_22TransformInputIteratorIb7NonZeroIiEPilEENS0_5tupleIJPlS6_EEENSJ_IJSD_SD_EEES6_SK_JS6_EEE10hipError_tPvRmT3_T4_T5_T6_T7_T9_mT8_P12ihipStream_tbDpT10_ENKUlT_T0_E_clISt17integral_constantIbLb0EES15_IbLb1EEEEDaS11_S12_EUlS11_E_NS1_11comp_targetILNS1_3genE3ELNS1_11target_archE908ELNS1_3gpuE7ELNS1_3repE0EEENS1_30default_config_static_selectorELNS0_4arch9wavefront6targetE0EEEvT1_: ; @_ZN7rocprim17ROCPRIM_400000_NS6detail17trampoline_kernelINS0_14default_configENS1_25partition_config_selectorILNS1_17partition_subalgoE5ElNS0_10empty_typeEbEEZZNS1_14partition_implILS5_5ELb0ES3_mN6hipcub16HIPCUB_304000_NS21CountingInputIteratorIllEEPS6_NSA_22TransformInputIteratorIb7NonZeroIiEPilEENS0_5tupleIJPlS6_EEENSJ_IJSD_SD_EEES6_SK_JS6_EEE10hipError_tPvRmT3_T4_T5_T6_T7_T9_mT8_P12ihipStream_tbDpT10_ENKUlT_T0_E_clISt17integral_constantIbLb0EES15_IbLb1EEEEDaS11_S12_EUlS11_E_NS1_11comp_targetILNS1_3genE3ELNS1_11target_archE908ELNS1_3gpuE7ELNS1_3repE0EEENS1_30default_config_static_selectorELNS0_4arch9wavefront6targetE0EEEvT1_
; %bb.0:
	.section	.rodata,"a",@progbits
	.p2align	6, 0x0
	.amdhsa_kernel _ZN7rocprim17ROCPRIM_400000_NS6detail17trampoline_kernelINS0_14default_configENS1_25partition_config_selectorILNS1_17partition_subalgoE5ElNS0_10empty_typeEbEEZZNS1_14partition_implILS5_5ELb0ES3_mN6hipcub16HIPCUB_304000_NS21CountingInputIteratorIllEEPS6_NSA_22TransformInputIteratorIb7NonZeroIiEPilEENS0_5tupleIJPlS6_EEENSJ_IJSD_SD_EEES6_SK_JS6_EEE10hipError_tPvRmT3_T4_T5_T6_T7_T9_mT8_P12ihipStream_tbDpT10_ENKUlT_T0_E_clISt17integral_constantIbLb0EES15_IbLb1EEEEDaS11_S12_EUlS11_E_NS1_11comp_targetILNS1_3genE3ELNS1_11target_archE908ELNS1_3gpuE7ELNS1_3repE0EEENS1_30default_config_static_selectorELNS0_4arch9wavefront6targetE0EEEvT1_
		.amdhsa_group_segment_fixed_size 0
		.amdhsa_private_segment_fixed_size 0
		.amdhsa_kernarg_size 136
		.amdhsa_user_sgpr_count 15
		.amdhsa_user_sgpr_dispatch_ptr 0
		.amdhsa_user_sgpr_queue_ptr 0
		.amdhsa_user_sgpr_kernarg_segment_ptr 1
		.amdhsa_user_sgpr_dispatch_id 0
		.amdhsa_user_sgpr_private_segment_size 0
		.amdhsa_wavefront_size32 1
		.amdhsa_uses_dynamic_stack 0
		.amdhsa_enable_private_segment 0
		.amdhsa_system_sgpr_workgroup_id_x 1
		.amdhsa_system_sgpr_workgroup_id_y 0
		.amdhsa_system_sgpr_workgroup_id_z 0
		.amdhsa_system_sgpr_workgroup_info 0
		.amdhsa_system_vgpr_workitem_id 0
		.amdhsa_next_free_vgpr 1
		.amdhsa_next_free_sgpr 1
		.amdhsa_reserve_vcc 0
		.amdhsa_float_round_mode_32 0
		.amdhsa_float_round_mode_16_64 0
		.amdhsa_float_denorm_mode_32 3
		.amdhsa_float_denorm_mode_16_64 3
		.amdhsa_dx10_clamp 1
		.amdhsa_ieee_mode 1
		.amdhsa_fp16_overflow 0
		.amdhsa_workgroup_processor_mode 1
		.amdhsa_memory_ordered 1
		.amdhsa_forward_progress 0
		.amdhsa_shared_vgpr_count 0
		.amdhsa_exception_fp_ieee_invalid_op 0
		.amdhsa_exception_fp_denorm_src 0
		.amdhsa_exception_fp_ieee_div_zero 0
		.amdhsa_exception_fp_ieee_overflow 0
		.amdhsa_exception_fp_ieee_underflow 0
		.amdhsa_exception_fp_ieee_inexact 0
		.amdhsa_exception_int_div_zero 0
	.end_amdhsa_kernel
	.section	.text._ZN7rocprim17ROCPRIM_400000_NS6detail17trampoline_kernelINS0_14default_configENS1_25partition_config_selectorILNS1_17partition_subalgoE5ElNS0_10empty_typeEbEEZZNS1_14partition_implILS5_5ELb0ES3_mN6hipcub16HIPCUB_304000_NS21CountingInputIteratorIllEEPS6_NSA_22TransformInputIteratorIb7NonZeroIiEPilEENS0_5tupleIJPlS6_EEENSJ_IJSD_SD_EEES6_SK_JS6_EEE10hipError_tPvRmT3_T4_T5_T6_T7_T9_mT8_P12ihipStream_tbDpT10_ENKUlT_T0_E_clISt17integral_constantIbLb0EES15_IbLb1EEEEDaS11_S12_EUlS11_E_NS1_11comp_targetILNS1_3genE3ELNS1_11target_archE908ELNS1_3gpuE7ELNS1_3repE0EEENS1_30default_config_static_selectorELNS0_4arch9wavefront6targetE0EEEvT1_,"axG",@progbits,_ZN7rocprim17ROCPRIM_400000_NS6detail17trampoline_kernelINS0_14default_configENS1_25partition_config_selectorILNS1_17partition_subalgoE5ElNS0_10empty_typeEbEEZZNS1_14partition_implILS5_5ELb0ES3_mN6hipcub16HIPCUB_304000_NS21CountingInputIteratorIllEEPS6_NSA_22TransformInputIteratorIb7NonZeroIiEPilEENS0_5tupleIJPlS6_EEENSJ_IJSD_SD_EEES6_SK_JS6_EEE10hipError_tPvRmT3_T4_T5_T6_T7_T9_mT8_P12ihipStream_tbDpT10_ENKUlT_T0_E_clISt17integral_constantIbLb0EES15_IbLb1EEEEDaS11_S12_EUlS11_E_NS1_11comp_targetILNS1_3genE3ELNS1_11target_archE908ELNS1_3gpuE7ELNS1_3repE0EEENS1_30default_config_static_selectorELNS0_4arch9wavefront6targetE0EEEvT1_,comdat
.Lfunc_end212:
	.size	_ZN7rocprim17ROCPRIM_400000_NS6detail17trampoline_kernelINS0_14default_configENS1_25partition_config_selectorILNS1_17partition_subalgoE5ElNS0_10empty_typeEbEEZZNS1_14partition_implILS5_5ELb0ES3_mN6hipcub16HIPCUB_304000_NS21CountingInputIteratorIllEEPS6_NSA_22TransformInputIteratorIb7NonZeroIiEPilEENS0_5tupleIJPlS6_EEENSJ_IJSD_SD_EEES6_SK_JS6_EEE10hipError_tPvRmT3_T4_T5_T6_T7_T9_mT8_P12ihipStream_tbDpT10_ENKUlT_T0_E_clISt17integral_constantIbLb0EES15_IbLb1EEEEDaS11_S12_EUlS11_E_NS1_11comp_targetILNS1_3genE3ELNS1_11target_archE908ELNS1_3gpuE7ELNS1_3repE0EEENS1_30default_config_static_selectorELNS0_4arch9wavefront6targetE0EEEvT1_, .Lfunc_end212-_ZN7rocprim17ROCPRIM_400000_NS6detail17trampoline_kernelINS0_14default_configENS1_25partition_config_selectorILNS1_17partition_subalgoE5ElNS0_10empty_typeEbEEZZNS1_14partition_implILS5_5ELb0ES3_mN6hipcub16HIPCUB_304000_NS21CountingInputIteratorIllEEPS6_NSA_22TransformInputIteratorIb7NonZeroIiEPilEENS0_5tupleIJPlS6_EEENSJ_IJSD_SD_EEES6_SK_JS6_EEE10hipError_tPvRmT3_T4_T5_T6_T7_T9_mT8_P12ihipStream_tbDpT10_ENKUlT_T0_E_clISt17integral_constantIbLb0EES15_IbLb1EEEEDaS11_S12_EUlS11_E_NS1_11comp_targetILNS1_3genE3ELNS1_11target_archE908ELNS1_3gpuE7ELNS1_3repE0EEENS1_30default_config_static_selectorELNS0_4arch9wavefront6targetE0EEEvT1_
                                        ; -- End function
	.section	.AMDGPU.csdata,"",@progbits
; Kernel info:
; codeLenInByte = 0
; NumSgprs: 0
; NumVgprs: 0
; ScratchSize: 0
; MemoryBound: 0
; FloatMode: 240
; IeeeMode: 1
; LDSByteSize: 0 bytes/workgroup (compile time only)
; SGPRBlocks: 0
; VGPRBlocks: 0
; NumSGPRsForWavesPerEU: 1
; NumVGPRsForWavesPerEU: 1
; Occupancy: 16
; WaveLimiterHint : 0
; COMPUTE_PGM_RSRC2:SCRATCH_EN: 0
; COMPUTE_PGM_RSRC2:USER_SGPR: 15
; COMPUTE_PGM_RSRC2:TRAP_HANDLER: 0
; COMPUTE_PGM_RSRC2:TGID_X_EN: 1
; COMPUTE_PGM_RSRC2:TGID_Y_EN: 0
; COMPUTE_PGM_RSRC2:TGID_Z_EN: 0
; COMPUTE_PGM_RSRC2:TIDIG_COMP_CNT: 0
	.section	.text._ZN7rocprim17ROCPRIM_400000_NS6detail17trampoline_kernelINS0_14default_configENS1_25partition_config_selectorILNS1_17partition_subalgoE5ElNS0_10empty_typeEbEEZZNS1_14partition_implILS5_5ELb0ES3_mN6hipcub16HIPCUB_304000_NS21CountingInputIteratorIllEEPS6_NSA_22TransformInputIteratorIb7NonZeroIiEPilEENS0_5tupleIJPlS6_EEENSJ_IJSD_SD_EEES6_SK_JS6_EEE10hipError_tPvRmT3_T4_T5_T6_T7_T9_mT8_P12ihipStream_tbDpT10_ENKUlT_T0_E_clISt17integral_constantIbLb0EES15_IbLb1EEEEDaS11_S12_EUlS11_E_NS1_11comp_targetILNS1_3genE2ELNS1_11target_archE906ELNS1_3gpuE6ELNS1_3repE0EEENS1_30default_config_static_selectorELNS0_4arch9wavefront6targetE0EEEvT1_,"axG",@progbits,_ZN7rocprim17ROCPRIM_400000_NS6detail17trampoline_kernelINS0_14default_configENS1_25partition_config_selectorILNS1_17partition_subalgoE5ElNS0_10empty_typeEbEEZZNS1_14partition_implILS5_5ELb0ES3_mN6hipcub16HIPCUB_304000_NS21CountingInputIteratorIllEEPS6_NSA_22TransformInputIteratorIb7NonZeroIiEPilEENS0_5tupleIJPlS6_EEENSJ_IJSD_SD_EEES6_SK_JS6_EEE10hipError_tPvRmT3_T4_T5_T6_T7_T9_mT8_P12ihipStream_tbDpT10_ENKUlT_T0_E_clISt17integral_constantIbLb0EES15_IbLb1EEEEDaS11_S12_EUlS11_E_NS1_11comp_targetILNS1_3genE2ELNS1_11target_archE906ELNS1_3gpuE6ELNS1_3repE0EEENS1_30default_config_static_selectorELNS0_4arch9wavefront6targetE0EEEvT1_,comdat
	.protected	_ZN7rocprim17ROCPRIM_400000_NS6detail17trampoline_kernelINS0_14default_configENS1_25partition_config_selectorILNS1_17partition_subalgoE5ElNS0_10empty_typeEbEEZZNS1_14partition_implILS5_5ELb0ES3_mN6hipcub16HIPCUB_304000_NS21CountingInputIteratorIllEEPS6_NSA_22TransformInputIteratorIb7NonZeroIiEPilEENS0_5tupleIJPlS6_EEENSJ_IJSD_SD_EEES6_SK_JS6_EEE10hipError_tPvRmT3_T4_T5_T6_T7_T9_mT8_P12ihipStream_tbDpT10_ENKUlT_T0_E_clISt17integral_constantIbLb0EES15_IbLb1EEEEDaS11_S12_EUlS11_E_NS1_11comp_targetILNS1_3genE2ELNS1_11target_archE906ELNS1_3gpuE6ELNS1_3repE0EEENS1_30default_config_static_selectorELNS0_4arch9wavefront6targetE0EEEvT1_ ; -- Begin function _ZN7rocprim17ROCPRIM_400000_NS6detail17trampoline_kernelINS0_14default_configENS1_25partition_config_selectorILNS1_17partition_subalgoE5ElNS0_10empty_typeEbEEZZNS1_14partition_implILS5_5ELb0ES3_mN6hipcub16HIPCUB_304000_NS21CountingInputIteratorIllEEPS6_NSA_22TransformInputIteratorIb7NonZeroIiEPilEENS0_5tupleIJPlS6_EEENSJ_IJSD_SD_EEES6_SK_JS6_EEE10hipError_tPvRmT3_T4_T5_T6_T7_T9_mT8_P12ihipStream_tbDpT10_ENKUlT_T0_E_clISt17integral_constantIbLb0EES15_IbLb1EEEEDaS11_S12_EUlS11_E_NS1_11comp_targetILNS1_3genE2ELNS1_11target_archE906ELNS1_3gpuE6ELNS1_3repE0EEENS1_30default_config_static_selectorELNS0_4arch9wavefront6targetE0EEEvT1_
	.globl	_ZN7rocprim17ROCPRIM_400000_NS6detail17trampoline_kernelINS0_14default_configENS1_25partition_config_selectorILNS1_17partition_subalgoE5ElNS0_10empty_typeEbEEZZNS1_14partition_implILS5_5ELb0ES3_mN6hipcub16HIPCUB_304000_NS21CountingInputIteratorIllEEPS6_NSA_22TransformInputIteratorIb7NonZeroIiEPilEENS0_5tupleIJPlS6_EEENSJ_IJSD_SD_EEES6_SK_JS6_EEE10hipError_tPvRmT3_T4_T5_T6_T7_T9_mT8_P12ihipStream_tbDpT10_ENKUlT_T0_E_clISt17integral_constantIbLb0EES15_IbLb1EEEEDaS11_S12_EUlS11_E_NS1_11comp_targetILNS1_3genE2ELNS1_11target_archE906ELNS1_3gpuE6ELNS1_3repE0EEENS1_30default_config_static_selectorELNS0_4arch9wavefront6targetE0EEEvT1_
	.p2align	8
	.type	_ZN7rocprim17ROCPRIM_400000_NS6detail17trampoline_kernelINS0_14default_configENS1_25partition_config_selectorILNS1_17partition_subalgoE5ElNS0_10empty_typeEbEEZZNS1_14partition_implILS5_5ELb0ES3_mN6hipcub16HIPCUB_304000_NS21CountingInputIteratorIllEEPS6_NSA_22TransformInputIteratorIb7NonZeroIiEPilEENS0_5tupleIJPlS6_EEENSJ_IJSD_SD_EEES6_SK_JS6_EEE10hipError_tPvRmT3_T4_T5_T6_T7_T9_mT8_P12ihipStream_tbDpT10_ENKUlT_T0_E_clISt17integral_constantIbLb0EES15_IbLb1EEEEDaS11_S12_EUlS11_E_NS1_11comp_targetILNS1_3genE2ELNS1_11target_archE906ELNS1_3gpuE6ELNS1_3repE0EEENS1_30default_config_static_selectorELNS0_4arch9wavefront6targetE0EEEvT1_,@function
_ZN7rocprim17ROCPRIM_400000_NS6detail17trampoline_kernelINS0_14default_configENS1_25partition_config_selectorILNS1_17partition_subalgoE5ElNS0_10empty_typeEbEEZZNS1_14partition_implILS5_5ELb0ES3_mN6hipcub16HIPCUB_304000_NS21CountingInputIteratorIllEEPS6_NSA_22TransformInputIteratorIb7NonZeroIiEPilEENS0_5tupleIJPlS6_EEENSJ_IJSD_SD_EEES6_SK_JS6_EEE10hipError_tPvRmT3_T4_T5_T6_T7_T9_mT8_P12ihipStream_tbDpT10_ENKUlT_T0_E_clISt17integral_constantIbLb0EES15_IbLb1EEEEDaS11_S12_EUlS11_E_NS1_11comp_targetILNS1_3genE2ELNS1_11target_archE906ELNS1_3gpuE6ELNS1_3repE0EEENS1_30default_config_static_selectorELNS0_4arch9wavefront6targetE0EEEvT1_: ; @_ZN7rocprim17ROCPRIM_400000_NS6detail17trampoline_kernelINS0_14default_configENS1_25partition_config_selectorILNS1_17partition_subalgoE5ElNS0_10empty_typeEbEEZZNS1_14partition_implILS5_5ELb0ES3_mN6hipcub16HIPCUB_304000_NS21CountingInputIteratorIllEEPS6_NSA_22TransformInputIteratorIb7NonZeroIiEPilEENS0_5tupleIJPlS6_EEENSJ_IJSD_SD_EEES6_SK_JS6_EEE10hipError_tPvRmT3_T4_T5_T6_T7_T9_mT8_P12ihipStream_tbDpT10_ENKUlT_T0_E_clISt17integral_constantIbLb0EES15_IbLb1EEEEDaS11_S12_EUlS11_E_NS1_11comp_targetILNS1_3genE2ELNS1_11target_archE906ELNS1_3gpuE6ELNS1_3repE0EEENS1_30default_config_static_selectorELNS0_4arch9wavefront6targetE0EEEvT1_
; %bb.0:
	.section	.rodata,"a",@progbits
	.p2align	6, 0x0
	.amdhsa_kernel _ZN7rocprim17ROCPRIM_400000_NS6detail17trampoline_kernelINS0_14default_configENS1_25partition_config_selectorILNS1_17partition_subalgoE5ElNS0_10empty_typeEbEEZZNS1_14partition_implILS5_5ELb0ES3_mN6hipcub16HIPCUB_304000_NS21CountingInputIteratorIllEEPS6_NSA_22TransformInputIteratorIb7NonZeroIiEPilEENS0_5tupleIJPlS6_EEENSJ_IJSD_SD_EEES6_SK_JS6_EEE10hipError_tPvRmT3_T4_T5_T6_T7_T9_mT8_P12ihipStream_tbDpT10_ENKUlT_T0_E_clISt17integral_constantIbLb0EES15_IbLb1EEEEDaS11_S12_EUlS11_E_NS1_11comp_targetILNS1_3genE2ELNS1_11target_archE906ELNS1_3gpuE6ELNS1_3repE0EEENS1_30default_config_static_selectorELNS0_4arch9wavefront6targetE0EEEvT1_
		.amdhsa_group_segment_fixed_size 0
		.amdhsa_private_segment_fixed_size 0
		.amdhsa_kernarg_size 136
		.amdhsa_user_sgpr_count 15
		.amdhsa_user_sgpr_dispatch_ptr 0
		.amdhsa_user_sgpr_queue_ptr 0
		.amdhsa_user_sgpr_kernarg_segment_ptr 1
		.amdhsa_user_sgpr_dispatch_id 0
		.amdhsa_user_sgpr_private_segment_size 0
		.amdhsa_wavefront_size32 1
		.amdhsa_uses_dynamic_stack 0
		.amdhsa_enable_private_segment 0
		.amdhsa_system_sgpr_workgroup_id_x 1
		.amdhsa_system_sgpr_workgroup_id_y 0
		.amdhsa_system_sgpr_workgroup_id_z 0
		.amdhsa_system_sgpr_workgroup_info 0
		.amdhsa_system_vgpr_workitem_id 0
		.amdhsa_next_free_vgpr 1
		.amdhsa_next_free_sgpr 1
		.amdhsa_reserve_vcc 0
		.amdhsa_float_round_mode_32 0
		.amdhsa_float_round_mode_16_64 0
		.amdhsa_float_denorm_mode_32 3
		.amdhsa_float_denorm_mode_16_64 3
		.amdhsa_dx10_clamp 1
		.amdhsa_ieee_mode 1
		.amdhsa_fp16_overflow 0
		.amdhsa_workgroup_processor_mode 1
		.amdhsa_memory_ordered 1
		.amdhsa_forward_progress 0
		.amdhsa_shared_vgpr_count 0
		.amdhsa_exception_fp_ieee_invalid_op 0
		.amdhsa_exception_fp_denorm_src 0
		.amdhsa_exception_fp_ieee_div_zero 0
		.amdhsa_exception_fp_ieee_overflow 0
		.amdhsa_exception_fp_ieee_underflow 0
		.amdhsa_exception_fp_ieee_inexact 0
		.amdhsa_exception_int_div_zero 0
	.end_amdhsa_kernel
	.section	.text._ZN7rocprim17ROCPRIM_400000_NS6detail17trampoline_kernelINS0_14default_configENS1_25partition_config_selectorILNS1_17partition_subalgoE5ElNS0_10empty_typeEbEEZZNS1_14partition_implILS5_5ELb0ES3_mN6hipcub16HIPCUB_304000_NS21CountingInputIteratorIllEEPS6_NSA_22TransformInputIteratorIb7NonZeroIiEPilEENS0_5tupleIJPlS6_EEENSJ_IJSD_SD_EEES6_SK_JS6_EEE10hipError_tPvRmT3_T4_T5_T6_T7_T9_mT8_P12ihipStream_tbDpT10_ENKUlT_T0_E_clISt17integral_constantIbLb0EES15_IbLb1EEEEDaS11_S12_EUlS11_E_NS1_11comp_targetILNS1_3genE2ELNS1_11target_archE906ELNS1_3gpuE6ELNS1_3repE0EEENS1_30default_config_static_selectorELNS0_4arch9wavefront6targetE0EEEvT1_,"axG",@progbits,_ZN7rocprim17ROCPRIM_400000_NS6detail17trampoline_kernelINS0_14default_configENS1_25partition_config_selectorILNS1_17partition_subalgoE5ElNS0_10empty_typeEbEEZZNS1_14partition_implILS5_5ELb0ES3_mN6hipcub16HIPCUB_304000_NS21CountingInputIteratorIllEEPS6_NSA_22TransformInputIteratorIb7NonZeroIiEPilEENS0_5tupleIJPlS6_EEENSJ_IJSD_SD_EEES6_SK_JS6_EEE10hipError_tPvRmT3_T4_T5_T6_T7_T9_mT8_P12ihipStream_tbDpT10_ENKUlT_T0_E_clISt17integral_constantIbLb0EES15_IbLb1EEEEDaS11_S12_EUlS11_E_NS1_11comp_targetILNS1_3genE2ELNS1_11target_archE906ELNS1_3gpuE6ELNS1_3repE0EEENS1_30default_config_static_selectorELNS0_4arch9wavefront6targetE0EEEvT1_,comdat
.Lfunc_end213:
	.size	_ZN7rocprim17ROCPRIM_400000_NS6detail17trampoline_kernelINS0_14default_configENS1_25partition_config_selectorILNS1_17partition_subalgoE5ElNS0_10empty_typeEbEEZZNS1_14partition_implILS5_5ELb0ES3_mN6hipcub16HIPCUB_304000_NS21CountingInputIteratorIllEEPS6_NSA_22TransformInputIteratorIb7NonZeroIiEPilEENS0_5tupleIJPlS6_EEENSJ_IJSD_SD_EEES6_SK_JS6_EEE10hipError_tPvRmT3_T4_T5_T6_T7_T9_mT8_P12ihipStream_tbDpT10_ENKUlT_T0_E_clISt17integral_constantIbLb0EES15_IbLb1EEEEDaS11_S12_EUlS11_E_NS1_11comp_targetILNS1_3genE2ELNS1_11target_archE906ELNS1_3gpuE6ELNS1_3repE0EEENS1_30default_config_static_selectorELNS0_4arch9wavefront6targetE0EEEvT1_, .Lfunc_end213-_ZN7rocprim17ROCPRIM_400000_NS6detail17trampoline_kernelINS0_14default_configENS1_25partition_config_selectorILNS1_17partition_subalgoE5ElNS0_10empty_typeEbEEZZNS1_14partition_implILS5_5ELb0ES3_mN6hipcub16HIPCUB_304000_NS21CountingInputIteratorIllEEPS6_NSA_22TransformInputIteratorIb7NonZeroIiEPilEENS0_5tupleIJPlS6_EEENSJ_IJSD_SD_EEES6_SK_JS6_EEE10hipError_tPvRmT3_T4_T5_T6_T7_T9_mT8_P12ihipStream_tbDpT10_ENKUlT_T0_E_clISt17integral_constantIbLb0EES15_IbLb1EEEEDaS11_S12_EUlS11_E_NS1_11comp_targetILNS1_3genE2ELNS1_11target_archE906ELNS1_3gpuE6ELNS1_3repE0EEENS1_30default_config_static_selectorELNS0_4arch9wavefront6targetE0EEEvT1_
                                        ; -- End function
	.section	.AMDGPU.csdata,"",@progbits
; Kernel info:
; codeLenInByte = 0
; NumSgprs: 0
; NumVgprs: 0
; ScratchSize: 0
; MemoryBound: 0
; FloatMode: 240
; IeeeMode: 1
; LDSByteSize: 0 bytes/workgroup (compile time only)
; SGPRBlocks: 0
; VGPRBlocks: 0
; NumSGPRsForWavesPerEU: 1
; NumVGPRsForWavesPerEU: 1
; Occupancy: 16
; WaveLimiterHint : 0
; COMPUTE_PGM_RSRC2:SCRATCH_EN: 0
; COMPUTE_PGM_RSRC2:USER_SGPR: 15
; COMPUTE_PGM_RSRC2:TRAP_HANDLER: 0
; COMPUTE_PGM_RSRC2:TGID_X_EN: 1
; COMPUTE_PGM_RSRC2:TGID_Y_EN: 0
; COMPUTE_PGM_RSRC2:TGID_Z_EN: 0
; COMPUTE_PGM_RSRC2:TIDIG_COMP_CNT: 0
	.section	.text._ZN7rocprim17ROCPRIM_400000_NS6detail17trampoline_kernelINS0_14default_configENS1_25partition_config_selectorILNS1_17partition_subalgoE5ElNS0_10empty_typeEbEEZZNS1_14partition_implILS5_5ELb0ES3_mN6hipcub16HIPCUB_304000_NS21CountingInputIteratorIllEEPS6_NSA_22TransformInputIteratorIb7NonZeroIiEPilEENS0_5tupleIJPlS6_EEENSJ_IJSD_SD_EEES6_SK_JS6_EEE10hipError_tPvRmT3_T4_T5_T6_T7_T9_mT8_P12ihipStream_tbDpT10_ENKUlT_T0_E_clISt17integral_constantIbLb0EES15_IbLb1EEEEDaS11_S12_EUlS11_E_NS1_11comp_targetILNS1_3genE10ELNS1_11target_archE1200ELNS1_3gpuE4ELNS1_3repE0EEENS1_30default_config_static_selectorELNS0_4arch9wavefront6targetE0EEEvT1_,"axG",@progbits,_ZN7rocprim17ROCPRIM_400000_NS6detail17trampoline_kernelINS0_14default_configENS1_25partition_config_selectorILNS1_17partition_subalgoE5ElNS0_10empty_typeEbEEZZNS1_14partition_implILS5_5ELb0ES3_mN6hipcub16HIPCUB_304000_NS21CountingInputIteratorIllEEPS6_NSA_22TransformInputIteratorIb7NonZeroIiEPilEENS0_5tupleIJPlS6_EEENSJ_IJSD_SD_EEES6_SK_JS6_EEE10hipError_tPvRmT3_T4_T5_T6_T7_T9_mT8_P12ihipStream_tbDpT10_ENKUlT_T0_E_clISt17integral_constantIbLb0EES15_IbLb1EEEEDaS11_S12_EUlS11_E_NS1_11comp_targetILNS1_3genE10ELNS1_11target_archE1200ELNS1_3gpuE4ELNS1_3repE0EEENS1_30default_config_static_selectorELNS0_4arch9wavefront6targetE0EEEvT1_,comdat
	.protected	_ZN7rocprim17ROCPRIM_400000_NS6detail17trampoline_kernelINS0_14default_configENS1_25partition_config_selectorILNS1_17partition_subalgoE5ElNS0_10empty_typeEbEEZZNS1_14partition_implILS5_5ELb0ES3_mN6hipcub16HIPCUB_304000_NS21CountingInputIteratorIllEEPS6_NSA_22TransformInputIteratorIb7NonZeroIiEPilEENS0_5tupleIJPlS6_EEENSJ_IJSD_SD_EEES6_SK_JS6_EEE10hipError_tPvRmT3_T4_T5_T6_T7_T9_mT8_P12ihipStream_tbDpT10_ENKUlT_T0_E_clISt17integral_constantIbLb0EES15_IbLb1EEEEDaS11_S12_EUlS11_E_NS1_11comp_targetILNS1_3genE10ELNS1_11target_archE1200ELNS1_3gpuE4ELNS1_3repE0EEENS1_30default_config_static_selectorELNS0_4arch9wavefront6targetE0EEEvT1_ ; -- Begin function _ZN7rocprim17ROCPRIM_400000_NS6detail17trampoline_kernelINS0_14default_configENS1_25partition_config_selectorILNS1_17partition_subalgoE5ElNS0_10empty_typeEbEEZZNS1_14partition_implILS5_5ELb0ES3_mN6hipcub16HIPCUB_304000_NS21CountingInputIteratorIllEEPS6_NSA_22TransformInputIteratorIb7NonZeroIiEPilEENS0_5tupleIJPlS6_EEENSJ_IJSD_SD_EEES6_SK_JS6_EEE10hipError_tPvRmT3_T4_T5_T6_T7_T9_mT8_P12ihipStream_tbDpT10_ENKUlT_T0_E_clISt17integral_constantIbLb0EES15_IbLb1EEEEDaS11_S12_EUlS11_E_NS1_11comp_targetILNS1_3genE10ELNS1_11target_archE1200ELNS1_3gpuE4ELNS1_3repE0EEENS1_30default_config_static_selectorELNS0_4arch9wavefront6targetE0EEEvT1_
	.globl	_ZN7rocprim17ROCPRIM_400000_NS6detail17trampoline_kernelINS0_14default_configENS1_25partition_config_selectorILNS1_17partition_subalgoE5ElNS0_10empty_typeEbEEZZNS1_14partition_implILS5_5ELb0ES3_mN6hipcub16HIPCUB_304000_NS21CountingInputIteratorIllEEPS6_NSA_22TransformInputIteratorIb7NonZeroIiEPilEENS0_5tupleIJPlS6_EEENSJ_IJSD_SD_EEES6_SK_JS6_EEE10hipError_tPvRmT3_T4_T5_T6_T7_T9_mT8_P12ihipStream_tbDpT10_ENKUlT_T0_E_clISt17integral_constantIbLb0EES15_IbLb1EEEEDaS11_S12_EUlS11_E_NS1_11comp_targetILNS1_3genE10ELNS1_11target_archE1200ELNS1_3gpuE4ELNS1_3repE0EEENS1_30default_config_static_selectorELNS0_4arch9wavefront6targetE0EEEvT1_
	.p2align	8
	.type	_ZN7rocprim17ROCPRIM_400000_NS6detail17trampoline_kernelINS0_14default_configENS1_25partition_config_selectorILNS1_17partition_subalgoE5ElNS0_10empty_typeEbEEZZNS1_14partition_implILS5_5ELb0ES3_mN6hipcub16HIPCUB_304000_NS21CountingInputIteratorIllEEPS6_NSA_22TransformInputIteratorIb7NonZeroIiEPilEENS0_5tupleIJPlS6_EEENSJ_IJSD_SD_EEES6_SK_JS6_EEE10hipError_tPvRmT3_T4_T5_T6_T7_T9_mT8_P12ihipStream_tbDpT10_ENKUlT_T0_E_clISt17integral_constantIbLb0EES15_IbLb1EEEEDaS11_S12_EUlS11_E_NS1_11comp_targetILNS1_3genE10ELNS1_11target_archE1200ELNS1_3gpuE4ELNS1_3repE0EEENS1_30default_config_static_selectorELNS0_4arch9wavefront6targetE0EEEvT1_,@function
_ZN7rocprim17ROCPRIM_400000_NS6detail17trampoline_kernelINS0_14default_configENS1_25partition_config_selectorILNS1_17partition_subalgoE5ElNS0_10empty_typeEbEEZZNS1_14partition_implILS5_5ELb0ES3_mN6hipcub16HIPCUB_304000_NS21CountingInputIteratorIllEEPS6_NSA_22TransformInputIteratorIb7NonZeroIiEPilEENS0_5tupleIJPlS6_EEENSJ_IJSD_SD_EEES6_SK_JS6_EEE10hipError_tPvRmT3_T4_T5_T6_T7_T9_mT8_P12ihipStream_tbDpT10_ENKUlT_T0_E_clISt17integral_constantIbLb0EES15_IbLb1EEEEDaS11_S12_EUlS11_E_NS1_11comp_targetILNS1_3genE10ELNS1_11target_archE1200ELNS1_3gpuE4ELNS1_3repE0EEENS1_30default_config_static_selectorELNS0_4arch9wavefront6targetE0EEEvT1_: ; @_ZN7rocprim17ROCPRIM_400000_NS6detail17trampoline_kernelINS0_14default_configENS1_25partition_config_selectorILNS1_17partition_subalgoE5ElNS0_10empty_typeEbEEZZNS1_14partition_implILS5_5ELb0ES3_mN6hipcub16HIPCUB_304000_NS21CountingInputIteratorIllEEPS6_NSA_22TransformInputIteratorIb7NonZeroIiEPilEENS0_5tupleIJPlS6_EEENSJ_IJSD_SD_EEES6_SK_JS6_EEE10hipError_tPvRmT3_T4_T5_T6_T7_T9_mT8_P12ihipStream_tbDpT10_ENKUlT_T0_E_clISt17integral_constantIbLb0EES15_IbLb1EEEEDaS11_S12_EUlS11_E_NS1_11comp_targetILNS1_3genE10ELNS1_11target_archE1200ELNS1_3gpuE4ELNS1_3repE0EEENS1_30default_config_static_selectorELNS0_4arch9wavefront6targetE0EEEvT1_
; %bb.0:
	.section	.rodata,"a",@progbits
	.p2align	6, 0x0
	.amdhsa_kernel _ZN7rocprim17ROCPRIM_400000_NS6detail17trampoline_kernelINS0_14default_configENS1_25partition_config_selectorILNS1_17partition_subalgoE5ElNS0_10empty_typeEbEEZZNS1_14partition_implILS5_5ELb0ES3_mN6hipcub16HIPCUB_304000_NS21CountingInputIteratorIllEEPS6_NSA_22TransformInputIteratorIb7NonZeroIiEPilEENS0_5tupleIJPlS6_EEENSJ_IJSD_SD_EEES6_SK_JS6_EEE10hipError_tPvRmT3_T4_T5_T6_T7_T9_mT8_P12ihipStream_tbDpT10_ENKUlT_T0_E_clISt17integral_constantIbLb0EES15_IbLb1EEEEDaS11_S12_EUlS11_E_NS1_11comp_targetILNS1_3genE10ELNS1_11target_archE1200ELNS1_3gpuE4ELNS1_3repE0EEENS1_30default_config_static_selectorELNS0_4arch9wavefront6targetE0EEEvT1_
		.amdhsa_group_segment_fixed_size 0
		.amdhsa_private_segment_fixed_size 0
		.amdhsa_kernarg_size 136
		.amdhsa_user_sgpr_count 15
		.amdhsa_user_sgpr_dispatch_ptr 0
		.amdhsa_user_sgpr_queue_ptr 0
		.amdhsa_user_sgpr_kernarg_segment_ptr 1
		.amdhsa_user_sgpr_dispatch_id 0
		.amdhsa_user_sgpr_private_segment_size 0
		.amdhsa_wavefront_size32 1
		.amdhsa_uses_dynamic_stack 0
		.amdhsa_enable_private_segment 0
		.amdhsa_system_sgpr_workgroup_id_x 1
		.amdhsa_system_sgpr_workgroup_id_y 0
		.amdhsa_system_sgpr_workgroup_id_z 0
		.amdhsa_system_sgpr_workgroup_info 0
		.amdhsa_system_vgpr_workitem_id 0
		.amdhsa_next_free_vgpr 1
		.amdhsa_next_free_sgpr 1
		.amdhsa_reserve_vcc 0
		.amdhsa_float_round_mode_32 0
		.amdhsa_float_round_mode_16_64 0
		.amdhsa_float_denorm_mode_32 3
		.amdhsa_float_denorm_mode_16_64 3
		.amdhsa_dx10_clamp 1
		.amdhsa_ieee_mode 1
		.amdhsa_fp16_overflow 0
		.amdhsa_workgroup_processor_mode 1
		.amdhsa_memory_ordered 1
		.amdhsa_forward_progress 0
		.amdhsa_shared_vgpr_count 0
		.amdhsa_exception_fp_ieee_invalid_op 0
		.amdhsa_exception_fp_denorm_src 0
		.amdhsa_exception_fp_ieee_div_zero 0
		.amdhsa_exception_fp_ieee_overflow 0
		.amdhsa_exception_fp_ieee_underflow 0
		.amdhsa_exception_fp_ieee_inexact 0
		.amdhsa_exception_int_div_zero 0
	.end_amdhsa_kernel
	.section	.text._ZN7rocprim17ROCPRIM_400000_NS6detail17trampoline_kernelINS0_14default_configENS1_25partition_config_selectorILNS1_17partition_subalgoE5ElNS0_10empty_typeEbEEZZNS1_14partition_implILS5_5ELb0ES3_mN6hipcub16HIPCUB_304000_NS21CountingInputIteratorIllEEPS6_NSA_22TransformInputIteratorIb7NonZeroIiEPilEENS0_5tupleIJPlS6_EEENSJ_IJSD_SD_EEES6_SK_JS6_EEE10hipError_tPvRmT3_T4_T5_T6_T7_T9_mT8_P12ihipStream_tbDpT10_ENKUlT_T0_E_clISt17integral_constantIbLb0EES15_IbLb1EEEEDaS11_S12_EUlS11_E_NS1_11comp_targetILNS1_3genE10ELNS1_11target_archE1200ELNS1_3gpuE4ELNS1_3repE0EEENS1_30default_config_static_selectorELNS0_4arch9wavefront6targetE0EEEvT1_,"axG",@progbits,_ZN7rocprim17ROCPRIM_400000_NS6detail17trampoline_kernelINS0_14default_configENS1_25partition_config_selectorILNS1_17partition_subalgoE5ElNS0_10empty_typeEbEEZZNS1_14partition_implILS5_5ELb0ES3_mN6hipcub16HIPCUB_304000_NS21CountingInputIteratorIllEEPS6_NSA_22TransformInputIteratorIb7NonZeroIiEPilEENS0_5tupleIJPlS6_EEENSJ_IJSD_SD_EEES6_SK_JS6_EEE10hipError_tPvRmT3_T4_T5_T6_T7_T9_mT8_P12ihipStream_tbDpT10_ENKUlT_T0_E_clISt17integral_constantIbLb0EES15_IbLb1EEEEDaS11_S12_EUlS11_E_NS1_11comp_targetILNS1_3genE10ELNS1_11target_archE1200ELNS1_3gpuE4ELNS1_3repE0EEENS1_30default_config_static_selectorELNS0_4arch9wavefront6targetE0EEEvT1_,comdat
.Lfunc_end214:
	.size	_ZN7rocprim17ROCPRIM_400000_NS6detail17trampoline_kernelINS0_14default_configENS1_25partition_config_selectorILNS1_17partition_subalgoE5ElNS0_10empty_typeEbEEZZNS1_14partition_implILS5_5ELb0ES3_mN6hipcub16HIPCUB_304000_NS21CountingInputIteratorIllEEPS6_NSA_22TransformInputIteratorIb7NonZeroIiEPilEENS0_5tupleIJPlS6_EEENSJ_IJSD_SD_EEES6_SK_JS6_EEE10hipError_tPvRmT3_T4_T5_T6_T7_T9_mT8_P12ihipStream_tbDpT10_ENKUlT_T0_E_clISt17integral_constantIbLb0EES15_IbLb1EEEEDaS11_S12_EUlS11_E_NS1_11comp_targetILNS1_3genE10ELNS1_11target_archE1200ELNS1_3gpuE4ELNS1_3repE0EEENS1_30default_config_static_selectorELNS0_4arch9wavefront6targetE0EEEvT1_, .Lfunc_end214-_ZN7rocprim17ROCPRIM_400000_NS6detail17trampoline_kernelINS0_14default_configENS1_25partition_config_selectorILNS1_17partition_subalgoE5ElNS0_10empty_typeEbEEZZNS1_14partition_implILS5_5ELb0ES3_mN6hipcub16HIPCUB_304000_NS21CountingInputIteratorIllEEPS6_NSA_22TransformInputIteratorIb7NonZeroIiEPilEENS0_5tupleIJPlS6_EEENSJ_IJSD_SD_EEES6_SK_JS6_EEE10hipError_tPvRmT3_T4_T5_T6_T7_T9_mT8_P12ihipStream_tbDpT10_ENKUlT_T0_E_clISt17integral_constantIbLb0EES15_IbLb1EEEEDaS11_S12_EUlS11_E_NS1_11comp_targetILNS1_3genE10ELNS1_11target_archE1200ELNS1_3gpuE4ELNS1_3repE0EEENS1_30default_config_static_selectorELNS0_4arch9wavefront6targetE0EEEvT1_
                                        ; -- End function
	.section	.AMDGPU.csdata,"",@progbits
; Kernel info:
; codeLenInByte = 0
; NumSgprs: 0
; NumVgprs: 0
; ScratchSize: 0
; MemoryBound: 0
; FloatMode: 240
; IeeeMode: 1
; LDSByteSize: 0 bytes/workgroup (compile time only)
; SGPRBlocks: 0
; VGPRBlocks: 0
; NumSGPRsForWavesPerEU: 1
; NumVGPRsForWavesPerEU: 1
; Occupancy: 16
; WaveLimiterHint : 0
; COMPUTE_PGM_RSRC2:SCRATCH_EN: 0
; COMPUTE_PGM_RSRC2:USER_SGPR: 15
; COMPUTE_PGM_RSRC2:TRAP_HANDLER: 0
; COMPUTE_PGM_RSRC2:TGID_X_EN: 1
; COMPUTE_PGM_RSRC2:TGID_Y_EN: 0
; COMPUTE_PGM_RSRC2:TGID_Z_EN: 0
; COMPUTE_PGM_RSRC2:TIDIG_COMP_CNT: 0
	.section	.text._ZN7rocprim17ROCPRIM_400000_NS6detail17trampoline_kernelINS0_14default_configENS1_25partition_config_selectorILNS1_17partition_subalgoE5ElNS0_10empty_typeEbEEZZNS1_14partition_implILS5_5ELb0ES3_mN6hipcub16HIPCUB_304000_NS21CountingInputIteratorIllEEPS6_NSA_22TransformInputIteratorIb7NonZeroIiEPilEENS0_5tupleIJPlS6_EEENSJ_IJSD_SD_EEES6_SK_JS6_EEE10hipError_tPvRmT3_T4_T5_T6_T7_T9_mT8_P12ihipStream_tbDpT10_ENKUlT_T0_E_clISt17integral_constantIbLb0EES15_IbLb1EEEEDaS11_S12_EUlS11_E_NS1_11comp_targetILNS1_3genE9ELNS1_11target_archE1100ELNS1_3gpuE3ELNS1_3repE0EEENS1_30default_config_static_selectorELNS0_4arch9wavefront6targetE0EEEvT1_,"axG",@progbits,_ZN7rocprim17ROCPRIM_400000_NS6detail17trampoline_kernelINS0_14default_configENS1_25partition_config_selectorILNS1_17partition_subalgoE5ElNS0_10empty_typeEbEEZZNS1_14partition_implILS5_5ELb0ES3_mN6hipcub16HIPCUB_304000_NS21CountingInputIteratorIllEEPS6_NSA_22TransformInputIteratorIb7NonZeroIiEPilEENS0_5tupleIJPlS6_EEENSJ_IJSD_SD_EEES6_SK_JS6_EEE10hipError_tPvRmT3_T4_T5_T6_T7_T9_mT8_P12ihipStream_tbDpT10_ENKUlT_T0_E_clISt17integral_constantIbLb0EES15_IbLb1EEEEDaS11_S12_EUlS11_E_NS1_11comp_targetILNS1_3genE9ELNS1_11target_archE1100ELNS1_3gpuE3ELNS1_3repE0EEENS1_30default_config_static_selectorELNS0_4arch9wavefront6targetE0EEEvT1_,comdat
	.protected	_ZN7rocprim17ROCPRIM_400000_NS6detail17trampoline_kernelINS0_14default_configENS1_25partition_config_selectorILNS1_17partition_subalgoE5ElNS0_10empty_typeEbEEZZNS1_14partition_implILS5_5ELb0ES3_mN6hipcub16HIPCUB_304000_NS21CountingInputIteratorIllEEPS6_NSA_22TransformInputIteratorIb7NonZeroIiEPilEENS0_5tupleIJPlS6_EEENSJ_IJSD_SD_EEES6_SK_JS6_EEE10hipError_tPvRmT3_T4_T5_T6_T7_T9_mT8_P12ihipStream_tbDpT10_ENKUlT_T0_E_clISt17integral_constantIbLb0EES15_IbLb1EEEEDaS11_S12_EUlS11_E_NS1_11comp_targetILNS1_3genE9ELNS1_11target_archE1100ELNS1_3gpuE3ELNS1_3repE0EEENS1_30default_config_static_selectorELNS0_4arch9wavefront6targetE0EEEvT1_ ; -- Begin function _ZN7rocprim17ROCPRIM_400000_NS6detail17trampoline_kernelINS0_14default_configENS1_25partition_config_selectorILNS1_17partition_subalgoE5ElNS0_10empty_typeEbEEZZNS1_14partition_implILS5_5ELb0ES3_mN6hipcub16HIPCUB_304000_NS21CountingInputIteratorIllEEPS6_NSA_22TransformInputIteratorIb7NonZeroIiEPilEENS0_5tupleIJPlS6_EEENSJ_IJSD_SD_EEES6_SK_JS6_EEE10hipError_tPvRmT3_T4_T5_T6_T7_T9_mT8_P12ihipStream_tbDpT10_ENKUlT_T0_E_clISt17integral_constantIbLb0EES15_IbLb1EEEEDaS11_S12_EUlS11_E_NS1_11comp_targetILNS1_3genE9ELNS1_11target_archE1100ELNS1_3gpuE3ELNS1_3repE0EEENS1_30default_config_static_selectorELNS0_4arch9wavefront6targetE0EEEvT1_
	.globl	_ZN7rocprim17ROCPRIM_400000_NS6detail17trampoline_kernelINS0_14default_configENS1_25partition_config_selectorILNS1_17partition_subalgoE5ElNS0_10empty_typeEbEEZZNS1_14partition_implILS5_5ELb0ES3_mN6hipcub16HIPCUB_304000_NS21CountingInputIteratorIllEEPS6_NSA_22TransformInputIteratorIb7NonZeroIiEPilEENS0_5tupleIJPlS6_EEENSJ_IJSD_SD_EEES6_SK_JS6_EEE10hipError_tPvRmT3_T4_T5_T6_T7_T9_mT8_P12ihipStream_tbDpT10_ENKUlT_T0_E_clISt17integral_constantIbLb0EES15_IbLb1EEEEDaS11_S12_EUlS11_E_NS1_11comp_targetILNS1_3genE9ELNS1_11target_archE1100ELNS1_3gpuE3ELNS1_3repE0EEENS1_30default_config_static_selectorELNS0_4arch9wavefront6targetE0EEEvT1_
	.p2align	8
	.type	_ZN7rocprim17ROCPRIM_400000_NS6detail17trampoline_kernelINS0_14default_configENS1_25partition_config_selectorILNS1_17partition_subalgoE5ElNS0_10empty_typeEbEEZZNS1_14partition_implILS5_5ELb0ES3_mN6hipcub16HIPCUB_304000_NS21CountingInputIteratorIllEEPS6_NSA_22TransformInputIteratorIb7NonZeroIiEPilEENS0_5tupleIJPlS6_EEENSJ_IJSD_SD_EEES6_SK_JS6_EEE10hipError_tPvRmT3_T4_T5_T6_T7_T9_mT8_P12ihipStream_tbDpT10_ENKUlT_T0_E_clISt17integral_constantIbLb0EES15_IbLb1EEEEDaS11_S12_EUlS11_E_NS1_11comp_targetILNS1_3genE9ELNS1_11target_archE1100ELNS1_3gpuE3ELNS1_3repE0EEENS1_30default_config_static_selectorELNS0_4arch9wavefront6targetE0EEEvT1_,@function
_ZN7rocprim17ROCPRIM_400000_NS6detail17trampoline_kernelINS0_14default_configENS1_25partition_config_selectorILNS1_17partition_subalgoE5ElNS0_10empty_typeEbEEZZNS1_14partition_implILS5_5ELb0ES3_mN6hipcub16HIPCUB_304000_NS21CountingInputIteratorIllEEPS6_NSA_22TransformInputIteratorIb7NonZeroIiEPilEENS0_5tupleIJPlS6_EEENSJ_IJSD_SD_EEES6_SK_JS6_EEE10hipError_tPvRmT3_T4_T5_T6_T7_T9_mT8_P12ihipStream_tbDpT10_ENKUlT_T0_E_clISt17integral_constantIbLb0EES15_IbLb1EEEEDaS11_S12_EUlS11_E_NS1_11comp_targetILNS1_3genE9ELNS1_11target_archE1100ELNS1_3gpuE3ELNS1_3repE0EEENS1_30default_config_static_selectorELNS0_4arch9wavefront6targetE0EEEvT1_: ; @_ZN7rocprim17ROCPRIM_400000_NS6detail17trampoline_kernelINS0_14default_configENS1_25partition_config_selectorILNS1_17partition_subalgoE5ElNS0_10empty_typeEbEEZZNS1_14partition_implILS5_5ELb0ES3_mN6hipcub16HIPCUB_304000_NS21CountingInputIteratorIllEEPS6_NSA_22TransformInputIteratorIb7NonZeroIiEPilEENS0_5tupleIJPlS6_EEENSJ_IJSD_SD_EEES6_SK_JS6_EEE10hipError_tPvRmT3_T4_T5_T6_T7_T9_mT8_P12ihipStream_tbDpT10_ENKUlT_T0_E_clISt17integral_constantIbLb0EES15_IbLb1EEEEDaS11_S12_EUlS11_E_NS1_11comp_targetILNS1_3genE9ELNS1_11target_archE1100ELNS1_3gpuE3ELNS1_3repE0EEENS1_30default_config_static_selectorELNS0_4arch9wavefront6targetE0EEEvT1_
; %bb.0:
	s_clause 0x4
	s_load_b64 s[18:19], s[0:1], 0x20
	s_load_b64 s[12:13], s[0:1], 0x30
	;; [unrolled: 1-line block ×3, first 2 shown]
	s_load_b128 s[4:7], s[0:1], 0x48
	s_load_b64 s[14:15], s[0:1], 0x68
	v_cmp_eq_u32_e64 s2, 0, v0
	s_delay_alu instid0(VALU_DEP_1)
	s_and_saveexec_b32 s3, s2
	s_cbranch_execz .LBB215_4
; %bb.1:
	s_mov_b32 s9, exec_lo
	s_mov_b32 s8, exec_lo
	v_mbcnt_lo_u32_b32 v1, s9, 0
                                        ; implicit-def: $vgpr2
	s_delay_alu instid0(VALU_DEP_1)
	v_cmpx_eq_u32_e32 0, v1
	s_cbranch_execz .LBB215_3
; %bb.2:
	s_load_b64 s[10:11], s[0:1], 0x78
	s_bcnt1_i32_b32 s9, s9
	s_delay_alu instid0(SALU_CYCLE_1)
	v_dual_mov_b32 v2, 0 :: v_dual_mov_b32 v3, s9
	s_waitcnt lgkmcnt(0)
	global_atomic_add_u32 v2, v2, v3, s[10:11] glc
.LBB215_3:
	s_or_b32 exec_lo, exec_lo, s8
	s_waitcnt vmcnt(0)
	v_readfirstlane_b32 s8, v2
	s_delay_alu instid0(VALU_DEP_1)
	v_dual_mov_b32 v2, 0 :: v_dual_add_nc_u32 v1, s8, v1
	ds_store_b32 v2, v1
.LBB215_4:
	s_or_b32 exec_lo, exec_lo, s3
	v_mov_b32_e32 v1, 0
	s_clause 0x1
	s_load_b128 s[8:11], s[0:1], 0x8
	s_load_b32 s0, s[0:1], 0x70
	s_waitcnt lgkmcnt(0)
	s_barrier
	buffer_gl0_inv
	ds_load_b32 v3, v1
	s_waitcnt lgkmcnt(0)
	s_barrier
	buffer_gl0_inv
	global_load_b64 v[1:2], v1, s[6:7]
	s_add_u32 s21, s10, s8
	s_mul_i32 s20, s0, 0x300
	s_addc_u32 s22, s11, s9
	s_add_i32 s3, s0, -1
	s_add_u32 s0, s10, s20
	v_readfirstlane_b32 s9, v3
	s_addc_u32 s1, s11, 0
	s_delay_alu instid0(SALU_CYCLE_1) | instskip(SKIP_1) | instid1(VALU_DEP_2)
	v_cmp_ge_u64_e64 s0, s[0:1], s[16:17]
	s_mov_b32 s17, -1
	s_cmp_eq_u32 s9, s3
	s_cselect_b32 s3, -1, 0
	s_delay_alu instid0(VALU_DEP_1) | instid1(SALU_CYCLE_1)
	s_and_b32 s1, s0, s3
	s_mul_i32 s0, s9, 0x300
	s_xor_b32 s8, s1, -1
	s_mov_b32 s1, 0
	s_and_b32 vcc_lo, exec_lo, s8
	s_waitcnt vmcnt(0)
	v_readfirstlane_b32 s6, v1
	v_readfirstlane_b32 s7, v2
	s_cbranch_vccz .LBB215_6
; %bb.5:
	s_add_u32 s17, s0, s21
	s_addc_u32 s23, 0, s22
	v_add_co_u32 v1, s17, s17, v0
	s_delay_alu instid0(VALU_DEP_1) | instskip(SKIP_1) | instid1(VALU_DEP_3)
	v_add_co_ci_u32_e64 v2, null, s23, 0, s17
	v_lshlrev_b32_e32 v13, 3, v0
	v_add_co_u32 v3, vcc_lo, 0x80, v1
	s_delay_alu instid0(VALU_DEP_3)
	v_add_co_ci_u32_e32 v4, vcc_lo, 0, v2, vcc_lo
	v_add_co_u32 v5, vcc_lo, 0x100, v1
	v_add_co_ci_u32_e32 v6, vcc_lo, 0, v2, vcc_lo
	v_add_co_u32 v7, vcc_lo, 0x180, v1
	;; [unrolled: 2-line block ×4, first 2 shown]
	v_add_co_ci_u32_e32 v12, vcc_lo, 0, v2, vcc_lo
	ds_store_2addr_stride64_b64 v13, v[1:2], v[3:4] offset1:2
	ds_store_2addr_stride64_b64 v13, v[5:6], v[7:8] offset0:4 offset1:6
	ds_store_2addr_stride64_b64 v13, v[9:10], v[11:12] offset0:8 offset1:10
	s_waitcnt lgkmcnt(0)
	s_mov_b32 s17, s1
	s_barrier
.LBB215_6:
	v_or_b32_e32 v17, 0x100, v0
	v_or_b32_e32 v16, 0x180, v0
	;; [unrolled: 1-line block ×4, first 2 shown]
	s_and_not1_b32 vcc_lo, exec_lo, s17
	s_cbranch_vccnz .LBB215_8
; %bb.7:
	v_or_b32_e32 v3, 0x80, v0
	s_add_u32 s17, s21, s0
	s_addc_u32 s21, s22, 0
	v_add_co_u32 v1, s22, s17, v0
	s_delay_alu instid0(VALU_DEP_1) | instskip(SKIP_1) | instid1(VALU_DEP_1)
	v_add_co_ci_u32_e64 v2, null, s21, 0, s22
	v_add_co_u32 v3, s22, s17, v3
	v_add_co_ci_u32_e64 v4, null, s21, 0, s22
	v_add_co_u32 v5, s22, s17, v17
	s_delay_alu instid0(VALU_DEP_1) | instskip(SKIP_1) | instid1(VALU_DEP_1)
	v_add_co_ci_u32_e64 v6, null, s21, 0, s22
	v_add_co_u32 v7, s22, s17, v16
	v_add_co_ci_u32_e64 v8, null, s21, 0, s22
	v_add_co_u32 v9, s22, s17, v14
	v_lshlrev_b32_e32 v15, 3, v0
	v_add_co_u32 v11, s17, s17, v13
	v_add_co_ci_u32_e64 v10, null, s21, 0, s22
	v_add_co_ci_u32_e64 v12, null, s21, 0, s17
	ds_store_2addr_stride64_b64 v15, v[1:2], v[3:4] offset1:2
	ds_store_2addr_stride64_b64 v15, v[5:6], v[7:8] offset0:4 offset1:6
	ds_store_2addr_stride64_b64 v15, v[9:10], v[11:12] offset0:8 offset1:10
	s_waitcnt lgkmcnt(0)
	s_barrier
.LBB215_8:
	v_mul_u32_u24_e32 v1, 6, v0
	buffer_gl0_inv
	s_lshl_b64 s[22:23], s[10:11], 2
	v_lshlrev_b32_e32 v18, 2, v0
	s_add_u32 s11, s18, s22
	v_lshlrev_b32_e32 v15, 3, v1
	s_addc_u32 s17, s19, s23
	s_lshl_b64 s[0:1], s[0:1], 2
	ds_load_b128 v[9:12], v15
	ds_load_b128 v[5:8], v15 offset:16
	ds_load_b128 v[1:4], v15 offset:32
	s_add_u32 s0, s11, s0
	s_addc_u32 s1, s17, s1
	s_and_b32 vcc_lo, exec_lo, s8
	s_mov_b32 s11, -1
	s_waitcnt lgkmcnt(0)
	s_barrier
	buffer_gl0_inv
	s_cbranch_vccz .LBB215_10
; %bb.9:
	s_clause 0x5
	global_load_b32 v19, v18, s[0:1]
	global_load_b32 v20, v18, s[0:1] offset:512
	global_load_b32 v21, v18, s[0:1] offset:1024
	global_load_b32 v22, v18, s[0:1] offset:1536
	global_load_b32 v23, v18, s[0:1] offset:2048
	global_load_b32 v24, v18, s[0:1] offset:2560
	s_mov_b32 s11, 0
	s_waitcnt vmcnt(5)
	v_cmp_ne_u32_e32 vcc_lo, 0, v19
	v_cndmask_b32_e64 v19, 0, 1, vcc_lo
	s_waitcnt vmcnt(4)
	v_cmp_ne_u32_e32 vcc_lo, 0, v20
	v_cndmask_b32_e64 v20, 0, 1, vcc_lo
	;; [unrolled: 3-line block ×6, first 2 shown]
	ds_store_b8 v0, v19
	ds_store_b8 v0, v20 offset:128
	ds_store_b8 v0, v21 offset:256
	;; [unrolled: 1-line block ×5, first 2 shown]
	s_waitcnt lgkmcnt(0)
	s_barrier
.LBB215_10:
	s_and_not1_b32 vcc_lo, exec_lo, s11
	s_cbranch_vccnz .LBB215_24
; %bb.11:
	s_add_i32 s20, s20, s10
	v_dual_mov_b32 v19, 0 :: v_dual_mov_b32 v20, 0
	s_sub_i32 s10, s16, s20
	s_mov_b32 s11, exec_lo
	s_addk_i32 s10, 0x300
	s_delay_alu instid0(SALU_CYCLE_1)
	v_cmpx_gt_u32_e64 s10, v0
	s_cbranch_execz .LBB215_13
; %bb.12:
	global_load_b32 v20, v18, s[0:1]
	s_waitcnt vmcnt(0)
	v_cmp_ne_u32_e32 vcc_lo, 0, v20
	v_cndmask_b32_e64 v20, 0, 1, vcc_lo
.LBB215_13:
	s_or_b32 exec_lo, exec_lo, s11
	v_or_b32_e32 v21, 0x80, v0
	s_mov_b32 s11, exec_lo
	s_delay_alu instid0(VALU_DEP_1)
	v_cmpx_gt_u32_e64 s10, v21
	s_cbranch_execz .LBB215_15
; %bb.14:
	global_load_b32 v19, v18, s[0:1] offset:512
	s_waitcnt vmcnt(0)
	v_cmp_ne_u32_e32 vcc_lo, 0, v19
	v_cndmask_b32_e64 v19, 0, 1, vcc_lo
.LBB215_15:
	s_or_b32 exec_lo, exec_lo, s11
	v_cmp_gt_u32_e32 vcc_lo, s10, v17
	v_mov_b32_e32 v17, 0
	v_mov_b32_e32 v21, 0
	s_and_saveexec_b32 s11, vcc_lo
	s_cbranch_execz .LBB215_17
; %bb.16:
	global_load_b32 v21, v18, s[0:1] offset:1024
	s_waitcnt vmcnt(0)
	v_cmp_ne_u32_e32 vcc_lo, 0, v21
	v_cndmask_b32_e64 v21, 0, 1, vcc_lo
.LBB215_17:
	s_or_b32 exec_lo, exec_lo, s11
	s_delay_alu instid0(SALU_CYCLE_1)
	s_mov_b32 s11, exec_lo
	v_cmpx_gt_u32_e64 s10, v16
	s_cbranch_execz .LBB215_19
; %bb.18:
	global_load_b32 v16, v18, s[0:1] offset:1536
	s_waitcnt vmcnt(0)
	v_cmp_ne_u32_e32 vcc_lo, 0, v16
	v_cndmask_b32_e64 v17, 0, 1, vcc_lo
.LBB215_19:
	s_or_b32 exec_lo, exec_lo, s11
	v_cmp_gt_u32_e32 vcc_lo, s10, v14
	v_mov_b32_e32 v14, 0
	v_mov_b32_e32 v16, 0
	s_and_saveexec_b32 s11, vcc_lo
	s_cbranch_execz .LBB215_21
; %bb.20:
	global_load_b32 v16, v18, s[0:1] offset:2048
	s_waitcnt vmcnt(0)
	v_cmp_ne_u32_e32 vcc_lo, 0, v16
	v_cndmask_b32_e64 v16, 0, 1, vcc_lo
.LBB215_21:
	s_or_b32 exec_lo, exec_lo, s11
	v_cmp_gt_u32_e32 vcc_lo, s10, v13
	s_and_saveexec_b32 s10, vcc_lo
	s_cbranch_execz .LBB215_23
; %bb.22:
	global_load_b32 v13, v18, s[0:1] offset:2560
	s_waitcnt vmcnt(0)
	v_cmp_ne_u32_e32 vcc_lo, 0, v13
	v_cndmask_b32_e64 v14, 0, 1, vcc_lo
.LBB215_23:
	s_or_b32 exec_lo, exec_lo, s10
	ds_store_b8 v0, v20
	ds_store_b8 v0, v19 offset:128
	ds_store_b8 v0, v21 offset:256
	;; [unrolled: 1-line block ×5, first 2 shown]
	s_waitcnt lgkmcnt(0)
	s_barrier
.LBB215_24:
	v_mad_i32_i24 v43, 0xffffffd6, v0, v15
	buffer_gl0_inv
	v_mbcnt_lo_u32_b32 v42, -1, 0
	s_cmp_lg_u32 s9, 0
	s_mov_b32 s1, -1
	ds_load_u16 v36, v43
	ds_load_u16 v33, v43 offset:2
	ds_load_u16 v31, v43 offset:4
	v_mov_b32_e32 v14, 0
	v_and_b32_e32 v44, 15, v42
	s_waitcnt lgkmcnt(0)
	s_barrier
	buffer_gl0_inv
	v_and_b32_e32 v41, 0xff, v36
	v_lshrrev_b16 v34, 8, v36
	v_lshrrev_b16 v35, 8, v33
	v_and_b32_e32 v39, 0xff, v33
	v_lshrrev_b16 v32, 8, v31
	v_and_b32_e32 v37, 0xff, v31
	v_and_b32_e32 v40, 0xffff, v34
	;; [unrolled: 1-line block ×3, first 2 shown]
	s_delay_alu instid0(VALU_DEP_4) | instskip(NEXT) | instid1(VALU_DEP_3)
	v_and_b32_e32 v16, 0xffff, v32
	v_add_co_u32 v13, s0, v40, v41
	s_delay_alu instid0(VALU_DEP_1) | instskip(SKIP_1) | instid1(VALU_DEP_3)
	v_add_co_ci_u32_e64 v15, null, 0, 0, s0
	v_cmp_ne_u32_e64 s0, 0, v44
	v_add_co_u32 v13, vcc_lo, v13, v39
	s_delay_alu instid0(VALU_DEP_3) | instskip(NEXT) | instid1(VALU_DEP_2)
	v_add_co_ci_u32_e32 v15, vcc_lo, 0, v15, vcc_lo
	v_add_co_u32 v13, vcc_lo, v13, v38
	s_delay_alu instid0(VALU_DEP_2) | instskip(NEXT) | instid1(VALU_DEP_2)
	v_add_co_ci_u32_e32 v15, vcc_lo, 0, v15, vcc_lo
	v_add_co_u32 v13, vcc_lo, v13, v37
	s_delay_alu instid0(VALU_DEP_2) | instskip(NEXT) | instid1(VALU_DEP_2)
	v_add_co_ci_u32_e32 v15, vcc_lo, 0, v15, vcc_lo
	v_add_co_u32 v21, vcc_lo, v13, v16
	s_delay_alu instid0(VALU_DEP_2)
	v_add_co_ci_u32_e32 v22, vcc_lo, 0, v15, vcc_lo
	s_cbranch_scc0 .LBB215_88
; %bb.25:
	s_delay_alu instid0(VALU_DEP_2)
	v_mov_b32_e32 v15, v21
	v_mov_b32_dpp v13, v21 row_shr:1 row_mask:0xf bank_mask:0xf
	v_mov_b32_dpp v18, v14 row_shr:1 row_mask:0xf bank_mask:0xf
	v_dual_mov_b32 v17, v21 :: v_dual_mov_b32 v16, v22
	s_and_saveexec_b32 s1, s0
; %bb.26:
	s_delay_alu instid0(VALU_DEP_3) | instskip(SKIP_1) | instid1(VALU_DEP_2)
	v_add_co_u32 v17, vcc_lo, v21, v13
	v_add_co_ci_u32_e32 v14, vcc_lo, 0, v22, vcc_lo
	v_add_co_u32 v13, vcc_lo, 0, v17
	s_delay_alu instid0(VALU_DEP_2) | instskip(NEXT) | instid1(VALU_DEP_1)
	v_add_co_ci_u32_e32 v14, vcc_lo, v18, v14, vcc_lo
	v_dual_mov_b32 v16, v14 :: v_dual_mov_b32 v15, v13
; %bb.27:
	s_or_b32 exec_lo, exec_lo, s1
	v_mov_b32_dpp v13, v17 row_shr:2 row_mask:0xf bank_mask:0xf
	v_mov_b32_dpp v18, v14 row_shr:2 row_mask:0xf bank_mask:0xf
	s_mov_b32 s1, exec_lo
	v_cmpx_lt_u32_e32 1, v44
; %bb.28:
	s_delay_alu instid0(VALU_DEP_3) | instskip(SKIP_1) | instid1(VALU_DEP_2)
	v_add_co_u32 v17, vcc_lo, v15, v13
	v_add_co_ci_u32_e32 v14, vcc_lo, 0, v16, vcc_lo
	v_add_co_u32 v13, vcc_lo, 0, v17
	s_delay_alu instid0(VALU_DEP_2) | instskip(NEXT) | instid1(VALU_DEP_1)
	v_add_co_ci_u32_e32 v14, vcc_lo, v18, v14, vcc_lo
	v_dual_mov_b32 v16, v14 :: v_dual_mov_b32 v15, v13
; %bb.29:
	s_or_b32 exec_lo, exec_lo, s1
	v_mov_b32_dpp v13, v17 row_shr:4 row_mask:0xf bank_mask:0xf
	v_mov_b32_dpp v18, v14 row_shr:4 row_mask:0xf bank_mask:0xf
	s_mov_b32 s1, exec_lo
	v_cmpx_lt_u32_e32 3, v44
	;; [unrolled: 14-line block ×3, first 2 shown]
; %bb.32:
	s_delay_alu instid0(VALU_DEP_3) | instskip(SKIP_1) | instid1(VALU_DEP_2)
	v_add_co_u32 v17, vcc_lo, v15, v18
	v_add_co_ci_u32_e32 v14, vcc_lo, 0, v16, vcc_lo
	v_add_co_u32 v15, vcc_lo, 0, v17
	s_delay_alu instid0(VALU_DEP_2) | instskip(NEXT) | instid1(VALU_DEP_1)
	v_add_co_ci_u32_e32 v16, vcc_lo, v13, v14, vcc_lo
	v_mov_b32_e32 v14, v16
; %bb.33:
	s_or_b32 exec_lo, exec_lo, s1
	ds_swizzle_b32 v13, v17 offset:swizzle(BROADCAST,32,15)
	ds_swizzle_b32 v18, v14 offset:swizzle(BROADCAST,32,15)
	v_and_b32_e32 v19, 16, v42
	s_mov_b32 s1, exec_lo
	s_delay_alu instid0(VALU_DEP_1)
	v_cmpx_ne_u32_e32 0, v19
	s_cbranch_execz .LBB215_35
; %bb.34:
	s_waitcnt lgkmcnt(1)
	v_add_co_u32 v17, vcc_lo, v15, v13
	v_add_co_ci_u32_e32 v14, vcc_lo, 0, v16, vcc_lo
	s_delay_alu instid0(VALU_DEP_2) | instskip(SKIP_1) | instid1(VALU_DEP_2)
	v_add_co_u32 v13, vcc_lo, 0, v17
	s_waitcnt lgkmcnt(0)
	v_add_co_ci_u32_e32 v14, vcc_lo, v18, v14, vcc_lo
	s_delay_alu instid0(VALU_DEP_1)
	v_dual_mov_b32 v16, v14 :: v_dual_mov_b32 v15, v13
.LBB215_35:
	s_or_b32 exec_lo, exec_lo, s1
	s_waitcnt lgkmcnt(0)
	v_or_b32_e32 v18, 31, v0
	v_lshrrev_b32_e32 v13, 5, v0
	s_mov_b32 s1, exec_lo
	s_delay_alu instid0(VALU_DEP_2)
	v_cmpx_eq_u32_e64 v18, v0
	s_cbranch_execz .LBB215_37
; %bb.36:
	s_delay_alu instid0(VALU_DEP_2)
	v_lshlrev_b32_e32 v18, 3, v13
	ds_store_b64 v18, v[15:16]
.LBB215_37:
	s_or_b32 exec_lo, exec_lo, s1
	s_delay_alu instid0(SALU_CYCLE_1)
	s_mov_b32 s1, exec_lo
	s_waitcnt lgkmcnt(0)
	s_barrier
	buffer_gl0_inv
	v_cmpx_gt_u32_e32 4, v0
	s_cbranch_execz .LBB215_43
; %bb.38:
	v_lshlrev_b32_e32 v18, 3, v0
	s_mov_b32 s10, exec_lo
	ds_load_b64 v[15:16], v18
	s_waitcnt lgkmcnt(0)
	v_dual_mov_b32 v20, v15 :: v_dual_and_b32 v19, 3, v42
	v_mov_b32_dpp v24, v15 row_shr:1 row_mask:0xf bank_mask:0xf
	v_mov_b32_dpp v23, v16 row_shr:1 row_mask:0xf bank_mask:0xf
	s_delay_alu instid0(VALU_DEP_3)
	v_cmpx_ne_u32_e32 0, v19
; %bb.39:
	s_delay_alu instid0(VALU_DEP_3) | instskip(SKIP_1) | instid1(VALU_DEP_2)
	v_add_co_u32 v20, vcc_lo, v15, v24
	v_add_co_ci_u32_e32 v16, vcc_lo, 0, v16, vcc_lo
	v_add_co_u32 v15, vcc_lo, 0, v20
	s_delay_alu instid0(VALU_DEP_2)
	v_add_co_ci_u32_e32 v16, vcc_lo, v23, v16, vcc_lo
; %bb.40:
	s_or_b32 exec_lo, exec_lo, s10
	v_mov_b32_dpp v23, v20 row_shr:2 row_mask:0xf bank_mask:0xf
	s_delay_alu instid0(VALU_DEP_2)
	v_mov_b32_dpp v20, v16 row_shr:2 row_mask:0xf bank_mask:0xf
	s_mov_b32 s10, exec_lo
	v_cmpx_lt_u32_e32 1, v19
; %bb.41:
	s_delay_alu instid0(VALU_DEP_3) | instskip(SKIP_1) | instid1(VALU_DEP_2)
	v_add_co_u32 v15, vcc_lo, v15, v23
	v_add_co_ci_u32_e32 v16, vcc_lo, 0, v16, vcc_lo
	v_add_co_u32 v15, vcc_lo, v15, 0
	s_delay_alu instid0(VALU_DEP_2)
	v_add_co_ci_u32_e32 v16, vcc_lo, v16, v20, vcc_lo
; %bb.42:
	s_or_b32 exec_lo, exec_lo, s10
	ds_store_b64 v18, v[15:16]
.LBB215_43:
	s_or_b32 exec_lo, exec_lo, s1
	v_cmp_gt_u32_e32 vcc_lo, 32, v0
	s_mov_b32 s10, exec_lo
	s_waitcnt lgkmcnt(0)
	s_barrier
	buffer_gl0_inv
                                        ; implicit-def: $vgpr23_vgpr24
	v_cmpx_lt_u32_e32 31, v0
	s_cbranch_execz .LBB215_45
; %bb.44:
	v_lshl_add_u32 v13, v13, 3, -8
	ds_load_b64 v[23:24], v13
	s_waitcnt lgkmcnt(0)
	v_add_co_u32 v17, s1, v17, v23
	s_delay_alu instid0(VALU_DEP_1)
	v_add_co_ci_u32_e64 v14, s1, v14, v24, s1
.LBB215_45:
	s_or_b32 exec_lo, exec_lo, s10
	v_add_nc_u32_e32 v13, -1, v42
	s_delay_alu instid0(VALU_DEP_1) | instskip(NEXT) | instid1(VALU_DEP_1)
	v_cmp_gt_i32_e64 s1, 0, v13
	v_cndmask_b32_e64 v13, v13, v42, s1
	v_cmp_eq_u32_e64 s1, 0, v42
	s_delay_alu instid0(VALU_DEP_2)
	v_lshlrev_b32_e32 v13, 2, v13
	ds_bpermute_b32 v29, v13, v17
	ds_bpermute_b32 v30, v13, v14
	s_and_saveexec_b32 s10, vcc_lo
	s_cbranch_execz .LBB215_83
; %bb.46:
	v_mov_b32_e32 v16, 0
	ds_load_b64 v[13:14], v16 offset:24
	s_and_saveexec_b32 s11, s1
	s_cbranch_execz .LBB215_48
; %bb.47:
	s_add_i32 s16, s9, 32
	s_mov_b32 s17, 0
	s_delay_alu instid0(SALU_CYCLE_1) | instskip(NEXT) | instid1(SALU_CYCLE_1)
	s_lshl_b64 s[16:17], s[16:17], 4
	s_add_u32 s16, s14, s16
	s_addc_u32 s17, s15, s17
	s_delay_alu instid0(SALU_CYCLE_1)
	v_dual_mov_b32 v15, 1 :: v_dual_mov_b32 v18, s17
	v_mov_b32_e32 v17, s16
	s_waitcnt lgkmcnt(0)
	;;#ASMSTART
	global_store_dwordx4 v[17:18], v[13:16] off	
s_waitcnt vmcnt(0)
	;;#ASMEND
.LBB215_48:
	s_or_b32 exec_lo, exec_lo, s11
	v_xad_u32 v25, v42, -1, s9
	s_mov_b32 s16, 0
	s_mov_b32 s11, exec_lo
	s_delay_alu instid0(VALU_DEP_1) | instskip(NEXT) | instid1(VALU_DEP_1)
	v_add_nc_u32_e32 v15, 32, v25
	v_lshlrev_b64 v[15:16], 4, v[15:16]
	s_delay_alu instid0(VALU_DEP_1) | instskip(NEXT) | instid1(VALU_DEP_2)
	v_add_co_u32 v15, vcc_lo, s14, v15
	v_add_co_ci_u32_e32 v16, vcc_lo, s15, v16, vcc_lo
	;;#ASMSTART
	global_load_dwordx4 v[17:20], v[15:16] off glc	
s_waitcnt vmcnt(0)
	;;#ASMEND
	v_and_b32_e32 v20, 0xff, v18
	v_and_b32_e32 v26, 0xff00, v18
	v_and_b32_e32 v27, 0xff0000, v18
	v_or3_b32 v17, v17, 0, 0
	v_and_b32_e32 v18, 0xff000000, v18
	s_delay_alu instid0(VALU_DEP_4) | instskip(SKIP_1) | instid1(VALU_DEP_4)
	v_or3_b32 v20, 0, v20, v26
	v_and_b32_e32 v26, 0xff, v19
	v_or3_b32 v17, v17, 0, 0
	s_delay_alu instid0(VALU_DEP_3) | instskip(NEXT) | instid1(VALU_DEP_3)
	v_or3_b32 v18, v20, v27, v18
	v_cmpx_eq_u16_e32 0, v26
	s_cbranch_execz .LBB215_51
.LBB215_49:                             ; =>This Inner Loop Header: Depth=1
	;;#ASMSTART
	global_load_dwordx4 v[17:20], v[15:16] off glc	
s_waitcnt vmcnt(0)
	;;#ASMEND
	v_and_b32_e32 v20, 0xff, v19
	s_delay_alu instid0(VALU_DEP_1) | instskip(SKIP_1) | instid1(SALU_CYCLE_1)
	v_cmp_ne_u16_e32 vcc_lo, 0, v20
	s_or_b32 s16, vcc_lo, s16
	s_and_not1_b32 exec_lo, exec_lo, s16
	s_cbranch_execnz .LBB215_49
; %bb.50:
	s_or_b32 exec_lo, exec_lo, s16
.LBB215_51:
	s_delay_alu instid0(SALU_CYCLE_1)
	s_or_b32 exec_lo, exec_lo, s11
	v_cmp_ne_u32_e32 vcc_lo, 31, v42
	v_and_b32_e32 v16, 0xff, v19
	v_lshlrev_b32_e64 v46, v42, -1
	s_mov_b32 s11, exec_lo
	v_add_co_ci_u32_e32 v15, vcc_lo, 0, v42, vcc_lo
	s_delay_alu instid0(VALU_DEP_3) | instskip(NEXT) | instid1(VALU_DEP_2)
	v_cmp_eq_u16_e32 vcc_lo, 2, v16
	v_dual_mov_b32 v16, v17 :: v_dual_lshlrev_b32 v45, 2, v15
	v_and_or_b32 v15, vcc_lo, v46, 0x80000000
	ds_bpermute_b32 v26, v45, v17
	ds_bpermute_b32 v20, v45, v18
	v_ctz_i32_b32_e32 v15, v15
	s_delay_alu instid0(VALU_DEP_1)
	v_cmpx_lt_u32_e64 v42, v15
	s_cbranch_execz .LBB215_53
; %bb.52:
	s_waitcnt lgkmcnt(1)
	v_add_co_u32 v16, vcc_lo, v17, v26
	v_add_co_ci_u32_e32 v18, vcc_lo, 0, v18, vcc_lo
	s_delay_alu instid0(VALU_DEP_2) | instskip(SKIP_1) | instid1(VALU_DEP_2)
	v_add_co_u32 v17, vcc_lo, 0, v16
	s_waitcnt lgkmcnt(0)
	v_add_co_ci_u32_e32 v18, vcc_lo, v20, v18, vcc_lo
.LBB215_53:
	s_or_b32 exec_lo, exec_lo, s11
	v_cmp_gt_u32_e32 vcc_lo, 30, v42
	v_add_nc_u32_e32 v48, 2, v42
	s_mov_b32 s11, exec_lo
	s_waitcnt lgkmcnt(0)
	v_cndmask_b32_e64 v20, 0, 1, vcc_lo
	s_delay_alu instid0(VALU_DEP_1) | instskip(NEXT) | instid1(VALU_DEP_1)
	v_lshlrev_b32_e32 v20, 1, v20
	v_add_lshl_u32 v47, v20, v42, 2
	ds_bpermute_b32 v26, v47, v16
	ds_bpermute_b32 v20, v47, v18
	v_cmpx_le_u32_e64 v48, v15
	s_cbranch_execz .LBB215_55
; %bb.54:
	s_waitcnt lgkmcnt(1)
	v_add_co_u32 v16, vcc_lo, v17, v26
	v_add_co_ci_u32_e32 v18, vcc_lo, 0, v18, vcc_lo
	s_delay_alu instid0(VALU_DEP_2) | instskip(SKIP_1) | instid1(VALU_DEP_2)
	v_add_co_u32 v17, vcc_lo, 0, v16
	s_waitcnt lgkmcnt(0)
	v_add_co_ci_u32_e32 v18, vcc_lo, v20, v18, vcc_lo
.LBB215_55:
	s_or_b32 exec_lo, exec_lo, s11
	v_cmp_gt_u32_e32 vcc_lo, 28, v42
	v_add_nc_u32_e32 v50, 4, v42
	s_mov_b32 s11, exec_lo
	s_waitcnt lgkmcnt(0)
	v_cndmask_b32_e64 v20, 0, 1, vcc_lo
	s_delay_alu instid0(VALU_DEP_1) | instskip(NEXT) | instid1(VALU_DEP_1)
	v_lshlrev_b32_e32 v20, 2, v20
	v_add_lshl_u32 v49, v20, v42, 2
	ds_bpermute_b32 v26, v49, v16
	ds_bpermute_b32 v20, v49, v18
	v_cmpx_le_u32_e64 v50, v15
	s_cbranch_execz .LBB215_57
; %bb.56:
	s_waitcnt lgkmcnt(1)
	v_add_co_u32 v16, vcc_lo, v17, v26
	v_add_co_ci_u32_e32 v18, vcc_lo, 0, v18, vcc_lo
	s_delay_alu instid0(VALU_DEP_2) | instskip(SKIP_1) | instid1(VALU_DEP_2)
	v_add_co_u32 v17, vcc_lo, 0, v16
	s_waitcnt lgkmcnt(0)
	v_add_co_ci_u32_e32 v18, vcc_lo, v20, v18, vcc_lo
.LBB215_57:
	s_or_b32 exec_lo, exec_lo, s11
	v_cmp_gt_u32_e32 vcc_lo, 24, v42
	v_add_nc_u32_e32 v52, 8, v42
	s_mov_b32 s11, exec_lo
	s_waitcnt lgkmcnt(0)
	v_cndmask_b32_e64 v20, 0, 1, vcc_lo
	s_delay_alu instid0(VALU_DEP_1) | instskip(NEXT) | instid1(VALU_DEP_1)
	v_lshlrev_b32_e32 v20, 3, v20
	v_add_lshl_u32 v51, v20, v42, 2
	ds_bpermute_b32 v26, v51, v16
	ds_bpermute_b32 v20, v51, v18
	v_cmpx_le_u32_e64 v52, v15
	s_cbranch_execz .LBB215_59
; %bb.58:
	s_waitcnt lgkmcnt(1)
	v_add_co_u32 v16, vcc_lo, v17, v26
	v_add_co_ci_u32_e32 v18, vcc_lo, 0, v18, vcc_lo
	s_delay_alu instid0(VALU_DEP_2) | instskip(SKIP_1) | instid1(VALU_DEP_2)
	v_add_co_u32 v17, vcc_lo, 0, v16
	s_waitcnt lgkmcnt(0)
	v_add_co_ci_u32_e32 v18, vcc_lo, v20, v18, vcc_lo
.LBB215_59:
	s_or_b32 exec_lo, exec_lo, s11
	v_cmp_gt_u32_e32 vcc_lo, 16, v42
	v_add_nc_u32_e32 v54, 16, v42
	s_mov_b32 s11, exec_lo
	s_waitcnt lgkmcnt(0)
	v_cndmask_b32_e64 v20, 0, 1, vcc_lo
	s_delay_alu instid0(VALU_DEP_1) | instskip(NEXT) | instid1(VALU_DEP_1)
	v_lshlrev_b32_e32 v20, 4, v20
	v_add_lshl_u32 v53, v20, v42, 2
	ds_bpermute_b32 v20, v53, v16
	ds_bpermute_b32 v16, v53, v18
	v_cmpx_le_u32_e64 v54, v15
	s_cbranch_execz .LBB215_61
; %bb.60:
	s_waitcnt lgkmcnt(1)
	v_add_co_u32 v15, vcc_lo, v17, v20
	v_add_co_ci_u32_e32 v18, vcc_lo, 0, v18, vcc_lo
	s_delay_alu instid0(VALU_DEP_2) | instskip(SKIP_1) | instid1(VALU_DEP_2)
	v_add_co_u32 v17, vcc_lo, v15, 0
	s_waitcnt lgkmcnt(0)
	v_add_co_ci_u32_e32 v18, vcc_lo, v18, v16, vcc_lo
.LBB215_61:
	s_or_b32 exec_lo, exec_lo, s11
	v_mov_b32_e32 v26, 0
	s_branch .LBB215_63
.LBB215_62:                             ;   in Loop: Header=BB215_63 Depth=1
	s_or_b32 exec_lo, exec_lo, s11
	v_add_co_u32 v17, vcc_lo, v17, v15
	v_subrev_nc_u32_e32 v25, 32, v25
	v_add_co_ci_u32_e32 v18, vcc_lo, v18, v16, vcc_lo
.LBB215_63:                             ; =>This Loop Header: Depth=1
                                        ;     Child Loop BB215_66 Depth 2
	v_and_b32_e32 v15, 0xff, v19
	s_delay_alu instid0(VALU_DEP_1) | instskip(SKIP_2) | instid1(VALU_DEP_1)
	v_cmp_ne_u16_e32 vcc_lo, 2, v15
	v_cndmask_b32_e64 v15, 0, 1, vcc_lo
	;;#ASMSTART
	;;#ASMEND
	v_cmp_ne_u32_e32 vcc_lo, 0, v15
	s_waitcnt lgkmcnt(0)
	v_dual_mov_b32 v15, v17 :: v_dual_mov_b32 v16, v18
	s_cmp_lg_u32 vcc_lo, exec_lo
	s_cbranch_scc1 .LBB215_78
; %bb.64:                               ;   in Loop: Header=BB215_63 Depth=1
	v_lshlrev_b64 v[17:18], 4, v[25:26]
	s_mov_b32 s11, exec_lo
	s_delay_alu instid0(VALU_DEP_1) | instskip(NEXT) | instid1(VALU_DEP_2)
	v_add_co_u32 v27, vcc_lo, s14, v17
	v_add_co_ci_u32_e32 v28, vcc_lo, s15, v18, vcc_lo
	;;#ASMSTART
	global_load_dwordx4 v[17:20], v[27:28] off glc	
s_waitcnt vmcnt(0)
	;;#ASMEND
	v_and_b32_e32 v20, 0xff, v18
	v_and_b32_e32 v55, 0xff00, v18
	;; [unrolled: 1-line block ×3, first 2 shown]
	v_or3_b32 v17, v17, 0, 0
	v_and_b32_e32 v18, 0xff000000, v18
	s_delay_alu instid0(VALU_DEP_4) | instskip(SKIP_1) | instid1(VALU_DEP_4)
	v_or3_b32 v20, 0, v20, v55
	v_and_b32_e32 v55, 0xff, v19
	v_or3_b32 v17, v17, 0, 0
	s_delay_alu instid0(VALU_DEP_3) | instskip(NEXT) | instid1(VALU_DEP_3)
	v_or3_b32 v18, v20, v56, v18
	v_cmpx_eq_u16_e32 0, v55
	s_cbranch_execz .LBB215_68
; %bb.65:                               ;   in Loop: Header=BB215_63 Depth=1
	s_mov_b32 s16, 0
.LBB215_66:                             ;   Parent Loop BB215_63 Depth=1
                                        ; =>  This Inner Loop Header: Depth=2
	;;#ASMSTART
	global_load_dwordx4 v[17:20], v[27:28] off glc	
s_waitcnt vmcnt(0)
	;;#ASMEND
	v_and_b32_e32 v20, 0xff, v19
	s_delay_alu instid0(VALU_DEP_1) | instskip(SKIP_1) | instid1(SALU_CYCLE_1)
	v_cmp_ne_u16_e32 vcc_lo, 0, v20
	s_or_b32 s16, vcc_lo, s16
	s_and_not1_b32 exec_lo, exec_lo, s16
	s_cbranch_execnz .LBB215_66
; %bb.67:                               ;   in Loop: Header=BB215_63 Depth=1
	s_or_b32 exec_lo, exec_lo, s16
.LBB215_68:                             ;   in Loop: Header=BB215_63 Depth=1
	s_delay_alu instid0(SALU_CYCLE_1)
	s_or_b32 exec_lo, exec_lo, s11
	v_dual_mov_b32 v27, v17 :: v_dual_and_b32 v20, 0xff, v19
	ds_bpermute_b32 v55, v45, v17
	ds_bpermute_b32 v28, v45, v18
	s_mov_b32 s11, exec_lo
	v_cmp_eq_u16_e32 vcc_lo, 2, v20
	v_and_or_b32 v20, vcc_lo, v46, 0x80000000
	s_delay_alu instid0(VALU_DEP_1) | instskip(NEXT) | instid1(VALU_DEP_1)
	v_ctz_i32_b32_e32 v20, v20
	v_cmpx_lt_u32_e64 v42, v20
	s_cbranch_execz .LBB215_70
; %bb.69:                               ;   in Loop: Header=BB215_63 Depth=1
	s_waitcnt lgkmcnt(1)
	v_add_co_u32 v27, vcc_lo, v17, v55
	v_add_co_ci_u32_e32 v18, vcc_lo, 0, v18, vcc_lo
	s_delay_alu instid0(VALU_DEP_2) | instskip(SKIP_1) | instid1(VALU_DEP_2)
	v_add_co_u32 v17, vcc_lo, 0, v27
	s_waitcnt lgkmcnt(0)
	v_add_co_ci_u32_e32 v18, vcc_lo, v28, v18, vcc_lo
.LBB215_70:                             ;   in Loop: Header=BB215_63 Depth=1
	s_or_b32 exec_lo, exec_lo, s11
	s_waitcnt lgkmcnt(1)
	ds_bpermute_b32 v55, v47, v27
	s_waitcnt lgkmcnt(1)
	ds_bpermute_b32 v28, v47, v18
	s_mov_b32 s11, exec_lo
	v_cmpx_le_u32_e64 v48, v20
	s_cbranch_execz .LBB215_72
; %bb.71:                               ;   in Loop: Header=BB215_63 Depth=1
	s_waitcnt lgkmcnt(1)
	v_add_co_u32 v27, vcc_lo, v17, v55
	v_add_co_ci_u32_e32 v18, vcc_lo, 0, v18, vcc_lo
	s_delay_alu instid0(VALU_DEP_2) | instskip(SKIP_1) | instid1(VALU_DEP_2)
	v_add_co_u32 v17, vcc_lo, 0, v27
	s_waitcnt lgkmcnt(0)
	v_add_co_ci_u32_e32 v18, vcc_lo, v28, v18, vcc_lo
.LBB215_72:                             ;   in Loop: Header=BB215_63 Depth=1
	s_or_b32 exec_lo, exec_lo, s11
	s_waitcnt lgkmcnt(1)
	ds_bpermute_b32 v55, v49, v27
	s_waitcnt lgkmcnt(1)
	ds_bpermute_b32 v28, v49, v18
	s_mov_b32 s11, exec_lo
	v_cmpx_le_u32_e64 v50, v20
	;; [unrolled: 17-line block ×3, first 2 shown]
	s_cbranch_execz .LBB215_76
; %bb.75:                               ;   in Loop: Header=BB215_63 Depth=1
	s_waitcnt lgkmcnt(1)
	v_add_co_u32 v27, vcc_lo, v17, v55
	v_add_co_ci_u32_e32 v18, vcc_lo, 0, v18, vcc_lo
	s_delay_alu instid0(VALU_DEP_2) | instskip(SKIP_1) | instid1(VALU_DEP_2)
	v_add_co_u32 v17, vcc_lo, 0, v27
	s_waitcnt lgkmcnt(0)
	v_add_co_ci_u32_e32 v18, vcc_lo, v28, v18, vcc_lo
.LBB215_76:                             ;   in Loop: Header=BB215_63 Depth=1
	s_or_b32 exec_lo, exec_lo, s11
	s_waitcnt lgkmcnt(0)
	ds_bpermute_b32 v28, v53, v27
	ds_bpermute_b32 v27, v53, v18
	s_mov_b32 s11, exec_lo
	v_cmpx_le_u32_e64 v54, v20
	s_cbranch_execz .LBB215_62
; %bb.77:                               ;   in Loop: Header=BB215_63 Depth=1
	s_waitcnt lgkmcnt(1)
	v_add_co_u32 v17, vcc_lo, v17, v28
	v_add_co_ci_u32_e32 v18, vcc_lo, 0, v18, vcc_lo
	s_delay_alu instid0(VALU_DEP_2) | instskip(SKIP_1) | instid1(VALU_DEP_2)
	v_add_co_u32 v17, vcc_lo, v17, 0
	s_waitcnt lgkmcnt(0)
	v_add_co_ci_u32_e32 v18, vcc_lo, v18, v27, vcc_lo
	s_branch .LBB215_62
.LBB215_78:                             ;   in Loop: Header=BB215_63 Depth=1
                                        ; implicit-def: $vgpr17_vgpr18
	s_cbranch_execz .LBB215_63
; %bb.79:
	s_and_saveexec_b32 s11, s1
	s_cbranch_execz .LBB215_81
; %bb.80:
	s_add_i32 s16, s9, 32
	s_mov_b32 s17, 0
	v_add_co_u32 v17, vcc_lo, v15, v13
	s_lshl_b64 s[16:17], s[16:17], 4
	v_dual_mov_b32 v19, 2 :: v_dual_mov_b32 v20, 0
	s_add_u32 s16, s14, s16
	s_addc_u32 s17, s15, s17
	v_add_co_ci_u32_e32 v18, vcc_lo, v16, v14, vcc_lo
	v_dual_mov_b32 v26, s17 :: v_dual_mov_b32 v25, s16
	;;#ASMSTART
	global_store_dwordx4 v[25:26], v[17:20] off	
s_waitcnt vmcnt(0)
	;;#ASMEND
	ds_store_b128 v20, v[13:16] offset:6144
.LBB215_81:
	s_or_b32 exec_lo, exec_lo, s11
	s_delay_alu instid0(SALU_CYCLE_1)
	s_and_b32 exec_lo, exec_lo, s2
	s_cbranch_execz .LBB215_83
; %bb.82:
	v_mov_b32_e32 v13, 0
	ds_store_b64 v13, v[15:16] offset:24
.LBB215_83:
	s_or_b32 exec_lo, exec_lo, s10
	v_mov_b32_e32 v15, 0
	s_waitcnt lgkmcnt(0)
	s_barrier
	buffer_gl0_inv
	v_cndmask_b32_e64 v16, v29, v23, s1
	ds_load_b64 v[13:14], v15 offset:24
	v_cndmask_b32_e64 v17, v30, v24, s1
	s_waitcnt lgkmcnt(0)
	s_barrier
	v_cndmask_b32_e64 v16, v16, 0, s2
	buffer_gl0_inv
	v_cndmask_b32_e64 v17, v17, 0, s2
	v_add_co_u32 v29, vcc_lo, v13, v16
	s_delay_alu instid0(VALU_DEP_2) | instskip(SKIP_3) | instid1(VALU_DEP_2)
	v_add_co_ci_u32_e32 v30, vcc_lo, v14, v17, vcc_lo
	ds_load_b128 v[13:16], v15 offset:6144
	v_add_co_u32 v27, vcc_lo, v29, v41
	v_add_co_ci_u32_e32 v28, vcc_lo, 0, v30, vcc_lo
	v_add_co_u32 v25, vcc_lo, v27, v40
	s_delay_alu instid0(VALU_DEP_2) | instskip(NEXT) | instid1(VALU_DEP_2)
	v_add_co_ci_u32_e32 v26, vcc_lo, 0, v28, vcc_lo
	v_add_co_u32 v23, vcc_lo, v25, v39
	s_delay_alu instid0(VALU_DEP_2) | instskip(NEXT) | instid1(VALU_DEP_2)
	;; [unrolled: 3-line block ×3, first 2 shown]
	v_add_co_ci_u32_e32 v20, vcc_lo, 0, v24, vcc_lo
	v_add_co_u32 v17, vcc_lo, v19, v37
	s_delay_alu instid0(VALU_DEP_2)
	v_add_co_ci_u32_e32 v18, vcc_lo, 0, v20, vcc_lo
.LBB215_84:
	s_waitcnt lgkmcnt(0)
	v_cmp_gt_u64_e32 vcc_lo, 0x81, v[13:14]
	s_mov_b32 s0, -1
	s_cbranch_vccnz .LBB215_112
.LBB215_85:
	s_and_b32 vcc_lo, exec_lo, s0
	s_cbranch_vccnz .LBB215_131
.LBB215_86:
	s_and_b32 s0, s2, s3
	s_delay_alu instid0(SALU_CYCLE_1)
	s_and_saveexec_b32 s1, s0
	s_cbranch_execnz .LBB215_147
.LBB215_87:
	s_nop 0
	s_sendmsg sendmsg(MSG_DEALLOC_VGPRS)
	s_endpgm
.LBB215_88:
                                        ; kill: def $vgpr13_vgpr14 killed $sgpr0_sgpr1 killed $exec
                                        ; implicit-def: $vgpr17_vgpr18
                                        ; implicit-def: $vgpr19_vgpr20
                                        ; implicit-def: $vgpr23_vgpr24
                                        ; implicit-def: $vgpr25_vgpr26
                                        ; implicit-def: $vgpr27_vgpr28
                                        ; implicit-def: $vgpr29_vgpr30
                                        ; implicit-def: $vgpr15_vgpr16
	s_and_b32 vcc_lo, exec_lo, s1
	s_cbranch_vccz .LBB215_84
; %bb.89:
	s_waitcnt lgkmcnt(0)
	v_dual_mov_b32 v14, 0 :: v_dual_mov_b32 v15, v21
	v_mov_b32_dpp v16, v21 row_shr:1 row_mask:0xf bank_mask:0xf
	s_delay_alu instid0(VALU_DEP_2)
	v_mov_b32_dpp v13, v14 row_shr:1 row_mask:0xf bank_mask:0xf
	s_and_saveexec_b32 s1, s0
; %bb.90:
	s_delay_alu instid0(VALU_DEP_2) | instskip(SKIP_1) | instid1(VALU_DEP_2)
	v_add_co_u32 v15, vcc_lo, v21, v16
	v_add_co_ci_u32_e32 v14, vcc_lo, 0, v22, vcc_lo
	v_add_co_u32 v21, vcc_lo, 0, v15
	s_delay_alu instid0(VALU_DEP_2) | instskip(NEXT) | instid1(VALU_DEP_1)
	v_add_co_ci_u32_e32 v22, vcc_lo, v13, v14, vcc_lo
	v_mov_b32_e32 v14, v22
; %bb.91:
	s_or_b32 exec_lo, exec_lo, s1
	v_mov_b32_dpp v13, v15 row_shr:2 row_mask:0xf bank_mask:0xf
	s_delay_alu instid0(VALU_DEP_2)
	v_mov_b32_dpp v16, v14 row_shr:2 row_mask:0xf bank_mask:0xf
	s_mov_b32 s0, exec_lo
	v_cmpx_lt_u32_e32 1, v44
; %bb.92:
	s_delay_alu instid0(VALU_DEP_3) | instskip(SKIP_1) | instid1(VALU_DEP_2)
	v_add_co_u32 v15, vcc_lo, v21, v13
	v_add_co_ci_u32_e32 v14, vcc_lo, 0, v22, vcc_lo
	v_add_co_u32 v13, vcc_lo, 0, v15
	s_delay_alu instid0(VALU_DEP_2) | instskip(NEXT) | instid1(VALU_DEP_1)
	v_add_co_ci_u32_e32 v14, vcc_lo, v16, v14, vcc_lo
	v_dual_mov_b32 v22, v14 :: v_dual_mov_b32 v21, v13
; %bb.93:
	s_or_b32 exec_lo, exec_lo, s0
	v_mov_b32_dpp v13, v15 row_shr:4 row_mask:0xf bank_mask:0xf
	v_mov_b32_dpp v16, v14 row_shr:4 row_mask:0xf bank_mask:0xf
	s_mov_b32 s0, exec_lo
	v_cmpx_lt_u32_e32 3, v44
; %bb.94:
	s_delay_alu instid0(VALU_DEP_3) | instskip(SKIP_1) | instid1(VALU_DEP_2)
	v_add_co_u32 v15, vcc_lo, v21, v13
	v_add_co_ci_u32_e32 v14, vcc_lo, 0, v22, vcc_lo
	v_add_co_u32 v13, vcc_lo, 0, v15
	s_delay_alu instid0(VALU_DEP_2) | instskip(NEXT) | instid1(VALU_DEP_1)
	v_add_co_ci_u32_e32 v14, vcc_lo, v16, v14, vcc_lo
	v_dual_mov_b32 v22, v14 :: v_dual_mov_b32 v21, v13
; %bb.95:
	s_or_b32 exec_lo, exec_lo, s0
	v_mov_b32_dpp v16, v15 row_shr:8 row_mask:0xf bank_mask:0xf
	v_mov_b32_dpp v13, v14 row_shr:8 row_mask:0xf bank_mask:0xf
	s_mov_b32 s0, exec_lo
	v_cmpx_lt_u32_e32 7, v44
; %bb.96:
	s_delay_alu instid0(VALU_DEP_3) | instskip(SKIP_1) | instid1(VALU_DEP_2)
	v_add_co_u32 v15, vcc_lo, v21, v16
	v_add_co_ci_u32_e32 v14, vcc_lo, 0, v22, vcc_lo
	v_add_co_u32 v21, vcc_lo, 0, v15
	s_delay_alu instid0(VALU_DEP_2) | instskip(NEXT) | instid1(VALU_DEP_1)
	v_add_co_ci_u32_e32 v22, vcc_lo, v13, v14, vcc_lo
	v_mov_b32_e32 v14, v22
; %bb.97:
	s_or_b32 exec_lo, exec_lo, s0
	ds_swizzle_b32 v15, v15 offset:swizzle(BROADCAST,32,15)
	ds_swizzle_b32 v13, v14 offset:swizzle(BROADCAST,32,15)
	v_and_b32_e32 v14, 16, v42
	s_mov_b32 s0, exec_lo
	s_delay_alu instid0(VALU_DEP_1)
	v_cmpx_ne_u32_e32 0, v14
	s_cbranch_execz .LBB215_99
; %bb.98:
	s_waitcnt lgkmcnt(1)
	v_add_co_u32 v14, vcc_lo, v21, v15
	v_add_co_ci_u32_e32 v15, vcc_lo, 0, v22, vcc_lo
	s_delay_alu instid0(VALU_DEP_2) | instskip(SKIP_1) | instid1(VALU_DEP_2)
	v_add_co_u32 v21, vcc_lo, v14, 0
	s_waitcnt lgkmcnt(0)
	v_add_co_ci_u32_e32 v22, vcc_lo, v15, v13, vcc_lo
.LBB215_99:
	s_or_b32 exec_lo, exec_lo, s0
	s_waitcnt lgkmcnt(0)
	v_or_b32_e32 v13, 31, v0
	v_lshrrev_b32_e32 v15, 5, v0
	s_mov_b32 s0, exec_lo
	s_delay_alu instid0(VALU_DEP_2)
	v_cmpx_eq_u32_e64 v13, v0
	s_cbranch_execz .LBB215_101
; %bb.100:
	s_delay_alu instid0(VALU_DEP_2)
	v_lshlrev_b32_e32 v13, 3, v15
	ds_store_b64 v13, v[21:22]
.LBB215_101:
	s_or_b32 exec_lo, exec_lo, s0
	s_delay_alu instid0(SALU_CYCLE_1)
	s_mov_b32 s0, exec_lo
	s_waitcnt lgkmcnt(0)
	s_barrier
	buffer_gl0_inv
	v_cmpx_gt_u32_e32 4, v0
	s_cbranch_execz .LBB215_107
; %bb.102:
	v_lshlrev_b32_e32 v13, 1, v0
	s_mov_b32 s1, exec_lo
	s_delay_alu instid0(VALU_DEP_1)
	v_add_nc_u32_e32 v16, v43, v13
	ds_load_b64 v[13:14], v16
	s_waitcnt lgkmcnt(0)
	v_dual_mov_b32 v18, v13 :: v_dual_and_b32 v17, 3, v42
	v_mov_b32_dpp v20, v13 row_shr:1 row_mask:0xf bank_mask:0xf
	v_mov_b32_dpp v19, v14 row_shr:1 row_mask:0xf bank_mask:0xf
	s_delay_alu instid0(VALU_DEP_3)
	v_cmpx_ne_u32_e32 0, v17
; %bb.103:
	s_delay_alu instid0(VALU_DEP_3) | instskip(SKIP_1) | instid1(VALU_DEP_2)
	v_add_co_u32 v18, vcc_lo, v13, v20
	v_add_co_ci_u32_e32 v14, vcc_lo, 0, v14, vcc_lo
	v_add_co_u32 v13, vcc_lo, 0, v18
	s_delay_alu instid0(VALU_DEP_2)
	v_add_co_ci_u32_e32 v14, vcc_lo, v19, v14, vcc_lo
; %bb.104:
	s_or_b32 exec_lo, exec_lo, s1
	v_mov_b32_dpp v19, v18 row_shr:2 row_mask:0xf bank_mask:0xf
	s_delay_alu instid0(VALU_DEP_2)
	v_mov_b32_dpp v18, v14 row_shr:2 row_mask:0xf bank_mask:0xf
	s_mov_b32 s1, exec_lo
	v_cmpx_lt_u32_e32 1, v17
; %bb.105:
	s_delay_alu instid0(VALU_DEP_3) | instskip(SKIP_1) | instid1(VALU_DEP_2)
	v_add_co_u32 v13, vcc_lo, v13, v19
	v_add_co_ci_u32_e32 v14, vcc_lo, 0, v14, vcc_lo
	v_add_co_u32 v13, vcc_lo, v13, 0
	s_delay_alu instid0(VALU_DEP_2)
	v_add_co_ci_u32_e32 v14, vcc_lo, v14, v18, vcc_lo
; %bb.106:
	s_or_b32 exec_lo, exec_lo, s1
	ds_store_b64 v16, v[13:14]
.LBB215_107:
	s_or_b32 exec_lo, exec_lo, s0
	v_mov_b32_e32 v17, 0
	v_mov_b32_e32 v18, 0
	s_mov_b32 s0, exec_lo
	s_waitcnt lgkmcnt(0)
	s_barrier
	buffer_gl0_inv
	v_cmpx_lt_u32_e32 31, v0
	s_cbranch_execz .LBB215_109
; %bb.108:
	v_lshl_add_u32 v13, v15, 3, -8
	ds_load_b64 v[17:18], v13
.LBB215_109:
	s_or_b32 exec_lo, exec_lo, s0
	v_dual_mov_b32 v16, 0 :: v_dual_add_nc_u32 v13, -1, v42
	s_delay_alu instid0(VALU_DEP_1) | instskip(SKIP_4) | instid1(VALU_DEP_3)
	v_cmp_gt_i32_e32 vcc_lo, 0, v13
	v_cndmask_b32_e32 v13, v13, v42, vcc_lo
	s_waitcnt lgkmcnt(0)
	v_add_co_u32 v14, vcc_lo, v17, v21
	v_add_co_ci_u32_e32 v15, vcc_lo, v18, v22, vcc_lo
	v_lshlrev_b32_e32 v13, 2, v13
	ds_bpermute_b32 v19, v13, v14
	ds_bpermute_b32 v20, v13, v15
	ds_load_b64 v[13:14], v16 offset:24
	s_and_saveexec_b32 s0, s2
	s_cbranch_execz .LBB215_111
; %bb.110:
	s_add_u32 s10, s14, 0x200
	s_addc_u32 s11, s15, 0
	s_delay_alu instid0(SALU_CYCLE_1)
	v_dual_mov_b32 v15, 2 :: v_dual_mov_b32 v22, s11
	v_mov_b32_e32 v21, s10
	s_waitcnt lgkmcnt(0)
	;;#ASMSTART
	global_store_dwordx4 v[21:22], v[13:16] off	
s_waitcnt vmcnt(0)
	;;#ASMEND
.LBB215_111:
	s_or_b32 exec_lo, exec_lo, s0
	v_cmp_eq_u32_e32 vcc_lo, 0, v42
	s_waitcnt lgkmcnt(0)
	s_barrier
	buffer_gl0_inv
	v_dual_cndmask_b32 v15, v19, v17 :: v_dual_cndmask_b32 v16, v20, v18
	s_delay_alu instid0(VALU_DEP_1) | instskip(NEXT) | instid1(VALU_DEP_2)
	v_cndmask_b32_e64 v29, v15, 0, s2
	v_cndmask_b32_e64 v30, v16, 0, s2
	v_mov_b32_e32 v15, 0
	v_mov_b32_e32 v16, 0
	s_delay_alu instid0(VALU_DEP_4) | instskip(NEXT) | instid1(VALU_DEP_4)
	v_add_co_u32 v27, vcc_lo, v29, v41
	v_add_co_ci_u32_e32 v28, vcc_lo, 0, v30, vcc_lo
	s_delay_alu instid0(VALU_DEP_2) | instskip(NEXT) | instid1(VALU_DEP_2)
	v_add_co_u32 v25, vcc_lo, v27, v40
	v_add_co_ci_u32_e32 v26, vcc_lo, 0, v28, vcc_lo
	s_delay_alu instid0(VALU_DEP_2) | instskip(NEXT) | instid1(VALU_DEP_2)
	;; [unrolled: 3-line block ×4, first 2 shown]
	v_add_co_u32 v17, vcc_lo, v19, v37
	v_add_co_ci_u32_e32 v18, vcc_lo, 0, v20, vcc_lo
	v_cmp_gt_u64_e32 vcc_lo, 0x81, v[13:14]
	s_mov_b32 s0, -1
	s_cbranch_vccz .LBB215_85
.LBB215_112:
	v_add_co_u32 v21, vcc_lo, v15, v13
	v_add_co_ci_u32_e32 v22, vcc_lo, v16, v14, vcc_lo
	s_delay_alu instid0(VALU_DEP_1) | instskip(SKIP_1) | instid1(SALU_CYCLE_1)
	v_cmp_lt_u64_e32 vcc_lo, v[29:30], v[21:22]
	s_or_b32 s1, s8, vcc_lo
	s_and_saveexec_b32 s0, s1
	s_cbranch_execz .LBB215_115
; %bb.113:
	v_and_b32_e32 v37, 1, v36
	s_delay_alu instid0(VALU_DEP_1)
	v_cmp_eq_u32_e32 vcc_lo, 1, v37
	s_and_b32 exec_lo, exec_lo, vcc_lo
	s_cbranch_execz .LBB215_115
; %bb.114:
	v_lshlrev_b64 v[37:38], 3, v[29:30]
	s_lshl_b64 s[10:11], s[6:7], 3
	s_delay_alu instid0(SALU_CYCLE_1) | instskip(SKIP_1) | instid1(VALU_DEP_1)
	s_add_u32 s1, s12, s10
	s_addc_u32 s9, s13, s11
	v_add_co_u32 v37, vcc_lo, s1, v37
	s_delay_alu instid0(VALU_DEP_2)
	v_add_co_ci_u32_e32 v38, vcc_lo, s9, v38, vcc_lo
	global_store_b64 v[37:38], v[9:10], off
.LBB215_115:
	s_or_b32 exec_lo, exec_lo, s0
	v_cmp_lt_u64_e32 vcc_lo, v[27:28], v[21:22]
	s_or_b32 s1, s8, vcc_lo
	s_delay_alu instid0(SALU_CYCLE_1)
	s_and_saveexec_b32 s0, s1
	s_cbranch_execz .LBB215_118
; %bb.116:
	v_and_b32_e32 v30, 1, v34
	s_delay_alu instid0(VALU_DEP_1)
	v_cmp_eq_u32_e32 vcc_lo, 1, v30
	s_and_b32 exec_lo, exec_lo, vcc_lo
	s_cbranch_execz .LBB215_118
; %bb.117:
	v_lshlrev_b64 v[37:38], 3, v[27:28]
	s_lshl_b64 s[10:11], s[6:7], 3
	s_delay_alu instid0(SALU_CYCLE_1) | instskip(SKIP_1) | instid1(VALU_DEP_1)
	s_add_u32 s1, s12, s10
	s_addc_u32 s9, s13, s11
	v_add_co_u32 v37, vcc_lo, s1, v37
	s_delay_alu instid0(VALU_DEP_2)
	v_add_co_ci_u32_e32 v38, vcc_lo, s9, v38, vcc_lo
	global_store_b64 v[37:38], v[11:12], off
.LBB215_118:
	s_or_b32 exec_lo, exec_lo, s0
	v_cmp_lt_u64_e32 vcc_lo, v[25:26], v[21:22]
	s_or_b32 s1, s8, vcc_lo
	s_delay_alu instid0(SALU_CYCLE_1)
	s_and_saveexec_b32 s0, s1
	s_cbranch_execz .LBB215_121
; %bb.119:
	v_and_b32_e32 v28, 1, v33
	s_delay_alu instid0(VALU_DEP_1)
	v_cmp_eq_u32_e32 vcc_lo, 1, v28
	s_and_b32 exec_lo, exec_lo, vcc_lo
	s_cbranch_execz .LBB215_121
; %bb.120:
	v_lshlrev_b64 v[37:38], 3, v[25:26]
	s_lshl_b64 s[10:11], s[6:7], 3
	s_delay_alu instid0(SALU_CYCLE_1) | instskip(SKIP_1) | instid1(VALU_DEP_1)
	s_add_u32 s1, s12, s10
	s_addc_u32 s9, s13, s11
	v_add_co_u32 v37, vcc_lo, s1, v37
	s_delay_alu instid0(VALU_DEP_2)
	v_add_co_ci_u32_e32 v38, vcc_lo, s9, v38, vcc_lo
	global_store_b64 v[37:38], v[5:6], off
.LBB215_121:
	s_or_b32 exec_lo, exec_lo, s0
	v_cmp_lt_u64_e32 vcc_lo, v[23:24], v[21:22]
	s_or_b32 s1, s8, vcc_lo
	s_delay_alu instid0(SALU_CYCLE_1)
	s_and_saveexec_b32 s0, s1
	s_cbranch_execz .LBB215_124
; %bb.122:
	v_and_b32_e32 v26, 1, v35
	s_delay_alu instid0(VALU_DEP_1)
	v_cmp_eq_u32_e32 vcc_lo, 1, v26
	s_and_b32 exec_lo, exec_lo, vcc_lo
	s_cbranch_execz .LBB215_124
; %bb.123:
	v_lshlrev_b64 v[37:38], 3, v[23:24]
	s_lshl_b64 s[10:11], s[6:7], 3
	s_delay_alu instid0(SALU_CYCLE_1) | instskip(SKIP_1) | instid1(VALU_DEP_1)
	s_add_u32 s1, s12, s10
	s_addc_u32 s9, s13, s11
	v_add_co_u32 v37, vcc_lo, s1, v37
	s_delay_alu instid0(VALU_DEP_2)
	v_add_co_ci_u32_e32 v38, vcc_lo, s9, v38, vcc_lo
	global_store_b64 v[37:38], v[7:8], off
.LBB215_124:
	s_or_b32 exec_lo, exec_lo, s0
	v_cmp_lt_u64_e32 vcc_lo, v[19:20], v[21:22]
	s_or_b32 s1, s8, vcc_lo
	s_delay_alu instid0(SALU_CYCLE_1)
	s_and_saveexec_b32 s0, s1
	s_cbranch_execz .LBB215_127
; %bb.125:
	v_and_b32_e32 v24, 1, v31
	s_delay_alu instid0(VALU_DEP_1)
	v_cmp_eq_u32_e32 vcc_lo, 1, v24
	s_and_b32 exec_lo, exec_lo, vcc_lo
	s_cbranch_execz .LBB215_127
; %bb.126:
	v_lshlrev_b64 v[37:38], 3, v[19:20]
	s_lshl_b64 s[10:11], s[6:7], 3
	s_delay_alu instid0(SALU_CYCLE_1) | instskip(SKIP_1) | instid1(VALU_DEP_1)
	s_add_u32 s1, s12, s10
	s_addc_u32 s9, s13, s11
	v_add_co_u32 v37, vcc_lo, s1, v37
	s_delay_alu instid0(VALU_DEP_2)
	v_add_co_ci_u32_e32 v38, vcc_lo, s9, v38, vcc_lo
	global_store_b64 v[37:38], v[1:2], off
.LBB215_127:
	s_or_b32 exec_lo, exec_lo, s0
	v_cmp_lt_u64_e32 vcc_lo, v[17:18], v[21:22]
	s_or_b32 s1, s8, vcc_lo
	s_delay_alu instid0(SALU_CYCLE_1)
	s_and_saveexec_b32 s0, s1
	s_cbranch_execz .LBB215_130
; %bb.128:
	v_and_b32_e32 v20, 1, v32
	s_delay_alu instid0(VALU_DEP_1)
	v_cmp_eq_u32_e32 vcc_lo, 1, v20
	s_and_b32 exec_lo, exec_lo, vcc_lo
	s_cbranch_execz .LBB215_130
; %bb.129:
	v_lshlrev_b64 v[20:21], 3, v[17:18]
	s_lshl_b64 s[8:9], s[6:7], 3
	s_delay_alu instid0(SALU_CYCLE_1) | instskip(SKIP_1) | instid1(VALU_DEP_1)
	s_add_u32 s1, s12, s8
	s_addc_u32 s8, s13, s9
	v_add_co_u32 v20, vcc_lo, s1, v20
	s_delay_alu instid0(VALU_DEP_2)
	v_add_co_ci_u32_e32 v21, vcc_lo, s8, v21, vcc_lo
	global_store_b64 v[20:21], v[3:4], off
.LBB215_130:
	s_or_b32 exec_lo, exec_lo, s0
	s_branch .LBB215_86
.LBB215_131:
	v_and_b32_e32 v18, 1, v36
	s_mov_b32 s0, exec_lo
	s_delay_alu instid0(VALU_DEP_1)
	v_cmpx_eq_u32_e32 1, v18
	s_cbranch_execz .LBB215_133
; %bb.132:
	v_sub_nc_u32_e32 v18, v29, v15
	s_delay_alu instid0(VALU_DEP_1)
	v_lshlrev_b32_e32 v18, 3, v18
	ds_store_b64 v18, v[9:10]
.LBB215_133:
	s_or_b32 exec_lo, exec_lo, s0
	v_and_b32_e32 v9, 1, v34
	s_mov_b32 s0, exec_lo
	s_delay_alu instid0(VALU_DEP_1)
	v_cmpx_eq_u32_e32 1, v9
	s_cbranch_execz .LBB215_135
; %bb.134:
	v_sub_nc_u32_e32 v9, v27, v15
	s_delay_alu instid0(VALU_DEP_1)
	v_lshlrev_b32_e32 v9, 3, v9
	ds_store_b64 v9, v[11:12]
.LBB215_135:
	s_or_b32 exec_lo, exec_lo, s0
	;; [unrolled: 12-line block ×6, first 2 shown]
	v_mov_b32_e32 v1, 0
	s_mov_b32 s1, exec_lo
	s_waitcnt lgkmcnt(0)
	s_waitcnt_vscnt null, 0x0
	s_barrier
	buffer_gl0_inv
	v_cmpx_gt_u64_e64 v[13:14], v[0:1]
	s_cbranch_execz .LBB215_146
; %bb.144:
	v_lshlrev_b64 v[4:5], 3, v[15:16]
	s_lshl_b64 s[8:9], s[6:7], 3
	v_dual_mov_b32 v3, v1 :: v_dual_mov_b32 v2, v0
	v_or_b32_e32 v0, 0x80, v0
	s_delay_alu instid0(VALU_DEP_3) | instskip(NEXT) | instid1(VALU_DEP_4)
	v_add_co_u32 v4, vcc_lo, s12, v4
	v_add_co_ci_u32_e32 v5, vcc_lo, s13, v5, vcc_lo
	s_delay_alu instid0(VALU_DEP_2) | instskip(NEXT) | instid1(VALU_DEP_2)
	v_add_co_u32 v4, vcc_lo, v4, s8
	v_add_co_ci_u32_e32 v5, vcc_lo, s9, v5, vcc_lo
	s_mov_b32 s8, 0
	.p2align	6
.LBB215_145:                            ; =>This Inner Loop Header: Depth=1
	v_lshlrev_b32_e32 v6, 3, v2
	v_lshlrev_b64 v[8:9], 3, v[2:3]
	v_mov_b32_e32 v3, v1
	v_cmp_le_u64_e32 vcc_lo, v[13:14], v[0:1]
	v_mov_b32_e32 v2, v0
	ds_load_b64 v[6:7], v6
	v_add_nc_u32_e32 v0, 0x80, v0
	v_add_co_u32 v8, s0, v4, v8
	s_delay_alu instid0(VALU_DEP_1)
	v_add_co_ci_u32_e64 v9, s0, v5, v9, s0
	s_or_b32 s8, vcc_lo, s8
	s_waitcnt lgkmcnt(0)
	global_store_b64 v[8:9], v[6:7], off
	s_and_not1_b32 exec_lo, exec_lo, s8
	s_cbranch_execnz .LBB215_145
.LBB215_146:
	s_or_b32 exec_lo, exec_lo, s1
	s_and_b32 s0, s2, s3
	s_delay_alu instid0(SALU_CYCLE_1)
	s_and_saveexec_b32 s1, s0
	s_cbranch_execz .LBB215_87
.LBB215_147:
	v_add_co_u32 v0, vcc_lo, v15, v13
	v_add_co_ci_u32_e32 v1, vcc_lo, v16, v14, vcc_lo
	v_mov_b32_e32 v2, 0
	s_delay_alu instid0(VALU_DEP_3) | instskip(NEXT) | instid1(VALU_DEP_3)
	v_add_co_u32 v0, vcc_lo, v0, s6
	v_add_co_ci_u32_e32 v1, vcc_lo, s7, v1, vcc_lo
	global_store_b64 v2, v[0:1], s[4:5]
	s_nop 0
	s_sendmsg sendmsg(MSG_DEALLOC_VGPRS)
	s_endpgm
	.section	.rodata,"a",@progbits
	.p2align	6, 0x0
	.amdhsa_kernel _ZN7rocprim17ROCPRIM_400000_NS6detail17trampoline_kernelINS0_14default_configENS1_25partition_config_selectorILNS1_17partition_subalgoE5ElNS0_10empty_typeEbEEZZNS1_14partition_implILS5_5ELb0ES3_mN6hipcub16HIPCUB_304000_NS21CountingInputIteratorIllEEPS6_NSA_22TransformInputIteratorIb7NonZeroIiEPilEENS0_5tupleIJPlS6_EEENSJ_IJSD_SD_EEES6_SK_JS6_EEE10hipError_tPvRmT3_T4_T5_T6_T7_T9_mT8_P12ihipStream_tbDpT10_ENKUlT_T0_E_clISt17integral_constantIbLb0EES15_IbLb1EEEEDaS11_S12_EUlS11_E_NS1_11comp_targetILNS1_3genE9ELNS1_11target_archE1100ELNS1_3gpuE3ELNS1_3repE0EEENS1_30default_config_static_selectorELNS0_4arch9wavefront6targetE0EEEvT1_
		.amdhsa_group_segment_fixed_size 6160
		.amdhsa_private_segment_fixed_size 0
		.amdhsa_kernarg_size 136
		.amdhsa_user_sgpr_count 15
		.amdhsa_user_sgpr_dispatch_ptr 0
		.amdhsa_user_sgpr_queue_ptr 0
		.amdhsa_user_sgpr_kernarg_segment_ptr 1
		.amdhsa_user_sgpr_dispatch_id 0
		.amdhsa_user_sgpr_private_segment_size 0
		.amdhsa_wavefront_size32 1
		.amdhsa_uses_dynamic_stack 0
		.amdhsa_enable_private_segment 0
		.amdhsa_system_sgpr_workgroup_id_x 1
		.amdhsa_system_sgpr_workgroup_id_y 0
		.amdhsa_system_sgpr_workgroup_id_z 0
		.amdhsa_system_sgpr_workgroup_info 0
		.amdhsa_system_vgpr_workitem_id 0
		.amdhsa_next_free_vgpr 57
		.amdhsa_next_free_sgpr 24
		.amdhsa_reserve_vcc 1
		.amdhsa_float_round_mode_32 0
		.amdhsa_float_round_mode_16_64 0
		.amdhsa_float_denorm_mode_32 3
		.amdhsa_float_denorm_mode_16_64 3
		.amdhsa_dx10_clamp 1
		.amdhsa_ieee_mode 1
		.amdhsa_fp16_overflow 0
		.amdhsa_workgroup_processor_mode 1
		.amdhsa_memory_ordered 1
		.amdhsa_forward_progress 0
		.amdhsa_shared_vgpr_count 0
		.amdhsa_exception_fp_ieee_invalid_op 0
		.amdhsa_exception_fp_denorm_src 0
		.amdhsa_exception_fp_ieee_div_zero 0
		.amdhsa_exception_fp_ieee_overflow 0
		.amdhsa_exception_fp_ieee_underflow 0
		.amdhsa_exception_fp_ieee_inexact 0
		.amdhsa_exception_int_div_zero 0
	.end_amdhsa_kernel
	.section	.text._ZN7rocprim17ROCPRIM_400000_NS6detail17trampoline_kernelINS0_14default_configENS1_25partition_config_selectorILNS1_17partition_subalgoE5ElNS0_10empty_typeEbEEZZNS1_14partition_implILS5_5ELb0ES3_mN6hipcub16HIPCUB_304000_NS21CountingInputIteratorIllEEPS6_NSA_22TransformInputIteratorIb7NonZeroIiEPilEENS0_5tupleIJPlS6_EEENSJ_IJSD_SD_EEES6_SK_JS6_EEE10hipError_tPvRmT3_T4_T5_T6_T7_T9_mT8_P12ihipStream_tbDpT10_ENKUlT_T0_E_clISt17integral_constantIbLb0EES15_IbLb1EEEEDaS11_S12_EUlS11_E_NS1_11comp_targetILNS1_3genE9ELNS1_11target_archE1100ELNS1_3gpuE3ELNS1_3repE0EEENS1_30default_config_static_selectorELNS0_4arch9wavefront6targetE0EEEvT1_,"axG",@progbits,_ZN7rocprim17ROCPRIM_400000_NS6detail17trampoline_kernelINS0_14default_configENS1_25partition_config_selectorILNS1_17partition_subalgoE5ElNS0_10empty_typeEbEEZZNS1_14partition_implILS5_5ELb0ES3_mN6hipcub16HIPCUB_304000_NS21CountingInputIteratorIllEEPS6_NSA_22TransformInputIteratorIb7NonZeroIiEPilEENS0_5tupleIJPlS6_EEENSJ_IJSD_SD_EEES6_SK_JS6_EEE10hipError_tPvRmT3_T4_T5_T6_T7_T9_mT8_P12ihipStream_tbDpT10_ENKUlT_T0_E_clISt17integral_constantIbLb0EES15_IbLb1EEEEDaS11_S12_EUlS11_E_NS1_11comp_targetILNS1_3genE9ELNS1_11target_archE1100ELNS1_3gpuE3ELNS1_3repE0EEENS1_30default_config_static_selectorELNS0_4arch9wavefront6targetE0EEEvT1_,comdat
.Lfunc_end215:
	.size	_ZN7rocprim17ROCPRIM_400000_NS6detail17trampoline_kernelINS0_14default_configENS1_25partition_config_selectorILNS1_17partition_subalgoE5ElNS0_10empty_typeEbEEZZNS1_14partition_implILS5_5ELb0ES3_mN6hipcub16HIPCUB_304000_NS21CountingInputIteratorIllEEPS6_NSA_22TransformInputIteratorIb7NonZeroIiEPilEENS0_5tupleIJPlS6_EEENSJ_IJSD_SD_EEES6_SK_JS6_EEE10hipError_tPvRmT3_T4_T5_T6_T7_T9_mT8_P12ihipStream_tbDpT10_ENKUlT_T0_E_clISt17integral_constantIbLb0EES15_IbLb1EEEEDaS11_S12_EUlS11_E_NS1_11comp_targetILNS1_3genE9ELNS1_11target_archE1100ELNS1_3gpuE3ELNS1_3repE0EEENS1_30default_config_static_selectorELNS0_4arch9wavefront6targetE0EEEvT1_, .Lfunc_end215-_ZN7rocprim17ROCPRIM_400000_NS6detail17trampoline_kernelINS0_14default_configENS1_25partition_config_selectorILNS1_17partition_subalgoE5ElNS0_10empty_typeEbEEZZNS1_14partition_implILS5_5ELb0ES3_mN6hipcub16HIPCUB_304000_NS21CountingInputIteratorIllEEPS6_NSA_22TransformInputIteratorIb7NonZeroIiEPilEENS0_5tupleIJPlS6_EEENSJ_IJSD_SD_EEES6_SK_JS6_EEE10hipError_tPvRmT3_T4_T5_T6_T7_T9_mT8_P12ihipStream_tbDpT10_ENKUlT_T0_E_clISt17integral_constantIbLb0EES15_IbLb1EEEEDaS11_S12_EUlS11_E_NS1_11comp_targetILNS1_3genE9ELNS1_11target_archE1100ELNS1_3gpuE3ELNS1_3repE0EEENS1_30default_config_static_selectorELNS0_4arch9wavefront6targetE0EEEvT1_
                                        ; -- End function
	.section	.AMDGPU.csdata,"",@progbits
; Kernel info:
; codeLenInByte = 6480
; NumSgprs: 26
; NumVgprs: 57
; ScratchSize: 0
; MemoryBound: 0
; FloatMode: 240
; IeeeMode: 1
; LDSByteSize: 6160 bytes/workgroup (compile time only)
; SGPRBlocks: 3
; VGPRBlocks: 7
; NumSGPRsForWavesPerEU: 26
; NumVGPRsForWavesPerEU: 57
; Occupancy: 16
; WaveLimiterHint : 1
; COMPUTE_PGM_RSRC2:SCRATCH_EN: 0
; COMPUTE_PGM_RSRC2:USER_SGPR: 15
; COMPUTE_PGM_RSRC2:TRAP_HANDLER: 0
; COMPUTE_PGM_RSRC2:TGID_X_EN: 1
; COMPUTE_PGM_RSRC2:TGID_Y_EN: 0
; COMPUTE_PGM_RSRC2:TGID_Z_EN: 0
; COMPUTE_PGM_RSRC2:TIDIG_COMP_CNT: 0
	.section	.text._ZN7rocprim17ROCPRIM_400000_NS6detail17trampoline_kernelINS0_14default_configENS1_25partition_config_selectorILNS1_17partition_subalgoE5ElNS0_10empty_typeEbEEZZNS1_14partition_implILS5_5ELb0ES3_mN6hipcub16HIPCUB_304000_NS21CountingInputIteratorIllEEPS6_NSA_22TransformInputIteratorIb7NonZeroIiEPilEENS0_5tupleIJPlS6_EEENSJ_IJSD_SD_EEES6_SK_JS6_EEE10hipError_tPvRmT3_T4_T5_T6_T7_T9_mT8_P12ihipStream_tbDpT10_ENKUlT_T0_E_clISt17integral_constantIbLb0EES15_IbLb1EEEEDaS11_S12_EUlS11_E_NS1_11comp_targetILNS1_3genE8ELNS1_11target_archE1030ELNS1_3gpuE2ELNS1_3repE0EEENS1_30default_config_static_selectorELNS0_4arch9wavefront6targetE0EEEvT1_,"axG",@progbits,_ZN7rocprim17ROCPRIM_400000_NS6detail17trampoline_kernelINS0_14default_configENS1_25partition_config_selectorILNS1_17partition_subalgoE5ElNS0_10empty_typeEbEEZZNS1_14partition_implILS5_5ELb0ES3_mN6hipcub16HIPCUB_304000_NS21CountingInputIteratorIllEEPS6_NSA_22TransformInputIteratorIb7NonZeroIiEPilEENS0_5tupleIJPlS6_EEENSJ_IJSD_SD_EEES6_SK_JS6_EEE10hipError_tPvRmT3_T4_T5_T6_T7_T9_mT8_P12ihipStream_tbDpT10_ENKUlT_T0_E_clISt17integral_constantIbLb0EES15_IbLb1EEEEDaS11_S12_EUlS11_E_NS1_11comp_targetILNS1_3genE8ELNS1_11target_archE1030ELNS1_3gpuE2ELNS1_3repE0EEENS1_30default_config_static_selectorELNS0_4arch9wavefront6targetE0EEEvT1_,comdat
	.protected	_ZN7rocprim17ROCPRIM_400000_NS6detail17trampoline_kernelINS0_14default_configENS1_25partition_config_selectorILNS1_17partition_subalgoE5ElNS0_10empty_typeEbEEZZNS1_14partition_implILS5_5ELb0ES3_mN6hipcub16HIPCUB_304000_NS21CountingInputIteratorIllEEPS6_NSA_22TransformInputIteratorIb7NonZeroIiEPilEENS0_5tupleIJPlS6_EEENSJ_IJSD_SD_EEES6_SK_JS6_EEE10hipError_tPvRmT3_T4_T5_T6_T7_T9_mT8_P12ihipStream_tbDpT10_ENKUlT_T0_E_clISt17integral_constantIbLb0EES15_IbLb1EEEEDaS11_S12_EUlS11_E_NS1_11comp_targetILNS1_3genE8ELNS1_11target_archE1030ELNS1_3gpuE2ELNS1_3repE0EEENS1_30default_config_static_selectorELNS0_4arch9wavefront6targetE0EEEvT1_ ; -- Begin function _ZN7rocprim17ROCPRIM_400000_NS6detail17trampoline_kernelINS0_14default_configENS1_25partition_config_selectorILNS1_17partition_subalgoE5ElNS0_10empty_typeEbEEZZNS1_14partition_implILS5_5ELb0ES3_mN6hipcub16HIPCUB_304000_NS21CountingInputIteratorIllEEPS6_NSA_22TransformInputIteratorIb7NonZeroIiEPilEENS0_5tupleIJPlS6_EEENSJ_IJSD_SD_EEES6_SK_JS6_EEE10hipError_tPvRmT3_T4_T5_T6_T7_T9_mT8_P12ihipStream_tbDpT10_ENKUlT_T0_E_clISt17integral_constantIbLb0EES15_IbLb1EEEEDaS11_S12_EUlS11_E_NS1_11comp_targetILNS1_3genE8ELNS1_11target_archE1030ELNS1_3gpuE2ELNS1_3repE0EEENS1_30default_config_static_selectorELNS0_4arch9wavefront6targetE0EEEvT1_
	.globl	_ZN7rocprim17ROCPRIM_400000_NS6detail17trampoline_kernelINS0_14default_configENS1_25partition_config_selectorILNS1_17partition_subalgoE5ElNS0_10empty_typeEbEEZZNS1_14partition_implILS5_5ELb0ES3_mN6hipcub16HIPCUB_304000_NS21CountingInputIteratorIllEEPS6_NSA_22TransformInputIteratorIb7NonZeroIiEPilEENS0_5tupleIJPlS6_EEENSJ_IJSD_SD_EEES6_SK_JS6_EEE10hipError_tPvRmT3_T4_T5_T6_T7_T9_mT8_P12ihipStream_tbDpT10_ENKUlT_T0_E_clISt17integral_constantIbLb0EES15_IbLb1EEEEDaS11_S12_EUlS11_E_NS1_11comp_targetILNS1_3genE8ELNS1_11target_archE1030ELNS1_3gpuE2ELNS1_3repE0EEENS1_30default_config_static_selectorELNS0_4arch9wavefront6targetE0EEEvT1_
	.p2align	8
	.type	_ZN7rocprim17ROCPRIM_400000_NS6detail17trampoline_kernelINS0_14default_configENS1_25partition_config_selectorILNS1_17partition_subalgoE5ElNS0_10empty_typeEbEEZZNS1_14partition_implILS5_5ELb0ES3_mN6hipcub16HIPCUB_304000_NS21CountingInputIteratorIllEEPS6_NSA_22TransformInputIteratorIb7NonZeroIiEPilEENS0_5tupleIJPlS6_EEENSJ_IJSD_SD_EEES6_SK_JS6_EEE10hipError_tPvRmT3_T4_T5_T6_T7_T9_mT8_P12ihipStream_tbDpT10_ENKUlT_T0_E_clISt17integral_constantIbLb0EES15_IbLb1EEEEDaS11_S12_EUlS11_E_NS1_11comp_targetILNS1_3genE8ELNS1_11target_archE1030ELNS1_3gpuE2ELNS1_3repE0EEENS1_30default_config_static_selectorELNS0_4arch9wavefront6targetE0EEEvT1_,@function
_ZN7rocprim17ROCPRIM_400000_NS6detail17trampoline_kernelINS0_14default_configENS1_25partition_config_selectorILNS1_17partition_subalgoE5ElNS0_10empty_typeEbEEZZNS1_14partition_implILS5_5ELb0ES3_mN6hipcub16HIPCUB_304000_NS21CountingInputIteratorIllEEPS6_NSA_22TransformInputIteratorIb7NonZeroIiEPilEENS0_5tupleIJPlS6_EEENSJ_IJSD_SD_EEES6_SK_JS6_EEE10hipError_tPvRmT3_T4_T5_T6_T7_T9_mT8_P12ihipStream_tbDpT10_ENKUlT_T0_E_clISt17integral_constantIbLb0EES15_IbLb1EEEEDaS11_S12_EUlS11_E_NS1_11comp_targetILNS1_3genE8ELNS1_11target_archE1030ELNS1_3gpuE2ELNS1_3repE0EEENS1_30default_config_static_selectorELNS0_4arch9wavefront6targetE0EEEvT1_: ; @_ZN7rocprim17ROCPRIM_400000_NS6detail17trampoline_kernelINS0_14default_configENS1_25partition_config_selectorILNS1_17partition_subalgoE5ElNS0_10empty_typeEbEEZZNS1_14partition_implILS5_5ELb0ES3_mN6hipcub16HIPCUB_304000_NS21CountingInputIteratorIllEEPS6_NSA_22TransformInputIteratorIb7NonZeroIiEPilEENS0_5tupleIJPlS6_EEENSJ_IJSD_SD_EEES6_SK_JS6_EEE10hipError_tPvRmT3_T4_T5_T6_T7_T9_mT8_P12ihipStream_tbDpT10_ENKUlT_T0_E_clISt17integral_constantIbLb0EES15_IbLb1EEEEDaS11_S12_EUlS11_E_NS1_11comp_targetILNS1_3genE8ELNS1_11target_archE1030ELNS1_3gpuE2ELNS1_3repE0EEENS1_30default_config_static_selectorELNS0_4arch9wavefront6targetE0EEEvT1_
; %bb.0:
	.section	.rodata,"a",@progbits
	.p2align	6, 0x0
	.amdhsa_kernel _ZN7rocprim17ROCPRIM_400000_NS6detail17trampoline_kernelINS0_14default_configENS1_25partition_config_selectorILNS1_17partition_subalgoE5ElNS0_10empty_typeEbEEZZNS1_14partition_implILS5_5ELb0ES3_mN6hipcub16HIPCUB_304000_NS21CountingInputIteratorIllEEPS6_NSA_22TransformInputIteratorIb7NonZeroIiEPilEENS0_5tupleIJPlS6_EEENSJ_IJSD_SD_EEES6_SK_JS6_EEE10hipError_tPvRmT3_T4_T5_T6_T7_T9_mT8_P12ihipStream_tbDpT10_ENKUlT_T0_E_clISt17integral_constantIbLb0EES15_IbLb1EEEEDaS11_S12_EUlS11_E_NS1_11comp_targetILNS1_3genE8ELNS1_11target_archE1030ELNS1_3gpuE2ELNS1_3repE0EEENS1_30default_config_static_selectorELNS0_4arch9wavefront6targetE0EEEvT1_
		.amdhsa_group_segment_fixed_size 0
		.amdhsa_private_segment_fixed_size 0
		.amdhsa_kernarg_size 136
		.amdhsa_user_sgpr_count 15
		.amdhsa_user_sgpr_dispatch_ptr 0
		.amdhsa_user_sgpr_queue_ptr 0
		.amdhsa_user_sgpr_kernarg_segment_ptr 1
		.amdhsa_user_sgpr_dispatch_id 0
		.amdhsa_user_sgpr_private_segment_size 0
		.amdhsa_wavefront_size32 1
		.amdhsa_uses_dynamic_stack 0
		.amdhsa_enable_private_segment 0
		.amdhsa_system_sgpr_workgroup_id_x 1
		.amdhsa_system_sgpr_workgroup_id_y 0
		.amdhsa_system_sgpr_workgroup_id_z 0
		.amdhsa_system_sgpr_workgroup_info 0
		.amdhsa_system_vgpr_workitem_id 0
		.amdhsa_next_free_vgpr 1
		.amdhsa_next_free_sgpr 1
		.amdhsa_reserve_vcc 0
		.amdhsa_float_round_mode_32 0
		.amdhsa_float_round_mode_16_64 0
		.amdhsa_float_denorm_mode_32 3
		.amdhsa_float_denorm_mode_16_64 3
		.amdhsa_dx10_clamp 1
		.amdhsa_ieee_mode 1
		.amdhsa_fp16_overflow 0
		.amdhsa_workgroup_processor_mode 1
		.amdhsa_memory_ordered 1
		.amdhsa_forward_progress 0
		.amdhsa_shared_vgpr_count 0
		.amdhsa_exception_fp_ieee_invalid_op 0
		.amdhsa_exception_fp_denorm_src 0
		.amdhsa_exception_fp_ieee_div_zero 0
		.amdhsa_exception_fp_ieee_overflow 0
		.amdhsa_exception_fp_ieee_underflow 0
		.amdhsa_exception_fp_ieee_inexact 0
		.amdhsa_exception_int_div_zero 0
	.end_amdhsa_kernel
	.section	.text._ZN7rocprim17ROCPRIM_400000_NS6detail17trampoline_kernelINS0_14default_configENS1_25partition_config_selectorILNS1_17partition_subalgoE5ElNS0_10empty_typeEbEEZZNS1_14partition_implILS5_5ELb0ES3_mN6hipcub16HIPCUB_304000_NS21CountingInputIteratorIllEEPS6_NSA_22TransformInputIteratorIb7NonZeroIiEPilEENS0_5tupleIJPlS6_EEENSJ_IJSD_SD_EEES6_SK_JS6_EEE10hipError_tPvRmT3_T4_T5_T6_T7_T9_mT8_P12ihipStream_tbDpT10_ENKUlT_T0_E_clISt17integral_constantIbLb0EES15_IbLb1EEEEDaS11_S12_EUlS11_E_NS1_11comp_targetILNS1_3genE8ELNS1_11target_archE1030ELNS1_3gpuE2ELNS1_3repE0EEENS1_30default_config_static_selectorELNS0_4arch9wavefront6targetE0EEEvT1_,"axG",@progbits,_ZN7rocprim17ROCPRIM_400000_NS6detail17trampoline_kernelINS0_14default_configENS1_25partition_config_selectorILNS1_17partition_subalgoE5ElNS0_10empty_typeEbEEZZNS1_14partition_implILS5_5ELb0ES3_mN6hipcub16HIPCUB_304000_NS21CountingInputIteratorIllEEPS6_NSA_22TransformInputIteratorIb7NonZeroIiEPilEENS0_5tupleIJPlS6_EEENSJ_IJSD_SD_EEES6_SK_JS6_EEE10hipError_tPvRmT3_T4_T5_T6_T7_T9_mT8_P12ihipStream_tbDpT10_ENKUlT_T0_E_clISt17integral_constantIbLb0EES15_IbLb1EEEEDaS11_S12_EUlS11_E_NS1_11comp_targetILNS1_3genE8ELNS1_11target_archE1030ELNS1_3gpuE2ELNS1_3repE0EEENS1_30default_config_static_selectorELNS0_4arch9wavefront6targetE0EEEvT1_,comdat
.Lfunc_end216:
	.size	_ZN7rocprim17ROCPRIM_400000_NS6detail17trampoline_kernelINS0_14default_configENS1_25partition_config_selectorILNS1_17partition_subalgoE5ElNS0_10empty_typeEbEEZZNS1_14partition_implILS5_5ELb0ES3_mN6hipcub16HIPCUB_304000_NS21CountingInputIteratorIllEEPS6_NSA_22TransformInputIteratorIb7NonZeroIiEPilEENS0_5tupleIJPlS6_EEENSJ_IJSD_SD_EEES6_SK_JS6_EEE10hipError_tPvRmT3_T4_T5_T6_T7_T9_mT8_P12ihipStream_tbDpT10_ENKUlT_T0_E_clISt17integral_constantIbLb0EES15_IbLb1EEEEDaS11_S12_EUlS11_E_NS1_11comp_targetILNS1_3genE8ELNS1_11target_archE1030ELNS1_3gpuE2ELNS1_3repE0EEENS1_30default_config_static_selectorELNS0_4arch9wavefront6targetE0EEEvT1_, .Lfunc_end216-_ZN7rocprim17ROCPRIM_400000_NS6detail17trampoline_kernelINS0_14default_configENS1_25partition_config_selectorILNS1_17partition_subalgoE5ElNS0_10empty_typeEbEEZZNS1_14partition_implILS5_5ELb0ES3_mN6hipcub16HIPCUB_304000_NS21CountingInputIteratorIllEEPS6_NSA_22TransformInputIteratorIb7NonZeroIiEPilEENS0_5tupleIJPlS6_EEENSJ_IJSD_SD_EEES6_SK_JS6_EEE10hipError_tPvRmT3_T4_T5_T6_T7_T9_mT8_P12ihipStream_tbDpT10_ENKUlT_T0_E_clISt17integral_constantIbLb0EES15_IbLb1EEEEDaS11_S12_EUlS11_E_NS1_11comp_targetILNS1_3genE8ELNS1_11target_archE1030ELNS1_3gpuE2ELNS1_3repE0EEENS1_30default_config_static_selectorELNS0_4arch9wavefront6targetE0EEEvT1_
                                        ; -- End function
	.section	.AMDGPU.csdata,"",@progbits
; Kernel info:
; codeLenInByte = 0
; NumSgprs: 0
; NumVgprs: 0
; ScratchSize: 0
; MemoryBound: 0
; FloatMode: 240
; IeeeMode: 1
; LDSByteSize: 0 bytes/workgroup (compile time only)
; SGPRBlocks: 0
; VGPRBlocks: 0
; NumSGPRsForWavesPerEU: 1
; NumVGPRsForWavesPerEU: 1
; Occupancy: 16
; WaveLimiterHint : 0
; COMPUTE_PGM_RSRC2:SCRATCH_EN: 0
; COMPUTE_PGM_RSRC2:USER_SGPR: 15
; COMPUTE_PGM_RSRC2:TRAP_HANDLER: 0
; COMPUTE_PGM_RSRC2:TGID_X_EN: 1
; COMPUTE_PGM_RSRC2:TGID_Y_EN: 0
; COMPUTE_PGM_RSRC2:TGID_Z_EN: 0
; COMPUTE_PGM_RSRC2:TIDIG_COMP_CNT: 0
	.section	.text._ZN7rocprim17ROCPRIM_400000_NS6detail17trampoline_kernelINS0_14default_configENS1_22reduce_config_selectorIlEEZNS1_11reduce_implILb1ES3_PlS7_lN6hipcub16HIPCUB_304000_NS6detail34convert_binary_result_type_wrapperINS9_3SumENS9_22TransformInputIteratorIb7NonZeroIfEPflEElEEEE10hipError_tPvRmT1_T2_T3_mT4_P12ihipStream_tbEUlT_E0_NS1_11comp_targetILNS1_3genE0ELNS1_11target_archE4294967295ELNS1_3gpuE0ELNS1_3repE0EEENS1_30default_config_static_selectorELNS0_4arch9wavefront6targetE0EEEvSM_,"axG",@progbits,_ZN7rocprim17ROCPRIM_400000_NS6detail17trampoline_kernelINS0_14default_configENS1_22reduce_config_selectorIlEEZNS1_11reduce_implILb1ES3_PlS7_lN6hipcub16HIPCUB_304000_NS6detail34convert_binary_result_type_wrapperINS9_3SumENS9_22TransformInputIteratorIb7NonZeroIfEPflEElEEEE10hipError_tPvRmT1_T2_T3_mT4_P12ihipStream_tbEUlT_E0_NS1_11comp_targetILNS1_3genE0ELNS1_11target_archE4294967295ELNS1_3gpuE0ELNS1_3repE0EEENS1_30default_config_static_selectorELNS0_4arch9wavefront6targetE0EEEvSM_,comdat
	.protected	_ZN7rocprim17ROCPRIM_400000_NS6detail17trampoline_kernelINS0_14default_configENS1_22reduce_config_selectorIlEEZNS1_11reduce_implILb1ES3_PlS7_lN6hipcub16HIPCUB_304000_NS6detail34convert_binary_result_type_wrapperINS9_3SumENS9_22TransformInputIteratorIb7NonZeroIfEPflEElEEEE10hipError_tPvRmT1_T2_T3_mT4_P12ihipStream_tbEUlT_E0_NS1_11comp_targetILNS1_3genE0ELNS1_11target_archE4294967295ELNS1_3gpuE0ELNS1_3repE0EEENS1_30default_config_static_selectorELNS0_4arch9wavefront6targetE0EEEvSM_ ; -- Begin function _ZN7rocprim17ROCPRIM_400000_NS6detail17trampoline_kernelINS0_14default_configENS1_22reduce_config_selectorIlEEZNS1_11reduce_implILb1ES3_PlS7_lN6hipcub16HIPCUB_304000_NS6detail34convert_binary_result_type_wrapperINS9_3SumENS9_22TransformInputIteratorIb7NonZeroIfEPflEElEEEE10hipError_tPvRmT1_T2_T3_mT4_P12ihipStream_tbEUlT_E0_NS1_11comp_targetILNS1_3genE0ELNS1_11target_archE4294967295ELNS1_3gpuE0ELNS1_3repE0EEENS1_30default_config_static_selectorELNS0_4arch9wavefront6targetE0EEEvSM_
	.globl	_ZN7rocprim17ROCPRIM_400000_NS6detail17trampoline_kernelINS0_14default_configENS1_22reduce_config_selectorIlEEZNS1_11reduce_implILb1ES3_PlS7_lN6hipcub16HIPCUB_304000_NS6detail34convert_binary_result_type_wrapperINS9_3SumENS9_22TransformInputIteratorIb7NonZeroIfEPflEElEEEE10hipError_tPvRmT1_T2_T3_mT4_P12ihipStream_tbEUlT_E0_NS1_11comp_targetILNS1_3genE0ELNS1_11target_archE4294967295ELNS1_3gpuE0ELNS1_3repE0EEENS1_30default_config_static_selectorELNS0_4arch9wavefront6targetE0EEEvSM_
	.p2align	8
	.type	_ZN7rocprim17ROCPRIM_400000_NS6detail17trampoline_kernelINS0_14default_configENS1_22reduce_config_selectorIlEEZNS1_11reduce_implILb1ES3_PlS7_lN6hipcub16HIPCUB_304000_NS6detail34convert_binary_result_type_wrapperINS9_3SumENS9_22TransformInputIteratorIb7NonZeroIfEPflEElEEEE10hipError_tPvRmT1_T2_T3_mT4_P12ihipStream_tbEUlT_E0_NS1_11comp_targetILNS1_3genE0ELNS1_11target_archE4294967295ELNS1_3gpuE0ELNS1_3repE0EEENS1_30default_config_static_selectorELNS0_4arch9wavefront6targetE0EEEvSM_,@function
_ZN7rocprim17ROCPRIM_400000_NS6detail17trampoline_kernelINS0_14default_configENS1_22reduce_config_selectorIlEEZNS1_11reduce_implILb1ES3_PlS7_lN6hipcub16HIPCUB_304000_NS6detail34convert_binary_result_type_wrapperINS9_3SumENS9_22TransformInputIteratorIb7NonZeroIfEPflEElEEEE10hipError_tPvRmT1_T2_T3_mT4_P12ihipStream_tbEUlT_E0_NS1_11comp_targetILNS1_3genE0ELNS1_11target_archE4294967295ELNS1_3gpuE0ELNS1_3repE0EEENS1_30default_config_static_selectorELNS0_4arch9wavefront6targetE0EEEvSM_: ; @_ZN7rocprim17ROCPRIM_400000_NS6detail17trampoline_kernelINS0_14default_configENS1_22reduce_config_selectorIlEEZNS1_11reduce_implILb1ES3_PlS7_lN6hipcub16HIPCUB_304000_NS6detail34convert_binary_result_type_wrapperINS9_3SumENS9_22TransformInputIteratorIb7NonZeroIfEPflEElEEEE10hipError_tPvRmT1_T2_T3_mT4_P12ihipStream_tbEUlT_E0_NS1_11comp_targetILNS1_3genE0ELNS1_11target_archE4294967295ELNS1_3gpuE0ELNS1_3repE0EEENS1_30default_config_static_selectorELNS0_4arch9wavefront6targetE0EEEvSM_
; %bb.0:
	.section	.rodata,"a",@progbits
	.p2align	6, 0x0
	.amdhsa_kernel _ZN7rocprim17ROCPRIM_400000_NS6detail17trampoline_kernelINS0_14default_configENS1_22reduce_config_selectorIlEEZNS1_11reduce_implILb1ES3_PlS7_lN6hipcub16HIPCUB_304000_NS6detail34convert_binary_result_type_wrapperINS9_3SumENS9_22TransformInputIteratorIb7NonZeroIfEPflEElEEEE10hipError_tPvRmT1_T2_T3_mT4_P12ihipStream_tbEUlT_E0_NS1_11comp_targetILNS1_3genE0ELNS1_11target_archE4294967295ELNS1_3gpuE0ELNS1_3repE0EEENS1_30default_config_static_selectorELNS0_4arch9wavefront6targetE0EEEvSM_
		.amdhsa_group_segment_fixed_size 0
		.amdhsa_private_segment_fixed_size 0
		.amdhsa_kernarg_size 64
		.amdhsa_user_sgpr_count 15
		.amdhsa_user_sgpr_dispatch_ptr 0
		.amdhsa_user_sgpr_queue_ptr 0
		.amdhsa_user_sgpr_kernarg_segment_ptr 1
		.amdhsa_user_sgpr_dispatch_id 0
		.amdhsa_user_sgpr_private_segment_size 0
		.amdhsa_wavefront_size32 1
		.amdhsa_uses_dynamic_stack 0
		.amdhsa_enable_private_segment 0
		.amdhsa_system_sgpr_workgroup_id_x 1
		.amdhsa_system_sgpr_workgroup_id_y 0
		.amdhsa_system_sgpr_workgroup_id_z 0
		.amdhsa_system_sgpr_workgroup_info 0
		.amdhsa_system_vgpr_workitem_id 0
		.amdhsa_next_free_vgpr 1
		.amdhsa_next_free_sgpr 1
		.amdhsa_reserve_vcc 0
		.amdhsa_float_round_mode_32 0
		.amdhsa_float_round_mode_16_64 0
		.amdhsa_float_denorm_mode_32 3
		.amdhsa_float_denorm_mode_16_64 3
		.amdhsa_dx10_clamp 1
		.amdhsa_ieee_mode 1
		.amdhsa_fp16_overflow 0
		.amdhsa_workgroup_processor_mode 1
		.amdhsa_memory_ordered 1
		.amdhsa_forward_progress 0
		.amdhsa_shared_vgpr_count 0
		.amdhsa_exception_fp_ieee_invalid_op 0
		.amdhsa_exception_fp_denorm_src 0
		.amdhsa_exception_fp_ieee_div_zero 0
		.amdhsa_exception_fp_ieee_overflow 0
		.amdhsa_exception_fp_ieee_underflow 0
		.amdhsa_exception_fp_ieee_inexact 0
		.amdhsa_exception_int_div_zero 0
	.end_amdhsa_kernel
	.section	.text._ZN7rocprim17ROCPRIM_400000_NS6detail17trampoline_kernelINS0_14default_configENS1_22reduce_config_selectorIlEEZNS1_11reduce_implILb1ES3_PlS7_lN6hipcub16HIPCUB_304000_NS6detail34convert_binary_result_type_wrapperINS9_3SumENS9_22TransformInputIteratorIb7NonZeroIfEPflEElEEEE10hipError_tPvRmT1_T2_T3_mT4_P12ihipStream_tbEUlT_E0_NS1_11comp_targetILNS1_3genE0ELNS1_11target_archE4294967295ELNS1_3gpuE0ELNS1_3repE0EEENS1_30default_config_static_selectorELNS0_4arch9wavefront6targetE0EEEvSM_,"axG",@progbits,_ZN7rocprim17ROCPRIM_400000_NS6detail17trampoline_kernelINS0_14default_configENS1_22reduce_config_selectorIlEEZNS1_11reduce_implILb1ES3_PlS7_lN6hipcub16HIPCUB_304000_NS6detail34convert_binary_result_type_wrapperINS9_3SumENS9_22TransformInputIteratorIb7NonZeroIfEPflEElEEEE10hipError_tPvRmT1_T2_T3_mT4_P12ihipStream_tbEUlT_E0_NS1_11comp_targetILNS1_3genE0ELNS1_11target_archE4294967295ELNS1_3gpuE0ELNS1_3repE0EEENS1_30default_config_static_selectorELNS0_4arch9wavefront6targetE0EEEvSM_,comdat
.Lfunc_end217:
	.size	_ZN7rocprim17ROCPRIM_400000_NS6detail17trampoline_kernelINS0_14default_configENS1_22reduce_config_selectorIlEEZNS1_11reduce_implILb1ES3_PlS7_lN6hipcub16HIPCUB_304000_NS6detail34convert_binary_result_type_wrapperINS9_3SumENS9_22TransformInputIteratorIb7NonZeroIfEPflEElEEEE10hipError_tPvRmT1_T2_T3_mT4_P12ihipStream_tbEUlT_E0_NS1_11comp_targetILNS1_3genE0ELNS1_11target_archE4294967295ELNS1_3gpuE0ELNS1_3repE0EEENS1_30default_config_static_selectorELNS0_4arch9wavefront6targetE0EEEvSM_, .Lfunc_end217-_ZN7rocprim17ROCPRIM_400000_NS6detail17trampoline_kernelINS0_14default_configENS1_22reduce_config_selectorIlEEZNS1_11reduce_implILb1ES3_PlS7_lN6hipcub16HIPCUB_304000_NS6detail34convert_binary_result_type_wrapperINS9_3SumENS9_22TransformInputIteratorIb7NonZeroIfEPflEElEEEE10hipError_tPvRmT1_T2_T3_mT4_P12ihipStream_tbEUlT_E0_NS1_11comp_targetILNS1_3genE0ELNS1_11target_archE4294967295ELNS1_3gpuE0ELNS1_3repE0EEENS1_30default_config_static_selectorELNS0_4arch9wavefront6targetE0EEEvSM_
                                        ; -- End function
	.section	.AMDGPU.csdata,"",@progbits
; Kernel info:
; codeLenInByte = 0
; NumSgprs: 0
; NumVgprs: 0
; ScratchSize: 0
; MemoryBound: 0
; FloatMode: 240
; IeeeMode: 1
; LDSByteSize: 0 bytes/workgroup (compile time only)
; SGPRBlocks: 0
; VGPRBlocks: 0
; NumSGPRsForWavesPerEU: 1
; NumVGPRsForWavesPerEU: 1
; Occupancy: 16
; WaveLimiterHint : 0
; COMPUTE_PGM_RSRC2:SCRATCH_EN: 0
; COMPUTE_PGM_RSRC2:USER_SGPR: 15
; COMPUTE_PGM_RSRC2:TRAP_HANDLER: 0
; COMPUTE_PGM_RSRC2:TGID_X_EN: 1
; COMPUTE_PGM_RSRC2:TGID_Y_EN: 0
; COMPUTE_PGM_RSRC2:TGID_Z_EN: 0
; COMPUTE_PGM_RSRC2:TIDIG_COMP_CNT: 0
	.section	.text._ZN7rocprim17ROCPRIM_400000_NS6detail17trampoline_kernelINS0_14default_configENS1_22reduce_config_selectorIlEEZNS1_11reduce_implILb1ES3_PlS7_lN6hipcub16HIPCUB_304000_NS6detail34convert_binary_result_type_wrapperINS9_3SumENS9_22TransformInputIteratorIb7NonZeroIfEPflEElEEEE10hipError_tPvRmT1_T2_T3_mT4_P12ihipStream_tbEUlT_E0_NS1_11comp_targetILNS1_3genE5ELNS1_11target_archE942ELNS1_3gpuE9ELNS1_3repE0EEENS1_30default_config_static_selectorELNS0_4arch9wavefront6targetE0EEEvSM_,"axG",@progbits,_ZN7rocprim17ROCPRIM_400000_NS6detail17trampoline_kernelINS0_14default_configENS1_22reduce_config_selectorIlEEZNS1_11reduce_implILb1ES3_PlS7_lN6hipcub16HIPCUB_304000_NS6detail34convert_binary_result_type_wrapperINS9_3SumENS9_22TransformInputIteratorIb7NonZeroIfEPflEElEEEE10hipError_tPvRmT1_T2_T3_mT4_P12ihipStream_tbEUlT_E0_NS1_11comp_targetILNS1_3genE5ELNS1_11target_archE942ELNS1_3gpuE9ELNS1_3repE0EEENS1_30default_config_static_selectorELNS0_4arch9wavefront6targetE0EEEvSM_,comdat
	.protected	_ZN7rocprim17ROCPRIM_400000_NS6detail17trampoline_kernelINS0_14default_configENS1_22reduce_config_selectorIlEEZNS1_11reduce_implILb1ES3_PlS7_lN6hipcub16HIPCUB_304000_NS6detail34convert_binary_result_type_wrapperINS9_3SumENS9_22TransformInputIteratorIb7NonZeroIfEPflEElEEEE10hipError_tPvRmT1_T2_T3_mT4_P12ihipStream_tbEUlT_E0_NS1_11comp_targetILNS1_3genE5ELNS1_11target_archE942ELNS1_3gpuE9ELNS1_3repE0EEENS1_30default_config_static_selectorELNS0_4arch9wavefront6targetE0EEEvSM_ ; -- Begin function _ZN7rocprim17ROCPRIM_400000_NS6detail17trampoline_kernelINS0_14default_configENS1_22reduce_config_selectorIlEEZNS1_11reduce_implILb1ES3_PlS7_lN6hipcub16HIPCUB_304000_NS6detail34convert_binary_result_type_wrapperINS9_3SumENS9_22TransformInputIteratorIb7NonZeroIfEPflEElEEEE10hipError_tPvRmT1_T2_T3_mT4_P12ihipStream_tbEUlT_E0_NS1_11comp_targetILNS1_3genE5ELNS1_11target_archE942ELNS1_3gpuE9ELNS1_3repE0EEENS1_30default_config_static_selectorELNS0_4arch9wavefront6targetE0EEEvSM_
	.globl	_ZN7rocprim17ROCPRIM_400000_NS6detail17trampoline_kernelINS0_14default_configENS1_22reduce_config_selectorIlEEZNS1_11reduce_implILb1ES3_PlS7_lN6hipcub16HIPCUB_304000_NS6detail34convert_binary_result_type_wrapperINS9_3SumENS9_22TransformInputIteratorIb7NonZeroIfEPflEElEEEE10hipError_tPvRmT1_T2_T3_mT4_P12ihipStream_tbEUlT_E0_NS1_11comp_targetILNS1_3genE5ELNS1_11target_archE942ELNS1_3gpuE9ELNS1_3repE0EEENS1_30default_config_static_selectorELNS0_4arch9wavefront6targetE0EEEvSM_
	.p2align	8
	.type	_ZN7rocprim17ROCPRIM_400000_NS6detail17trampoline_kernelINS0_14default_configENS1_22reduce_config_selectorIlEEZNS1_11reduce_implILb1ES3_PlS7_lN6hipcub16HIPCUB_304000_NS6detail34convert_binary_result_type_wrapperINS9_3SumENS9_22TransformInputIteratorIb7NonZeroIfEPflEElEEEE10hipError_tPvRmT1_T2_T3_mT4_P12ihipStream_tbEUlT_E0_NS1_11comp_targetILNS1_3genE5ELNS1_11target_archE942ELNS1_3gpuE9ELNS1_3repE0EEENS1_30default_config_static_selectorELNS0_4arch9wavefront6targetE0EEEvSM_,@function
_ZN7rocprim17ROCPRIM_400000_NS6detail17trampoline_kernelINS0_14default_configENS1_22reduce_config_selectorIlEEZNS1_11reduce_implILb1ES3_PlS7_lN6hipcub16HIPCUB_304000_NS6detail34convert_binary_result_type_wrapperINS9_3SumENS9_22TransformInputIteratorIb7NonZeroIfEPflEElEEEE10hipError_tPvRmT1_T2_T3_mT4_P12ihipStream_tbEUlT_E0_NS1_11comp_targetILNS1_3genE5ELNS1_11target_archE942ELNS1_3gpuE9ELNS1_3repE0EEENS1_30default_config_static_selectorELNS0_4arch9wavefront6targetE0EEEvSM_: ; @_ZN7rocprim17ROCPRIM_400000_NS6detail17trampoline_kernelINS0_14default_configENS1_22reduce_config_selectorIlEEZNS1_11reduce_implILb1ES3_PlS7_lN6hipcub16HIPCUB_304000_NS6detail34convert_binary_result_type_wrapperINS9_3SumENS9_22TransformInputIteratorIb7NonZeroIfEPflEElEEEE10hipError_tPvRmT1_T2_T3_mT4_P12ihipStream_tbEUlT_E0_NS1_11comp_targetILNS1_3genE5ELNS1_11target_archE942ELNS1_3gpuE9ELNS1_3repE0EEENS1_30default_config_static_selectorELNS0_4arch9wavefront6targetE0EEEvSM_
; %bb.0:
	.section	.rodata,"a",@progbits
	.p2align	6, 0x0
	.amdhsa_kernel _ZN7rocprim17ROCPRIM_400000_NS6detail17trampoline_kernelINS0_14default_configENS1_22reduce_config_selectorIlEEZNS1_11reduce_implILb1ES3_PlS7_lN6hipcub16HIPCUB_304000_NS6detail34convert_binary_result_type_wrapperINS9_3SumENS9_22TransformInputIteratorIb7NonZeroIfEPflEElEEEE10hipError_tPvRmT1_T2_T3_mT4_P12ihipStream_tbEUlT_E0_NS1_11comp_targetILNS1_3genE5ELNS1_11target_archE942ELNS1_3gpuE9ELNS1_3repE0EEENS1_30default_config_static_selectorELNS0_4arch9wavefront6targetE0EEEvSM_
		.amdhsa_group_segment_fixed_size 0
		.amdhsa_private_segment_fixed_size 0
		.amdhsa_kernarg_size 64
		.amdhsa_user_sgpr_count 15
		.amdhsa_user_sgpr_dispatch_ptr 0
		.amdhsa_user_sgpr_queue_ptr 0
		.amdhsa_user_sgpr_kernarg_segment_ptr 1
		.amdhsa_user_sgpr_dispatch_id 0
		.amdhsa_user_sgpr_private_segment_size 0
		.amdhsa_wavefront_size32 1
		.amdhsa_uses_dynamic_stack 0
		.amdhsa_enable_private_segment 0
		.amdhsa_system_sgpr_workgroup_id_x 1
		.amdhsa_system_sgpr_workgroup_id_y 0
		.amdhsa_system_sgpr_workgroup_id_z 0
		.amdhsa_system_sgpr_workgroup_info 0
		.amdhsa_system_vgpr_workitem_id 0
		.amdhsa_next_free_vgpr 1
		.amdhsa_next_free_sgpr 1
		.amdhsa_reserve_vcc 0
		.amdhsa_float_round_mode_32 0
		.amdhsa_float_round_mode_16_64 0
		.amdhsa_float_denorm_mode_32 3
		.amdhsa_float_denorm_mode_16_64 3
		.amdhsa_dx10_clamp 1
		.amdhsa_ieee_mode 1
		.amdhsa_fp16_overflow 0
		.amdhsa_workgroup_processor_mode 1
		.amdhsa_memory_ordered 1
		.amdhsa_forward_progress 0
		.amdhsa_shared_vgpr_count 0
		.amdhsa_exception_fp_ieee_invalid_op 0
		.amdhsa_exception_fp_denorm_src 0
		.amdhsa_exception_fp_ieee_div_zero 0
		.amdhsa_exception_fp_ieee_overflow 0
		.amdhsa_exception_fp_ieee_underflow 0
		.amdhsa_exception_fp_ieee_inexact 0
		.amdhsa_exception_int_div_zero 0
	.end_amdhsa_kernel
	.section	.text._ZN7rocprim17ROCPRIM_400000_NS6detail17trampoline_kernelINS0_14default_configENS1_22reduce_config_selectorIlEEZNS1_11reduce_implILb1ES3_PlS7_lN6hipcub16HIPCUB_304000_NS6detail34convert_binary_result_type_wrapperINS9_3SumENS9_22TransformInputIteratorIb7NonZeroIfEPflEElEEEE10hipError_tPvRmT1_T2_T3_mT4_P12ihipStream_tbEUlT_E0_NS1_11comp_targetILNS1_3genE5ELNS1_11target_archE942ELNS1_3gpuE9ELNS1_3repE0EEENS1_30default_config_static_selectorELNS0_4arch9wavefront6targetE0EEEvSM_,"axG",@progbits,_ZN7rocprim17ROCPRIM_400000_NS6detail17trampoline_kernelINS0_14default_configENS1_22reduce_config_selectorIlEEZNS1_11reduce_implILb1ES3_PlS7_lN6hipcub16HIPCUB_304000_NS6detail34convert_binary_result_type_wrapperINS9_3SumENS9_22TransformInputIteratorIb7NonZeroIfEPflEElEEEE10hipError_tPvRmT1_T2_T3_mT4_P12ihipStream_tbEUlT_E0_NS1_11comp_targetILNS1_3genE5ELNS1_11target_archE942ELNS1_3gpuE9ELNS1_3repE0EEENS1_30default_config_static_selectorELNS0_4arch9wavefront6targetE0EEEvSM_,comdat
.Lfunc_end218:
	.size	_ZN7rocprim17ROCPRIM_400000_NS6detail17trampoline_kernelINS0_14default_configENS1_22reduce_config_selectorIlEEZNS1_11reduce_implILb1ES3_PlS7_lN6hipcub16HIPCUB_304000_NS6detail34convert_binary_result_type_wrapperINS9_3SumENS9_22TransformInputIteratorIb7NonZeroIfEPflEElEEEE10hipError_tPvRmT1_T2_T3_mT4_P12ihipStream_tbEUlT_E0_NS1_11comp_targetILNS1_3genE5ELNS1_11target_archE942ELNS1_3gpuE9ELNS1_3repE0EEENS1_30default_config_static_selectorELNS0_4arch9wavefront6targetE0EEEvSM_, .Lfunc_end218-_ZN7rocprim17ROCPRIM_400000_NS6detail17trampoline_kernelINS0_14default_configENS1_22reduce_config_selectorIlEEZNS1_11reduce_implILb1ES3_PlS7_lN6hipcub16HIPCUB_304000_NS6detail34convert_binary_result_type_wrapperINS9_3SumENS9_22TransformInputIteratorIb7NonZeroIfEPflEElEEEE10hipError_tPvRmT1_T2_T3_mT4_P12ihipStream_tbEUlT_E0_NS1_11comp_targetILNS1_3genE5ELNS1_11target_archE942ELNS1_3gpuE9ELNS1_3repE0EEENS1_30default_config_static_selectorELNS0_4arch9wavefront6targetE0EEEvSM_
                                        ; -- End function
	.section	.AMDGPU.csdata,"",@progbits
; Kernel info:
; codeLenInByte = 0
; NumSgprs: 0
; NumVgprs: 0
; ScratchSize: 0
; MemoryBound: 0
; FloatMode: 240
; IeeeMode: 1
; LDSByteSize: 0 bytes/workgroup (compile time only)
; SGPRBlocks: 0
; VGPRBlocks: 0
; NumSGPRsForWavesPerEU: 1
; NumVGPRsForWavesPerEU: 1
; Occupancy: 16
; WaveLimiterHint : 0
; COMPUTE_PGM_RSRC2:SCRATCH_EN: 0
; COMPUTE_PGM_RSRC2:USER_SGPR: 15
; COMPUTE_PGM_RSRC2:TRAP_HANDLER: 0
; COMPUTE_PGM_RSRC2:TGID_X_EN: 1
; COMPUTE_PGM_RSRC2:TGID_Y_EN: 0
; COMPUTE_PGM_RSRC2:TGID_Z_EN: 0
; COMPUTE_PGM_RSRC2:TIDIG_COMP_CNT: 0
	.section	.text._ZN7rocprim17ROCPRIM_400000_NS6detail17trampoline_kernelINS0_14default_configENS1_22reduce_config_selectorIlEEZNS1_11reduce_implILb1ES3_PlS7_lN6hipcub16HIPCUB_304000_NS6detail34convert_binary_result_type_wrapperINS9_3SumENS9_22TransformInputIteratorIb7NonZeroIfEPflEElEEEE10hipError_tPvRmT1_T2_T3_mT4_P12ihipStream_tbEUlT_E0_NS1_11comp_targetILNS1_3genE4ELNS1_11target_archE910ELNS1_3gpuE8ELNS1_3repE0EEENS1_30default_config_static_selectorELNS0_4arch9wavefront6targetE0EEEvSM_,"axG",@progbits,_ZN7rocprim17ROCPRIM_400000_NS6detail17trampoline_kernelINS0_14default_configENS1_22reduce_config_selectorIlEEZNS1_11reduce_implILb1ES3_PlS7_lN6hipcub16HIPCUB_304000_NS6detail34convert_binary_result_type_wrapperINS9_3SumENS9_22TransformInputIteratorIb7NonZeroIfEPflEElEEEE10hipError_tPvRmT1_T2_T3_mT4_P12ihipStream_tbEUlT_E0_NS1_11comp_targetILNS1_3genE4ELNS1_11target_archE910ELNS1_3gpuE8ELNS1_3repE0EEENS1_30default_config_static_selectorELNS0_4arch9wavefront6targetE0EEEvSM_,comdat
	.protected	_ZN7rocprim17ROCPRIM_400000_NS6detail17trampoline_kernelINS0_14default_configENS1_22reduce_config_selectorIlEEZNS1_11reduce_implILb1ES3_PlS7_lN6hipcub16HIPCUB_304000_NS6detail34convert_binary_result_type_wrapperINS9_3SumENS9_22TransformInputIteratorIb7NonZeroIfEPflEElEEEE10hipError_tPvRmT1_T2_T3_mT4_P12ihipStream_tbEUlT_E0_NS1_11comp_targetILNS1_3genE4ELNS1_11target_archE910ELNS1_3gpuE8ELNS1_3repE0EEENS1_30default_config_static_selectorELNS0_4arch9wavefront6targetE0EEEvSM_ ; -- Begin function _ZN7rocprim17ROCPRIM_400000_NS6detail17trampoline_kernelINS0_14default_configENS1_22reduce_config_selectorIlEEZNS1_11reduce_implILb1ES3_PlS7_lN6hipcub16HIPCUB_304000_NS6detail34convert_binary_result_type_wrapperINS9_3SumENS9_22TransformInputIteratorIb7NonZeroIfEPflEElEEEE10hipError_tPvRmT1_T2_T3_mT4_P12ihipStream_tbEUlT_E0_NS1_11comp_targetILNS1_3genE4ELNS1_11target_archE910ELNS1_3gpuE8ELNS1_3repE0EEENS1_30default_config_static_selectorELNS0_4arch9wavefront6targetE0EEEvSM_
	.globl	_ZN7rocprim17ROCPRIM_400000_NS6detail17trampoline_kernelINS0_14default_configENS1_22reduce_config_selectorIlEEZNS1_11reduce_implILb1ES3_PlS7_lN6hipcub16HIPCUB_304000_NS6detail34convert_binary_result_type_wrapperINS9_3SumENS9_22TransformInputIteratorIb7NonZeroIfEPflEElEEEE10hipError_tPvRmT1_T2_T3_mT4_P12ihipStream_tbEUlT_E0_NS1_11comp_targetILNS1_3genE4ELNS1_11target_archE910ELNS1_3gpuE8ELNS1_3repE0EEENS1_30default_config_static_selectorELNS0_4arch9wavefront6targetE0EEEvSM_
	.p2align	8
	.type	_ZN7rocprim17ROCPRIM_400000_NS6detail17trampoline_kernelINS0_14default_configENS1_22reduce_config_selectorIlEEZNS1_11reduce_implILb1ES3_PlS7_lN6hipcub16HIPCUB_304000_NS6detail34convert_binary_result_type_wrapperINS9_3SumENS9_22TransformInputIteratorIb7NonZeroIfEPflEElEEEE10hipError_tPvRmT1_T2_T3_mT4_P12ihipStream_tbEUlT_E0_NS1_11comp_targetILNS1_3genE4ELNS1_11target_archE910ELNS1_3gpuE8ELNS1_3repE0EEENS1_30default_config_static_selectorELNS0_4arch9wavefront6targetE0EEEvSM_,@function
_ZN7rocprim17ROCPRIM_400000_NS6detail17trampoline_kernelINS0_14default_configENS1_22reduce_config_selectorIlEEZNS1_11reduce_implILb1ES3_PlS7_lN6hipcub16HIPCUB_304000_NS6detail34convert_binary_result_type_wrapperINS9_3SumENS9_22TransformInputIteratorIb7NonZeroIfEPflEElEEEE10hipError_tPvRmT1_T2_T3_mT4_P12ihipStream_tbEUlT_E0_NS1_11comp_targetILNS1_3genE4ELNS1_11target_archE910ELNS1_3gpuE8ELNS1_3repE0EEENS1_30default_config_static_selectorELNS0_4arch9wavefront6targetE0EEEvSM_: ; @_ZN7rocprim17ROCPRIM_400000_NS6detail17trampoline_kernelINS0_14default_configENS1_22reduce_config_selectorIlEEZNS1_11reduce_implILb1ES3_PlS7_lN6hipcub16HIPCUB_304000_NS6detail34convert_binary_result_type_wrapperINS9_3SumENS9_22TransformInputIteratorIb7NonZeroIfEPflEElEEEE10hipError_tPvRmT1_T2_T3_mT4_P12ihipStream_tbEUlT_E0_NS1_11comp_targetILNS1_3genE4ELNS1_11target_archE910ELNS1_3gpuE8ELNS1_3repE0EEENS1_30default_config_static_selectorELNS0_4arch9wavefront6targetE0EEEvSM_
; %bb.0:
	.section	.rodata,"a",@progbits
	.p2align	6, 0x0
	.amdhsa_kernel _ZN7rocprim17ROCPRIM_400000_NS6detail17trampoline_kernelINS0_14default_configENS1_22reduce_config_selectorIlEEZNS1_11reduce_implILb1ES3_PlS7_lN6hipcub16HIPCUB_304000_NS6detail34convert_binary_result_type_wrapperINS9_3SumENS9_22TransformInputIteratorIb7NonZeroIfEPflEElEEEE10hipError_tPvRmT1_T2_T3_mT4_P12ihipStream_tbEUlT_E0_NS1_11comp_targetILNS1_3genE4ELNS1_11target_archE910ELNS1_3gpuE8ELNS1_3repE0EEENS1_30default_config_static_selectorELNS0_4arch9wavefront6targetE0EEEvSM_
		.amdhsa_group_segment_fixed_size 0
		.amdhsa_private_segment_fixed_size 0
		.amdhsa_kernarg_size 64
		.amdhsa_user_sgpr_count 15
		.amdhsa_user_sgpr_dispatch_ptr 0
		.amdhsa_user_sgpr_queue_ptr 0
		.amdhsa_user_sgpr_kernarg_segment_ptr 1
		.amdhsa_user_sgpr_dispatch_id 0
		.amdhsa_user_sgpr_private_segment_size 0
		.amdhsa_wavefront_size32 1
		.amdhsa_uses_dynamic_stack 0
		.amdhsa_enable_private_segment 0
		.amdhsa_system_sgpr_workgroup_id_x 1
		.amdhsa_system_sgpr_workgroup_id_y 0
		.amdhsa_system_sgpr_workgroup_id_z 0
		.amdhsa_system_sgpr_workgroup_info 0
		.amdhsa_system_vgpr_workitem_id 0
		.amdhsa_next_free_vgpr 1
		.amdhsa_next_free_sgpr 1
		.amdhsa_reserve_vcc 0
		.amdhsa_float_round_mode_32 0
		.amdhsa_float_round_mode_16_64 0
		.amdhsa_float_denorm_mode_32 3
		.amdhsa_float_denorm_mode_16_64 3
		.amdhsa_dx10_clamp 1
		.amdhsa_ieee_mode 1
		.amdhsa_fp16_overflow 0
		.amdhsa_workgroup_processor_mode 1
		.amdhsa_memory_ordered 1
		.amdhsa_forward_progress 0
		.amdhsa_shared_vgpr_count 0
		.amdhsa_exception_fp_ieee_invalid_op 0
		.amdhsa_exception_fp_denorm_src 0
		.amdhsa_exception_fp_ieee_div_zero 0
		.amdhsa_exception_fp_ieee_overflow 0
		.amdhsa_exception_fp_ieee_underflow 0
		.amdhsa_exception_fp_ieee_inexact 0
		.amdhsa_exception_int_div_zero 0
	.end_amdhsa_kernel
	.section	.text._ZN7rocprim17ROCPRIM_400000_NS6detail17trampoline_kernelINS0_14default_configENS1_22reduce_config_selectorIlEEZNS1_11reduce_implILb1ES3_PlS7_lN6hipcub16HIPCUB_304000_NS6detail34convert_binary_result_type_wrapperINS9_3SumENS9_22TransformInputIteratorIb7NonZeroIfEPflEElEEEE10hipError_tPvRmT1_T2_T3_mT4_P12ihipStream_tbEUlT_E0_NS1_11comp_targetILNS1_3genE4ELNS1_11target_archE910ELNS1_3gpuE8ELNS1_3repE0EEENS1_30default_config_static_selectorELNS0_4arch9wavefront6targetE0EEEvSM_,"axG",@progbits,_ZN7rocprim17ROCPRIM_400000_NS6detail17trampoline_kernelINS0_14default_configENS1_22reduce_config_selectorIlEEZNS1_11reduce_implILb1ES3_PlS7_lN6hipcub16HIPCUB_304000_NS6detail34convert_binary_result_type_wrapperINS9_3SumENS9_22TransformInputIteratorIb7NonZeroIfEPflEElEEEE10hipError_tPvRmT1_T2_T3_mT4_P12ihipStream_tbEUlT_E0_NS1_11comp_targetILNS1_3genE4ELNS1_11target_archE910ELNS1_3gpuE8ELNS1_3repE0EEENS1_30default_config_static_selectorELNS0_4arch9wavefront6targetE0EEEvSM_,comdat
.Lfunc_end219:
	.size	_ZN7rocprim17ROCPRIM_400000_NS6detail17trampoline_kernelINS0_14default_configENS1_22reduce_config_selectorIlEEZNS1_11reduce_implILb1ES3_PlS7_lN6hipcub16HIPCUB_304000_NS6detail34convert_binary_result_type_wrapperINS9_3SumENS9_22TransformInputIteratorIb7NonZeroIfEPflEElEEEE10hipError_tPvRmT1_T2_T3_mT4_P12ihipStream_tbEUlT_E0_NS1_11comp_targetILNS1_3genE4ELNS1_11target_archE910ELNS1_3gpuE8ELNS1_3repE0EEENS1_30default_config_static_selectorELNS0_4arch9wavefront6targetE0EEEvSM_, .Lfunc_end219-_ZN7rocprim17ROCPRIM_400000_NS6detail17trampoline_kernelINS0_14default_configENS1_22reduce_config_selectorIlEEZNS1_11reduce_implILb1ES3_PlS7_lN6hipcub16HIPCUB_304000_NS6detail34convert_binary_result_type_wrapperINS9_3SumENS9_22TransformInputIteratorIb7NonZeroIfEPflEElEEEE10hipError_tPvRmT1_T2_T3_mT4_P12ihipStream_tbEUlT_E0_NS1_11comp_targetILNS1_3genE4ELNS1_11target_archE910ELNS1_3gpuE8ELNS1_3repE0EEENS1_30default_config_static_selectorELNS0_4arch9wavefront6targetE0EEEvSM_
                                        ; -- End function
	.section	.AMDGPU.csdata,"",@progbits
; Kernel info:
; codeLenInByte = 0
; NumSgprs: 0
; NumVgprs: 0
; ScratchSize: 0
; MemoryBound: 0
; FloatMode: 240
; IeeeMode: 1
; LDSByteSize: 0 bytes/workgroup (compile time only)
; SGPRBlocks: 0
; VGPRBlocks: 0
; NumSGPRsForWavesPerEU: 1
; NumVGPRsForWavesPerEU: 1
; Occupancy: 16
; WaveLimiterHint : 0
; COMPUTE_PGM_RSRC2:SCRATCH_EN: 0
; COMPUTE_PGM_RSRC2:USER_SGPR: 15
; COMPUTE_PGM_RSRC2:TRAP_HANDLER: 0
; COMPUTE_PGM_RSRC2:TGID_X_EN: 1
; COMPUTE_PGM_RSRC2:TGID_Y_EN: 0
; COMPUTE_PGM_RSRC2:TGID_Z_EN: 0
; COMPUTE_PGM_RSRC2:TIDIG_COMP_CNT: 0
	.section	.text._ZN7rocprim17ROCPRIM_400000_NS6detail17trampoline_kernelINS0_14default_configENS1_22reduce_config_selectorIlEEZNS1_11reduce_implILb1ES3_PlS7_lN6hipcub16HIPCUB_304000_NS6detail34convert_binary_result_type_wrapperINS9_3SumENS9_22TransformInputIteratorIb7NonZeroIfEPflEElEEEE10hipError_tPvRmT1_T2_T3_mT4_P12ihipStream_tbEUlT_E0_NS1_11comp_targetILNS1_3genE3ELNS1_11target_archE908ELNS1_3gpuE7ELNS1_3repE0EEENS1_30default_config_static_selectorELNS0_4arch9wavefront6targetE0EEEvSM_,"axG",@progbits,_ZN7rocprim17ROCPRIM_400000_NS6detail17trampoline_kernelINS0_14default_configENS1_22reduce_config_selectorIlEEZNS1_11reduce_implILb1ES3_PlS7_lN6hipcub16HIPCUB_304000_NS6detail34convert_binary_result_type_wrapperINS9_3SumENS9_22TransformInputIteratorIb7NonZeroIfEPflEElEEEE10hipError_tPvRmT1_T2_T3_mT4_P12ihipStream_tbEUlT_E0_NS1_11comp_targetILNS1_3genE3ELNS1_11target_archE908ELNS1_3gpuE7ELNS1_3repE0EEENS1_30default_config_static_selectorELNS0_4arch9wavefront6targetE0EEEvSM_,comdat
	.protected	_ZN7rocprim17ROCPRIM_400000_NS6detail17trampoline_kernelINS0_14default_configENS1_22reduce_config_selectorIlEEZNS1_11reduce_implILb1ES3_PlS7_lN6hipcub16HIPCUB_304000_NS6detail34convert_binary_result_type_wrapperINS9_3SumENS9_22TransformInputIteratorIb7NonZeroIfEPflEElEEEE10hipError_tPvRmT1_T2_T3_mT4_P12ihipStream_tbEUlT_E0_NS1_11comp_targetILNS1_3genE3ELNS1_11target_archE908ELNS1_3gpuE7ELNS1_3repE0EEENS1_30default_config_static_selectorELNS0_4arch9wavefront6targetE0EEEvSM_ ; -- Begin function _ZN7rocprim17ROCPRIM_400000_NS6detail17trampoline_kernelINS0_14default_configENS1_22reduce_config_selectorIlEEZNS1_11reduce_implILb1ES3_PlS7_lN6hipcub16HIPCUB_304000_NS6detail34convert_binary_result_type_wrapperINS9_3SumENS9_22TransformInputIteratorIb7NonZeroIfEPflEElEEEE10hipError_tPvRmT1_T2_T3_mT4_P12ihipStream_tbEUlT_E0_NS1_11comp_targetILNS1_3genE3ELNS1_11target_archE908ELNS1_3gpuE7ELNS1_3repE0EEENS1_30default_config_static_selectorELNS0_4arch9wavefront6targetE0EEEvSM_
	.globl	_ZN7rocprim17ROCPRIM_400000_NS6detail17trampoline_kernelINS0_14default_configENS1_22reduce_config_selectorIlEEZNS1_11reduce_implILb1ES3_PlS7_lN6hipcub16HIPCUB_304000_NS6detail34convert_binary_result_type_wrapperINS9_3SumENS9_22TransformInputIteratorIb7NonZeroIfEPflEElEEEE10hipError_tPvRmT1_T2_T3_mT4_P12ihipStream_tbEUlT_E0_NS1_11comp_targetILNS1_3genE3ELNS1_11target_archE908ELNS1_3gpuE7ELNS1_3repE0EEENS1_30default_config_static_selectorELNS0_4arch9wavefront6targetE0EEEvSM_
	.p2align	8
	.type	_ZN7rocprim17ROCPRIM_400000_NS6detail17trampoline_kernelINS0_14default_configENS1_22reduce_config_selectorIlEEZNS1_11reduce_implILb1ES3_PlS7_lN6hipcub16HIPCUB_304000_NS6detail34convert_binary_result_type_wrapperINS9_3SumENS9_22TransformInputIteratorIb7NonZeroIfEPflEElEEEE10hipError_tPvRmT1_T2_T3_mT4_P12ihipStream_tbEUlT_E0_NS1_11comp_targetILNS1_3genE3ELNS1_11target_archE908ELNS1_3gpuE7ELNS1_3repE0EEENS1_30default_config_static_selectorELNS0_4arch9wavefront6targetE0EEEvSM_,@function
_ZN7rocprim17ROCPRIM_400000_NS6detail17trampoline_kernelINS0_14default_configENS1_22reduce_config_selectorIlEEZNS1_11reduce_implILb1ES3_PlS7_lN6hipcub16HIPCUB_304000_NS6detail34convert_binary_result_type_wrapperINS9_3SumENS9_22TransformInputIteratorIb7NonZeroIfEPflEElEEEE10hipError_tPvRmT1_T2_T3_mT4_P12ihipStream_tbEUlT_E0_NS1_11comp_targetILNS1_3genE3ELNS1_11target_archE908ELNS1_3gpuE7ELNS1_3repE0EEENS1_30default_config_static_selectorELNS0_4arch9wavefront6targetE0EEEvSM_: ; @_ZN7rocprim17ROCPRIM_400000_NS6detail17trampoline_kernelINS0_14default_configENS1_22reduce_config_selectorIlEEZNS1_11reduce_implILb1ES3_PlS7_lN6hipcub16HIPCUB_304000_NS6detail34convert_binary_result_type_wrapperINS9_3SumENS9_22TransformInputIteratorIb7NonZeroIfEPflEElEEEE10hipError_tPvRmT1_T2_T3_mT4_P12ihipStream_tbEUlT_E0_NS1_11comp_targetILNS1_3genE3ELNS1_11target_archE908ELNS1_3gpuE7ELNS1_3repE0EEENS1_30default_config_static_selectorELNS0_4arch9wavefront6targetE0EEEvSM_
; %bb.0:
	.section	.rodata,"a",@progbits
	.p2align	6, 0x0
	.amdhsa_kernel _ZN7rocprim17ROCPRIM_400000_NS6detail17trampoline_kernelINS0_14default_configENS1_22reduce_config_selectorIlEEZNS1_11reduce_implILb1ES3_PlS7_lN6hipcub16HIPCUB_304000_NS6detail34convert_binary_result_type_wrapperINS9_3SumENS9_22TransformInputIteratorIb7NonZeroIfEPflEElEEEE10hipError_tPvRmT1_T2_T3_mT4_P12ihipStream_tbEUlT_E0_NS1_11comp_targetILNS1_3genE3ELNS1_11target_archE908ELNS1_3gpuE7ELNS1_3repE0EEENS1_30default_config_static_selectorELNS0_4arch9wavefront6targetE0EEEvSM_
		.amdhsa_group_segment_fixed_size 0
		.amdhsa_private_segment_fixed_size 0
		.amdhsa_kernarg_size 64
		.amdhsa_user_sgpr_count 15
		.amdhsa_user_sgpr_dispatch_ptr 0
		.amdhsa_user_sgpr_queue_ptr 0
		.amdhsa_user_sgpr_kernarg_segment_ptr 1
		.amdhsa_user_sgpr_dispatch_id 0
		.amdhsa_user_sgpr_private_segment_size 0
		.amdhsa_wavefront_size32 1
		.amdhsa_uses_dynamic_stack 0
		.amdhsa_enable_private_segment 0
		.amdhsa_system_sgpr_workgroup_id_x 1
		.amdhsa_system_sgpr_workgroup_id_y 0
		.amdhsa_system_sgpr_workgroup_id_z 0
		.amdhsa_system_sgpr_workgroup_info 0
		.amdhsa_system_vgpr_workitem_id 0
		.amdhsa_next_free_vgpr 1
		.amdhsa_next_free_sgpr 1
		.amdhsa_reserve_vcc 0
		.amdhsa_float_round_mode_32 0
		.amdhsa_float_round_mode_16_64 0
		.amdhsa_float_denorm_mode_32 3
		.amdhsa_float_denorm_mode_16_64 3
		.amdhsa_dx10_clamp 1
		.amdhsa_ieee_mode 1
		.amdhsa_fp16_overflow 0
		.amdhsa_workgroup_processor_mode 1
		.amdhsa_memory_ordered 1
		.amdhsa_forward_progress 0
		.amdhsa_shared_vgpr_count 0
		.amdhsa_exception_fp_ieee_invalid_op 0
		.amdhsa_exception_fp_denorm_src 0
		.amdhsa_exception_fp_ieee_div_zero 0
		.amdhsa_exception_fp_ieee_overflow 0
		.amdhsa_exception_fp_ieee_underflow 0
		.amdhsa_exception_fp_ieee_inexact 0
		.amdhsa_exception_int_div_zero 0
	.end_amdhsa_kernel
	.section	.text._ZN7rocprim17ROCPRIM_400000_NS6detail17trampoline_kernelINS0_14default_configENS1_22reduce_config_selectorIlEEZNS1_11reduce_implILb1ES3_PlS7_lN6hipcub16HIPCUB_304000_NS6detail34convert_binary_result_type_wrapperINS9_3SumENS9_22TransformInputIteratorIb7NonZeroIfEPflEElEEEE10hipError_tPvRmT1_T2_T3_mT4_P12ihipStream_tbEUlT_E0_NS1_11comp_targetILNS1_3genE3ELNS1_11target_archE908ELNS1_3gpuE7ELNS1_3repE0EEENS1_30default_config_static_selectorELNS0_4arch9wavefront6targetE0EEEvSM_,"axG",@progbits,_ZN7rocprim17ROCPRIM_400000_NS6detail17trampoline_kernelINS0_14default_configENS1_22reduce_config_selectorIlEEZNS1_11reduce_implILb1ES3_PlS7_lN6hipcub16HIPCUB_304000_NS6detail34convert_binary_result_type_wrapperINS9_3SumENS9_22TransformInputIteratorIb7NonZeroIfEPflEElEEEE10hipError_tPvRmT1_T2_T3_mT4_P12ihipStream_tbEUlT_E0_NS1_11comp_targetILNS1_3genE3ELNS1_11target_archE908ELNS1_3gpuE7ELNS1_3repE0EEENS1_30default_config_static_selectorELNS0_4arch9wavefront6targetE0EEEvSM_,comdat
.Lfunc_end220:
	.size	_ZN7rocprim17ROCPRIM_400000_NS6detail17trampoline_kernelINS0_14default_configENS1_22reduce_config_selectorIlEEZNS1_11reduce_implILb1ES3_PlS7_lN6hipcub16HIPCUB_304000_NS6detail34convert_binary_result_type_wrapperINS9_3SumENS9_22TransformInputIteratorIb7NonZeroIfEPflEElEEEE10hipError_tPvRmT1_T2_T3_mT4_P12ihipStream_tbEUlT_E0_NS1_11comp_targetILNS1_3genE3ELNS1_11target_archE908ELNS1_3gpuE7ELNS1_3repE0EEENS1_30default_config_static_selectorELNS0_4arch9wavefront6targetE0EEEvSM_, .Lfunc_end220-_ZN7rocprim17ROCPRIM_400000_NS6detail17trampoline_kernelINS0_14default_configENS1_22reduce_config_selectorIlEEZNS1_11reduce_implILb1ES3_PlS7_lN6hipcub16HIPCUB_304000_NS6detail34convert_binary_result_type_wrapperINS9_3SumENS9_22TransformInputIteratorIb7NonZeroIfEPflEElEEEE10hipError_tPvRmT1_T2_T3_mT4_P12ihipStream_tbEUlT_E0_NS1_11comp_targetILNS1_3genE3ELNS1_11target_archE908ELNS1_3gpuE7ELNS1_3repE0EEENS1_30default_config_static_selectorELNS0_4arch9wavefront6targetE0EEEvSM_
                                        ; -- End function
	.section	.AMDGPU.csdata,"",@progbits
; Kernel info:
; codeLenInByte = 0
; NumSgprs: 0
; NumVgprs: 0
; ScratchSize: 0
; MemoryBound: 0
; FloatMode: 240
; IeeeMode: 1
; LDSByteSize: 0 bytes/workgroup (compile time only)
; SGPRBlocks: 0
; VGPRBlocks: 0
; NumSGPRsForWavesPerEU: 1
; NumVGPRsForWavesPerEU: 1
; Occupancy: 16
; WaveLimiterHint : 0
; COMPUTE_PGM_RSRC2:SCRATCH_EN: 0
; COMPUTE_PGM_RSRC2:USER_SGPR: 15
; COMPUTE_PGM_RSRC2:TRAP_HANDLER: 0
; COMPUTE_PGM_RSRC2:TGID_X_EN: 1
; COMPUTE_PGM_RSRC2:TGID_Y_EN: 0
; COMPUTE_PGM_RSRC2:TGID_Z_EN: 0
; COMPUTE_PGM_RSRC2:TIDIG_COMP_CNT: 0
	.section	.text._ZN7rocprim17ROCPRIM_400000_NS6detail17trampoline_kernelINS0_14default_configENS1_22reduce_config_selectorIlEEZNS1_11reduce_implILb1ES3_PlS7_lN6hipcub16HIPCUB_304000_NS6detail34convert_binary_result_type_wrapperINS9_3SumENS9_22TransformInputIteratorIb7NonZeroIfEPflEElEEEE10hipError_tPvRmT1_T2_T3_mT4_P12ihipStream_tbEUlT_E0_NS1_11comp_targetILNS1_3genE2ELNS1_11target_archE906ELNS1_3gpuE6ELNS1_3repE0EEENS1_30default_config_static_selectorELNS0_4arch9wavefront6targetE0EEEvSM_,"axG",@progbits,_ZN7rocprim17ROCPRIM_400000_NS6detail17trampoline_kernelINS0_14default_configENS1_22reduce_config_selectorIlEEZNS1_11reduce_implILb1ES3_PlS7_lN6hipcub16HIPCUB_304000_NS6detail34convert_binary_result_type_wrapperINS9_3SumENS9_22TransformInputIteratorIb7NonZeroIfEPflEElEEEE10hipError_tPvRmT1_T2_T3_mT4_P12ihipStream_tbEUlT_E0_NS1_11comp_targetILNS1_3genE2ELNS1_11target_archE906ELNS1_3gpuE6ELNS1_3repE0EEENS1_30default_config_static_selectorELNS0_4arch9wavefront6targetE0EEEvSM_,comdat
	.protected	_ZN7rocprim17ROCPRIM_400000_NS6detail17trampoline_kernelINS0_14default_configENS1_22reduce_config_selectorIlEEZNS1_11reduce_implILb1ES3_PlS7_lN6hipcub16HIPCUB_304000_NS6detail34convert_binary_result_type_wrapperINS9_3SumENS9_22TransformInputIteratorIb7NonZeroIfEPflEElEEEE10hipError_tPvRmT1_T2_T3_mT4_P12ihipStream_tbEUlT_E0_NS1_11comp_targetILNS1_3genE2ELNS1_11target_archE906ELNS1_3gpuE6ELNS1_3repE0EEENS1_30default_config_static_selectorELNS0_4arch9wavefront6targetE0EEEvSM_ ; -- Begin function _ZN7rocprim17ROCPRIM_400000_NS6detail17trampoline_kernelINS0_14default_configENS1_22reduce_config_selectorIlEEZNS1_11reduce_implILb1ES3_PlS7_lN6hipcub16HIPCUB_304000_NS6detail34convert_binary_result_type_wrapperINS9_3SumENS9_22TransformInputIteratorIb7NonZeroIfEPflEElEEEE10hipError_tPvRmT1_T2_T3_mT4_P12ihipStream_tbEUlT_E0_NS1_11comp_targetILNS1_3genE2ELNS1_11target_archE906ELNS1_3gpuE6ELNS1_3repE0EEENS1_30default_config_static_selectorELNS0_4arch9wavefront6targetE0EEEvSM_
	.globl	_ZN7rocprim17ROCPRIM_400000_NS6detail17trampoline_kernelINS0_14default_configENS1_22reduce_config_selectorIlEEZNS1_11reduce_implILb1ES3_PlS7_lN6hipcub16HIPCUB_304000_NS6detail34convert_binary_result_type_wrapperINS9_3SumENS9_22TransformInputIteratorIb7NonZeroIfEPflEElEEEE10hipError_tPvRmT1_T2_T3_mT4_P12ihipStream_tbEUlT_E0_NS1_11comp_targetILNS1_3genE2ELNS1_11target_archE906ELNS1_3gpuE6ELNS1_3repE0EEENS1_30default_config_static_selectorELNS0_4arch9wavefront6targetE0EEEvSM_
	.p2align	8
	.type	_ZN7rocprim17ROCPRIM_400000_NS6detail17trampoline_kernelINS0_14default_configENS1_22reduce_config_selectorIlEEZNS1_11reduce_implILb1ES3_PlS7_lN6hipcub16HIPCUB_304000_NS6detail34convert_binary_result_type_wrapperINS9_3SumENS9_22TransformInputIteratorIb7NonZeroIfEPflEElEEEE10hipError_tPvRmT1_T2_T3_mT4_P12ihipStream_tbEUlT_E0_NS1_11comp_targetILNS1_3genE2ELNS1_11target_archE906ELNS1_3gpuE6ELNS1_3repE0EEENS1_30default_config_static_selectorELNS0_4arch9wavefront6targetE0EEEvSM_,@function
_ZN7rocprim17ROCPRIM_400000_NS6detail17trampoline_kernelINS0_14default_configENS1_22reduce_config_selectorIlEEZNS1_11reduce_implILb1ES3_PlS7_lN6hipcub16HIPCUB_304000_NS6detail34convert_binary_result_type_wrapperINS9_3SumENS9_22TransformInputIteratorIb7NonZeroIfEPflEElEEEE10hipError_tPvRmT1_T2_T3_mT4_P12ihipStream_tbEUlT_E0_NS1_11comp_targetILNS1_3genE2ELNS1_11target_archE906ELNS1_3gpuE6ELNS1_3repE0EEENS1_30default_config_static_selectorELNS0_4arch9wavefront6targetE0EEEvSM_: ; @_ZN7rocprim17ROCPRIM_400000_NS6detail17trampoline_kernelINS0_14default_configENS1_22reduce_config_selectorIlEEZNS1_11reduce_implILb1ES3_PlS7_lN6hipcub16HIPCUB_304000_NS6detail34convert_binary_result_type_wrapperINS9_3SumENS9_22TransformInputIteratorIb7NonZeroIfEPflEElEEEE10hipError_tPvRmT1_T2_T3_mT4_P12ihipStream_tbEUlT_E0_NS1_11comp_targetILNS1_3genE2ELNS1_11target_archE906ELNS1_3gpuE6ELNS1_3repE0EEENS1_30default_config_static_selectorELNS0_4arch9wavefront6targetE0EEEvSM_
; %bb.0:
	.section	.rodata,"a",@progbits
	.p2align	6, 0x0
	.amdhsa_kernel _ZN7rocprim17ROCPRIM_400000_NS6detail17trampoline_kernelINS0_14default_configENS1_22reduce_config_selectorIlEEZNS1_11reduce_implILb1ES3_PlS7_lN6hipcub16HIPCUB_304000_NS6detail34convert_binary_result_type_wrapperINS9_3SumENS9_22TransformInputIteratorIb7NonZeroIfEPflEElEEEE10hipError_tPvRmT1_T2_T3_mT4_P12ihipStream_tbEUlT_E0_NS1_11comp_targetILNS1_3genE2ELNS1_11target_archE906ELNS1_3gpuE6ELNS1_3repE0EEENS1_30default_config_static_selectorELNS0_4arch9wavefront6targetE0EEEvSM_
		.amdhsa_group_segment_fixed_size 0
		.amdhsa_private_segment_fixed_size 0
		.amdhsa_kernarg_size 64
		.amdhsa_user_sgpr_count 15
		.amdhsa_user_sgpr_dispatch_ptr 0
		.amdhsa_user_sgpr_queue_ptr 0
		.amdhsa_user_sgpr_kernarg_segment_ptr 1
		.amdhsa_user_sgpr_dispatch_id 0
		.amdhsa_user_sgpr_private_segment_size 0
		.amdhsa_wavefront_size32 1
		.amdhsa_uses_dynamic_stack 0
		.amdhsa_enable_private_segment 0
		.amdhsa_system_sgpr_workgroup_id_x 1
		.amdhsa_system_sgpr_workgroup_id_y 0
		.amdhsa_system_sgpr_workgroup_id_z 0
		.amdhsa_system_sgpr_workgroup_info 0
		.amdhsa_system_vgpr_workitem_id 0
		.amdhsa_next_free_vgpr 1
		.amdhsa_next_free_sgpr 1
		.amdhsa_reserve_vcc 0
		.amdhsa_float_round_mode_32 0
		.amdhsa_float_round_mode_16_64 0
		.amdhsa_float_denorm_mode_32 3
		.amdhsa_float_denorm_mode_16_64 3
		.amdhsa_dx10_clamp 1
		.amdhsa_ieee_mode 1
		.amdhsa_fp16_overflow 0
		.amdhsa_workgroup_processor_mode 1
		.amdhsa_memory_ordered 1
		.amdhsa_forward_progress 0
		.amdhsa_shared_vgpr_count 0
		.amdhsa_exception_fp_ieee_invalid_op 0
		.amdhsa_exception_fp_denorm_src 0
		.amdhsa_exception_fp_ieee_div_zero 0
		.amdhsa_exception_fp_ieee_overflow 0
		.amdhsa_exception_fp_ieee_underflow 0
		.amdhsa_exception_fp_ieee_inexact 0
		.amdhsa_exception_int_div_zero 0
	.end_amdhsa_kernel
	.section	.text._ZN7rocprim17ROCPRIM_400000_NS6detail17trampoline_kernelINS0_14default_configENS1_22reduce_config_selectorIlEEZNS1_11reduce_implILb1ES3_PlS7_lN6hipcub16HIPCUB_304000_NS6detail34convert_binary_result_type_wrapperINS9_3SumENS9_22TransformInputIteratorIb7NonZeroIfEPflEElEEEE10hipError_tPvRmT1_T2_T3_mT4_P12ihipStream_tbEUlT_E0_NS1_11comp_targetILNS1_3genE2ELNS1_11target_archE906ELNS1_3gpuE6ELNS1_3repE0EEENS1_30default_config_static_selectorELNS0_4arch9wavefront6targetE0EEEvSM_,"axG",@progbits,_ZN7rocprim17ROCPRIM_400000_NS6detail17trampoline_kernelINS0_14default_configENS1_22reduce_config_selectorIlEEZNS1_11reduce_implILb1ES3_PlS7_lN6hipcub16HIPCUB_304000_NS6detail34convert_binary_result_type_wrapperINS9_3SumENS9_22TransformInputIteratorIb7NonZeroIfEPflEElEEEE10hipError_tPvRmT1_T2_T3_mT4_P12ihipStream_tbEUlT_E0_NS1_11comp_targetILNS1_3genE2ELNS1_11target_archE906ELNS1_3gpuE6ELNS1_3repE0EEENS1_30default_config_static_selectorELNS0_4arch9wavefront6targetE0EEEvSM_,comdat
.Lfunc_end221:
	.size	_ZN7rocprim17ROCPRIM_400000_NS6detail17trampoline_kernelINS0_14default_configENS1_22reduce_config_selectorIlEEZNS1_11reduce_implILb1ES3_PlS7_lN6hipcub16HIPCUB_304000_NS6detail34convert_binary_result_type_wrapperINS9_3SumENS9_22TransformInputIteratorIb7NonZeroIfEPflEElEEEE10hipError_tPvRmT1_T2_T3_mT4_P12ihipStream_tbEUlT_E0_NS1_11comp_targetILNS1_3genE2ELNS1_11target_archE906ELNS1_3gpuE6ELNS1_3repE0EEENS1_30default_config_static_selectorELNS0_4arch9wavefront6targetE0EEEvSM_, .Lfunc_end221-_ZN7rocprim17ROCPRIM_400000_NS6detail17trampoline_kernelINS0_14default_configENS1_22reduce_config_selectorIlEEZNS1_11reduce_implILb1ES3_PlS7_lN6hipcub16HIPCUB_304000_NS6detail34convert_binary_result_type_wrapperINS9_3SumENS9_22TransformInputIteratorIb7NonZeroIfEPflEElEEEE10hipError_tPvRmT1_T2_T3_mT4_P12ihipStream_tbEUlT_E0_NS1_11comp_targetILNS1_3genE2ELNS1_11target_archE906ELNS1_3gpuE6ELNS1_3repE0EEENS1_30default_config_static_selectorELNS0_4arch9wavefront6targetE0EEEvSM_
                                        ; -- End function
	.section	.AMDGPU.csdata,"",@progbits
; Kernel info:
; codeLenInByte = 0
; NumSgprs: 0
; NumVgprs: 0
; ScratchSize: 0
; MemoryBound: 0
; FloatMode: 240
; IeeeMode: 1
; LDSByteSize: 0 bytes/workgroup (compile time only)
; SGPRBlocks: 0
; VGPRBlocks: 0
; NumSGPRsForWavesPerEU: 1
; NumVGPRsForWavesPerEU: 1
; Occupancy: 16
; WaveLimiterHint : 0
; COMPUTE_PGM_RSRC2:SCRATCH_EN: 0
; COMPUTE_PGM_RSRC2:USER_SGPR: 15
; COMPUTE_PGM_RSRC2:TRAP_HANDLER: 0
; COMPUTE_PGM_RSRC2:TGID_X_EN: 1
; COMPUTE_PGM_RSRC2:TGID_Y_EN: 0
; COMPUTE_PGM_RSRC2:TGID_Z_EN: 0
; COMPUTE_PGM_RSRC2:TIDIG_COMP_CNT: 0
	.section	.text._ZN7rocprim17ROCPRIM_400000_NS6detail17trampoline_kernelINS0_14default_configENS1_22reduce_config_selectorIlEEZNS1_11reduce_implILb1ES3_PlS7_lN6hipcub16HIPCUB_304000_NS6detail34convert_binary_result_type_wrapperINS9_3SumENS9_22TransformInputIteratorIb7NonZeroIfEPflEElEEEE10hipError_tPvRmT1_T2_T3_mT4_P12ihipStream_tbEUlT_E0_NS1_11comp_targetILNS1_3genE10ELNS1_11target_archE1201ELNS1_3gpuE5ELNS1_3repE0EEENS1_30default_config_static_selectorELNS0_4arch9wavefront6targetE0EEEvSM_,"axG",@progbits,_ZN7rocprim17ROCPRIM_400000_NS6detail17trampoline_kernelINS0_14default_configENS1_22reduce_config_selectorIlEEZNS1_11reduce_implILb1ES3_PlS7_lN6hipcub16HIPCUB_304000_NS6detail34convert_binary_result_type_wrapperINS9_3SumENS9_22TransformInputIteratorIb7NonZeroIfEPflEElEEEE10hipError_tPvRmT1_T2_T3_mT4_P12ihipStream_tbEUlT_E0_NS1_11comp_targetILNS1_3genE10ELNS1_11target_archE1201ELNS1_3gpuE5ELNS1_3repE0EEENS1_30default_config_static_selectorELNS0_4arch9wavefront6targetE0EEEvSM_,comdat
	.protected	_ZN7rocprim17ROCPRIM_400000_NS6detail17trampoline_kernelINS0_14default_configENS1_22reduce_config_selectorIlEEZNS1_11reduce_implILb1ES3_PlS7_lN6hipcub16HIPCUB_304000_NS6detail34convert_binary_result_type_wrapperINS9_3SumENS9_22TransformInputIteratorIb7NonZeroIfEPflEElEEEE10hipError_tPvRmT1_T2_T3_mT4_P12ihipStream_tbEUlT_E0_NS1_11comp_targetILNS1_3genE10ELNS1_11target_archE1201ELNS1_3gpuE5ELNS1_3repE0EEENS1_30default_config_static_selectorELNS0_4arch9wavefront6targetE0EEEvSM_ ; -- Begin function _ZN7rocprim17ROCPRIM_400000_NS6detail17trampoline_kernelINS0_14default_configENS1_22reduce_config_selectorIlEEZNS1_11reduce_implILb1ES3_PlS7_lN6hipcub16HIPCUB_304000_NS6detail34convert_binary_result_type_wrapperINS9_3SumENS9_22TransformInputIteratorIb7NonZeroIfEPflEElEEEE10hipError_tPvRmT1_T2_T3_mT4_P12ihipStream_tbEUlT_E0_NS1_11comp_targetILNS1_3genE10ELNS1_11target_archE1201ELNS1_3gpuE5ELNS1_3repE0EEENS1_30default_config_static_selectorELNS0_4arch9wavefront6targetE0EEEvSM_
	.globl	_ZN7rocprim17ROCPRIM_400000_NS6detail17trampoline_kernelINS0_14default_configENS1_22reduce_config_selectorIlEEZNS1_11reduce_implILb1ES3_PlS7_lN6hipcub16HIPCUB_304000_NS6detail34convert_binary_result_type_wrapperINS9_3SumENS9_22TransformInputIteratorIb7NonZeroIfEPflEElEEEE10hipError_tPvRmT1_T2_T3_mT4_P12ihipStream_tbEUlT_E0_NS1_11comp_targetILNS1_3genE10ELNS1_11target_archE1201ELNS1_3gpuE5ELNS1_3repE0EEENS1_30default_config_static_selectorELNS0_4arch9wavefront6targetE0EEEvSM_
	.p2align	8
	.type	_ZN7rocprim17ROCPRIM_400000_NS6detail17trampoline_kernelINS0_14default_configENS1_22reduce_config_selectorIlEEZNS1_11reduce_implILb1ES3_PlS7_lN6hipcub16HIPCUB_304000_NS6detail34convert_binary_result_type_wrapperINS9_3SumENS9_22TransformInputIteratorIb7NonZeroIfEPflEElEEEE10hipError_tPvRmT1_T2_T3_mT4_P12ihipStream_tbEUlT_E0_NS1_11comp_targetILNS1_3genE10ELNS1_11target_archE1201ELNS1_3gpuE5ELNS1_3repE0EEENS1_30default_config_static_selectorELNS0_4arch9wavefront6targetE0EEEvSM_,@function
_ZN7rocprim17ROCPRIM_400000_NS6detail17trampoline_kernelINS0_14default_configENS1_22reduce_config_selectorIlEEZNS1_11reduce_implILb1ES3_PlS7_lN6hipcub16HIPCUB_304000_NS6detail34convert_binary_result_type_wrapperINS9_3SumENS9_22TransformInputIteratorIb7NonZeroIfEPflEElEEEE10hipError_tPvRmT1_T2_T3_mT4_P12ihipStream_tbEUlT_E0_NS1_11comp_targetILNS1_3genE10ELNS1_11target_archE1201ELNS1_3gpuE5ELNS1_3repE0EEENS1_30default_config_static_selectorELNS0_4arch9wavefront6targetE0EEEvSM_: ; @_ZN7rocprim17ROCPRIM_400000_NS6detail17trampoline_kernelINS0_14default_configENS1_22reduce_config_selectorIlEEZNS1_11reduce_implILb1ES3_PlS7_lN6hipcub16HIPCUB_304000_NS6detail34convert_binary_result_type_wrapperINS9_3SumENS9_22TransformInputIteratorIb7NonZeroIfEPflEElEEEE10hipError_tPvRmT1_T2_T3_mT4_P12ihipStream_tbEUlT_E0_NS1_11comp_targetILNS1_3genE10ELNS1_11target_archE1201ELNS1_3gpuE5ELNS1_3repE0EEENS1_30default_config_static_selectorELNS0_4arch9wavefront6targetE0EEEvSM_
; %bb.0:
	.section	.rodata,"a",@progbits
	.p2align	6, 0x0
	.amdhsa_kernel _ZN7rocprim17ROCPRIM_400000_NS6detail17trampoline_kernelINS0_14default_configENS1_22reduce_config_selectorIlEEZNS1_11reduce_implILb1ES3_PlS7_lN6hipcub16HIPCUB_304000_NS6detail34convert_binary_result_type_wrapperINS9_3SumENS9_22TransformInputIteratorIb7NonZeroIfEPflEElEEEE10hipError_tPvRmT1_T2_T3_mT4_P12ihipStream_tbEUlT_E0_NS1_11comp_targetILNS1_3genE10ELNS1_11target_archE1201ELNS1_3gpuE5ELNS1_3repE0EEENS1_30default_config_static_selectorELNS0_4arch9wavefront6targetE0EEEvSM_
		.amdhsa_group_segment_fixed_size 0
		.amdhsa_private_segment_fixed_size 0
		.amdhsa_kernarg_size 64
		.amdhsa_user_sgpr_count 15
		.amdhsa_user_sgpr_dispatch_ptr 0
		.amdhsa_user_sgpr_queue_ptr 0
		.amdhsa_user_sgpr_kernarg_segment_ptr 1
		.amdhsa_user_sgpr_dispatch_id 0
		.amdhsa_user_sgpr_private_segment_size 0
		.amdhsa_wavefront_size32 1
		.amdhsa_uses_dynamic_stack 0
		.amdhsa_enable_private_segment 0
		.amdhsa_system_sgpr_workgroup_id_x 1
		.amdhsa_system_sgpr_workgroup_id_y 0
		.amdhsa_system_sgpr_workgroup_id_z 0
		.amdhsa_system_sgpr_workgroup_info 0
		.amdhsa_system_vgpr_workitem_id 0
		.amdhsa_next_free_vgpr 1
		.amdhsa_next_free_sgpr 1
		.amdhsa_reserve_vcc 0
		.amdhsa_float_round_mode_32 0
		.amdhsa_float_round_mode_16_64 0
		.amdhsa_float_denorm_mode_32 3
		.amdhsa_float_denorm_mode_16_64 3
		.amdhsa_dx10_clamp 1
		.amdhsa_ieee_mode 1
		.amdhsa_fp16_overflow 0
		.amdhsa_workgroup_processor_mode 1
		.amdhsa_memory_ordered 1
		.amdhsa_forward_progress 0
		.amdhsa_shared_vgpr_count 0
		.amdhsa_exception_fp_ieee_invalid_op 0
		.amdhsa_exception_fp_denorm_src 0
		.amdhsa_exception_fp_ieee_div_zero 0
		.amdhsa_exception_fp_ieee_overflow 0
		.amdhsa_exception_fp_ieee_underflow 0
		.amdhsa_exception_fp_ieee_inexact 0
		.amdhsa_exception_int_div_zero 0
	.end_amdhsa_kernel
	.section	.text._ZN7rocprim17ROCPRIM_400000_NS6detail17trampoline_kernelINS0_14default_configENS1_22reduce_config_selectorIlEEZNS1_11reduce_implILb1ES3_PlS7_lN6hipcub16HIPCUB_304000_NS6detail34convert_binary_result_type_wrapperINS9_3SumENS9_22TransformInputIteratorIb7NonZeroIfEPflEElEEEE10hipError_tPvRmT1_T2_T3_mT4_P12ihipStream_tbEUlT_E0_NS1_11comp_targetILNS1_3genE10ELNS1_11target_archE1201ELNS1_3gpuE5ELNS1_3repE0EEENS1_30default_config_static_selectorELNS0_4arch9wavefront6targetE0EEEvSM_,"axG",@progbits,_ZN7rocprim17ROCPRIM_400000_NS6detail17trampoline_kernelINS0_14default_configENS1_22reduce_config_selectorIlEEZNS1_11reduce_implILb1ES3_PlS7_lN6hipcub16HIPCUB_304000_NS6detail34convert_binary_result_type_wrapperINS9_3SumENS9_22TransformInputIteratorIb7NonZeroIfEPflEElEEEE10hipError_tPvRmT1_T2_T3_mT4_P12ihipStream_tbEUlT_E0_NS1_11comp_targetILNS1_3genE10ELNS1_11target_archE1201ELNS1_3gpuE5ELNS1_3repE0EEENS1_30default_config_static_selectorELNS0_4arch9wavefront6targetE0EEEvSM_,comdat
.Lfunc_end222:
	.size	_ZN7rocprim17ROCPRIM_400000_NS6detail17trampoline_kernelINS0_14default_configENS1_22reduce_config_selectorIlEEZNS1_11reduce_implILb1ES3_PlS7_lN6hipcub16HIPCUB_304000_NS6detail34convert_binary_result_type_wrapperINS9_3SumENS9_22TransformInputIteratorIb7NonZeroIfEPflEElEEEE10hipError_tPvRmT1_T2_T3_mT4_P12ihipStream_tbEUlT_E0_NS1_11comp_targetILNS1_3genE10ELNS1_11target_archE1201ELNS1_3gpuE5ELNS1_3repE0EEENS1_30default_config_static_selectorELNS0_4arch9wavefront6targetE0EEEvSM_, .Lfunc_end222-_ZN7rocprim17ROCPRIM_400000_NS6detail17trampoline_kernelINS0_14default_configENS1_22reduce_config_selectorIlEEZNS1_11reduce_implILb1ES3_PlS7_lN6hipcub16HIPCUB_304000_NS6detail34convert_binary_result_type_wrapperINS9_3SumENS9_22TransformInputIteratorIb7NonZeroIfEPflEElEEEE10hipError_tPvRmT1_T2_T3_mT4_P12ihipStream_tbEUlT_E0_NS1_11comp_targetILNS1_3genE10ELNS1_11target_archE1201ELNS1_3gpuE5ELNS1_3repE0EEENS1_30default_config_static_selectorELNS0_4arch9wavefront6targetE0EEEvSM_
                                        ; -- End function
	.section	.AMDGPU.csdata,"",@progbits
; Kernel info:
; codeLenInByte = 0
; NumSgprs: 0
; NumVgprs: 0
; ScratchSize: 0
; MemoryBound: 0
; FloatMode: 240
; IeeeMode: 1
; LDSByteSize: 0 bytes/workgroup (compile time only)
; SGPRBlocks: 0
; VGPRBlocks: 0
; NumSGPRsForWavesPerEU: 1
; NumVGPRsForWavesPerEU: 1
; Occupancy: 16
; WaveLimiterHint : 0
; COMPUTE_PGM_RSRC2:SCRATCH_EN: 0
; COMPUTE_PGM_RSRC2:USER_SGPR: 15
; COMPUTE_PGM_RSRC2:TRAP_HANDLER: 0
; COMPUTE_PGM_RSRC2:TGID_X_EN: 1
; COMPUTE_PGM_RSRC2:TGID_Y_EN: 0
; COMPUTE_PGM_RSRC2:TGID_Z_EN: 0
; COMPUTE_PGM_RSRC2:TIDIG_COMP_CNT: 0
	.section	.text._ZN7rocprim17ROCPRIM_400000_NS6detail17trampoline_kernelINS0_14default_configENS1_22reduce_config_selectorIlEEZNS1_11reduce_implILb1ES3_PlS7_lN6hipcub16HIPCUB_304000_NS6detail34convert_binary_result_type_wrapperINS9_3SumENS9_22TransformInputIteratorIb7NonZeroIfEPflEElEEEE10hipError_tPvRmT1_T2_T3_mT4_P12ihipStream_tbEUlT_E0_NS1_11comp_targetILNS1_3genE10ELNS1_11target_archE1200ELNS1_3gpuE4ELNS1_3repE0EEENS1_30default_config_static_selectorELNS0_4arch9wavefront6targetE0EEEvSM_,"axG",@progbits,_ZN7rocprim17ROCPRIM_400000_NS6detail17trampoline_kernelINS0_14default_configENS1_22reduce_config_selectorIlEEZNS1_11reduce_implILb1ES3_PlS7_lN6hipcub16HIPCUB_304000_NS6detail34convert_binary_result_type_wrapperINS9_3SumENS9_22TransformInputIteratorIb7NonZeroIfEPflEElEEEE10hipError_tPvRmT1_T2_T3_mT4_P12ihipStream_tbEUlT_E0_NS1_11comp_targetILNS1_3genE10ELNS1_11target_archE1200ELNS1_3gpuE4ELNS1_3repE0EEENS1_30default_config_static_selectorELNS0_4arch9wavefront6targetE0EEEvSM_,comdat
	.protected	_ZN7rocprim17ROCPRIM_400000_NS6detail17trampoline_kernelINS0_14default_configENS1_22reduce_config_selectorIlEEZNS1_11reduce_implILb1ES3_PlS7_lN6hipcub16HIPCUB_304000_NS6detail34convert_binary_result_type_wrapperINS9_3SumENS9_22TransformInputIteratorIb7NonZeroIfEPflEElEEEE10hipError_tPvRmT1_T2_T3_mT4_P12ihipStream_tbEUlT_E0_NS1_11comp_targetILNS1_3genE10ELNS1_11target_archE1200ELNS1_3gpuE4ELNS1_3repE0EEENS1_30default_config_static_selectorELNS0_4arch9wavefront6targetE0EEEvSM_ ; -- Begin function _ZN7rocprim17ROCPRIM_400000_NS6detail17trampoline_kernelINS0_14default_configENS1_22reduce_config_selectorIlEEZNS1_11reduce_implILb1ES3_PlS7_lN6hipcub16HIPCUB_304000_NS6detail34convert_binary_result_type_wrapperINS9_3SumENS9_22TransformInputIteratorIb7NonZeroIfEPflEElEEEE10hipError_tPvRmT1_T2_T3_mT4_P12ihipStream_tbEUlT_E0_NS1_11comp_targetILNS1_3genE10ELNS1_11target_archE1200ELNS1_3gpuE4ELNS1_3repE0EEENS1_30default_config_static_selectorELNS0_4arch9wavefront6targetE0EEEvSM_
	.globl	_ZN7rocprim17ROCPRIM_400000_NS6detail17trampoline_kernelINS0_14default_configENS1_22reduce_config_selectorIlEEZNS1_11reduce_implILb1ES3_PlS7_lN6hipcub16HIPCUB_304000_NS6detail34convert_binary_result_type_wrapperINS9_3SumENS9_22TransformInputIteratorIb7NonZeroIfEPflEElEEEE10hipError_tPvRmT1_T2_T3_mT4_P12ihipStream_tbEUlT_E0_NS1_11comp_targetILNS1_3genE10ELNS1_11target_archE1200ELNS1_3gpuE4ELNS1_3repE0EEENS1_30default_config_static_selectorELNS0_4arch9wavefront6targetE0EEEvSM_
	.p2align	8
	.type	_ZN7rocprim17ROCPRIM_400000_NS6detail17trampoline_kernelINS0_14default_configENS1_22reduce_config_selectorIlEEZNS1_11reduce_implILb1ES3_PlS7_lN6hipcub16HIPCUB_304000_NS6detail34convert_binary_result_type_wrapperINS9_3SumENS9_22TransformInputIteratorIb7NonZeroIfEPflEElEEEE10hipError_tPvRmT1_T2_T3_mT4_P12ihipStream_tbEUlT_E0_NS1_11comp_targetILNS1_3genE10ELNS1_11target_archE1200ELNS1_3gpuE4ELNS1_3repE0EEENS1_30default_config_static_selectorELNS0_4arch9wavefront6targetE0EEEvSM_,@function
_ZN7rocprim17ROCPRIM_400000_NS6detail17trampoline_kernelINS0_14default_configENS1_22reduce_config_selectorIlEEZNS1_11reduce_implILb1ES3_PlS7_lN6hipcub16HIPCUB_304000_NS6detail34convert_binary_result_type_wrapperINS9_3SumENS9_22TransformInputIteratorIb7NonZeroIfEPflEElEEEE10hipError_tPvRmT1_T2_T3_mT4_P12ihipStream_tbEUlT_E0_NS1_11comp_targetILNS1_3genE10ELNS1_11target_archE1200ELNS1_3gpuE4ELNS1_3repE0EEENS1_30default_config_static_selectorELNS0_4arch9wavefront6targetE0EEEvSM_: ; @_ZN7rocprim17ROCPRIM_400000_NS6detail17trampoline_kernelINS0_14default_configENS1_22reduce_config_selectorIlEEZNS1_11reduce_implILb1ES3_PlS7_lN6hipcub16HIPCUB_304000_NS6detail34convert_binary_result_type_wrapperINS9_3SumENS9_22TransformInputIteratorIb7NonZeroIfEPflEElEEEE10hipError_tPvRmT1_T2_T3_mT4_P12ihipStream_tbEUlT_E0_NS1_11comp_targetILNS1_3genE10ELNS1_11target_archE1200ELNS1_3gpuE4ELNS1_3repE0EEENS1_30default_config_static_selectorELNS0_4arch9wavefront6targetE0EEEvSM_
; %bb.0:
	.section	.rodata,"a",@progbits
	.p2align	6, 0x0
	.amdhsa_kernel _ZN7rocprim17ROCPRIM_400000_NS6detail17trampoline_kernelINS0_14default_configENS1_22reduce_config_selectorIlEEZNS1_11reduce_implILb1ES3_PlS7_lN6hipcub16HIPCUB_304000_NS6detail34convert_binary_result_type_wrapperINS9_3SumENS9_22TransformInputIteratorIb7NonZeroIfEPflEElEEEE10hipError_tPvRmT1_T2_T3_mT4_P12ihipStream_tbEUlT_E0_NS1_11comp_targetILNS1_3genE10ELNS1_11target_archE1200ELNS1_3gpuE4ELNS1_3repE0EEENS1_30default_config_static_selectorELNS0_4arch9wavefront6targetE0EEEvSM_
		.amdhsa_group_segment_fixed_size 0
		.amdhsa_private_segment_fixed_size 0
		.amdhsa_kernarg_size 64
		.amdhsa_user_sgpr_count 15
		.amdhsa_user_sgpr_dispatch_ptr 0
		.amdhsa_user_sgpr_queue_ptr 0
		.amdhsa_user_sgpr_kernarg_segment_ptr 1
		.amdhsa_user_sgpr_dispatch_id 0
		.amdhsa_user_sgpr_private_segment_size 0
		.amdhsa_wavefront_size32 1
		.amdhsa_uses_dynamic_stack 0
		.amdhsa_enable_private_segment 0
		.amdhsa_system_sgpr_workgroup_id_x 1
		.amdhsa_system_sgpr_workgroup_id_y 0
		.amdhsa_system_sgpr_workgroup_id_z 0
		.amdhsa_system_sgpr_workgroup_info 0
		.amdhsa_system_vgpr_workitem_id 0
		.amdhsa_next_free_vgpr 1
		.amdhsa_next_free_sgpr 1
		.amdhsa_reserve_vcc 0
		.amdhsa_float_round_mode_32 0
		.amdhsa_float_round_mode_16_64 0
		.amdhsa_float_denorm_mode_32 3
		.amdhsa_float_denorm_mode_16_64 3
		.amdhsa_dx10_clamp 1
		.amdhsa_ieee_mode 1
		.amdhsa_fp16_overflow 0
		.amdhsa_workgroup_processor_mode 1
		.amdhsa_memory_ordered 1
		.amdhsa_forward_progress 0
		.amdhsa_shared_vgpr_count 0
		.amdhsa_exception_fp_ieee_invalid_op 0
		.amdhsa_exception_fp_denorm_src 0
		.amdhsa_exception_fp_ieee_div_zero 0
		.amdhsa_exception_fp_ieee_overflow 0
		.amdhsa_exception_fp_ieee_underflow 0
		.amdhsa_exception_fp_ieee_inexact 0
		.amdhsa_exception_int_div_zero 0
	.end_amdhsa_kernel
	.section	.text._ZN7rocprim17ROCPRIM_400000_NS6detail17trampoline_kernelINS0_14default_configENS1_22reduce_config_selectorIlEEZNS1_11reduce_implILb1ES3_PlS7_lN6hipcub16HIPCUB_304000_NS6detail34convert_binary_result_type_wrapperINS9_3SumENS9_22TransformInputIteratorIb7NonZeroIfEPflEElEEEE10hipError_tPvRmT1_T2_T3_mT4_P12ihipStream_tbEUlT_E0_NS1_11comp_targetILNS1_3genE10ELNS1_11target_archE1200ELNS1_3gpuE4ELNS1_3repE0EEENS1_30default_config_static_selectorELNS0_4arch9wavefront6targetE0EEEvSM_,"axG",@progbits,_ZN7rocprim17ROCPRIM_400000_NS6detail17trampoline_kernelINS0_14default_configENS1_22reduce_config_selectorIlEEZNS1_11reduce_implILb1ES3_PlS7_lN6hipcub16HIPCUB_304000_NS6detail34convert_binary_result_type_wrapperINS9_3SumENS9_22TransformInputIteratorIb7NonZeroIfEPflEElEEEE10hipError_tPvRmT1_T2_T3_mT4_P12ihipStream_tbEUlT_E0_NS1_11comp_targetILNS1_3genE10ELNS1_11target_archE1200ELNS1_3gpuE4ELNS1_3repE0EEENS1_30default_config_static_selectorELNS0_4arch9wavefront6targetE0EEEvSM_,comdat
.Lfunc_end223:
	.size	_ZN7rocprim17ROCPRIM_400000_NS6detail17trampoline_kernelINS0_14default_configENS1_22reduce_config_selectorIlEEZNS1_11reduce_implILb1ES3_PlS7_lN6hipcub16HIPCUB_304000_NS6detail34convert_binary_result_type_wrapperINS9_3SumENS9_22TransformInputIteratorIb7NonZeroIfEPflEElEEEE10hipError_tPvRmT1_T2_T3_mT4_P12ihipStream_tbEUlT_E0_NS1_11comp_targetILNS1_3genE10ELNS1_11target_archE1200ELNS1_3gpuE4ELNS1_3repE0EEENS1_30default_config_static_selectorELNS0_4arch9wavefront6targetE0EEEvSM_, .Lfunc_end223-_ZN7rocprim17ROCPRIM_400000_NS6detail17trampoline_kernelINS0_14default_configENS1_22reduce_config_selectorIlEEZNS1_11reduce_implILb1ES3_PlS7_lN6hipcub16HIPCUB_304000_NS6detail34convert_binary_result_type_wrapperINS9_3SumENS9_22TransformInputIteratorIb7NonZeroIfEPflEElEEEE10hipError_tPvRmT1_T2_T3_mT4_P12ihipStream_tbEUlT_E0_NS1_11comp_targetILNS1_3genE10ELNS1_11target_archE1200ELNS1_3gpuE4ELNS1_3repE0EEENS1_30default_config_static_selectorELNS0_4arch9wavefront6targetE0EEEvSM_
                                        ; -- End function
	.section	.AMDGPU.csdata,"",@progbits
; Kernel info:
; codeLenInByte = 0
; NumSgprs: 0
; NumVgprs: 0
; ScratchSize: 0
; MemoryBound: 0
; FloatMode: 240
; IeeeMode: 1
; LDSByteSize: 0 bytes/workgroup (compile time only)
; SGPRBlocks: 0
; VGPRBlocks: 0
; NumSGPRsForWavesPerEU: 1
; NumVGPRsForWavesPerEU: 1
; Occupancy: 16
; WaveLimiterHint : 0
; COMPUTE_PGM_RSRC2:SCRATCH_EN: 0
; COMPUTE_PGM_RSRC2:USER_SGPR: 15
; COMPUTE_PGM_RSRC2:TRAP_HANDLER: 0
; COMPUTE_PGM_RSRC2:TGID_X_EN: 1
; COMPUTE_PGM_RSRC2:TGID_Y_EN: 0
; COMPUTE_PGM_RSRC2:TGID_Z_EN: 0
; COMPUTE_PGM_RSRC2:TIDIG_COMP_CNT: 0
	.section	.text._ZN7rocprim17ROCPRIM_400000_NS6detail17trampoline_kernelINS0_14default_configENS1_22reduce_config_selectorIlEEZNS1_11reduce_implILb1ES3_PlS7_lN6hipcub16HIPCUB_304000_NS6detail34convert_binary_result_type_wrapperINS9_3SumENS9_22TransformInputIteratorIb7NonZeroIfEPflEElEEEE10hipError_tPvRmT1_T2_T3_mT4_P12ihipStream_tbEUlT_E0_NS1_11comp_targetILNS1_3genE9ELNS1_11target_archE1100ELNS1_3gpuE3ELNS1_3repE0EEENS1_30default_config_static_selectorELNS0_4arch9wavefront6targetE0EEEvSM_,"axG",@progbits,_ZN7rocprim17ROCPRIM_400000_NS6detail17trampoline_kernelINS0_14default_configENS1_22reduce_config_selectorIlEEZNS1_11reduce_implILb1ES3_PlS7_lN6hipcub16HIPCUB_304000_NS6detail34convert_binary_result_type_wrapperINS9_3SumENS9_22TransformInputIteratorIb7NonZeroIfEPflEElEEEE10hipError_tPvRmT1_T2_T3_mT4_P12ihipStream_tbEUlT_E0_NS1_11comp_targetILNS1_3genE9ELNS1_11target_archE1100ELNS1_3gpuE3ELNS1_3repE0EEENS1_30default_config_static_selectorELNS0_4arch9wavefront6targetE0EEEvSM_,comdat
	.protected	_ZN7rocprim17ROCPRIM_400000_NS6detail17trampoline_kernelINS0_14default_configENS1_22reduce_config_selectorIlEEZNS1_11reduce_implILb1ES3_PlS7_lN6hipcub16HIPCUB_304000_NS6detail34convert_binary_result_type_wrapperINS9_3SumENS9_22TransformInputIteratorIb7NonZeroIfEPflEElEEEE10hipError_tPvRmT1_T2_T3_mT4_P12ihipStream_tbEUlT_E0_NS1_11comp_targetILNS1_3genE9ELNS1_11target_archE1100ELNS1_3gpuE3ELNS1_3repE0EEENS1_30default_config_static_selectorELNS0_4arch9wavefront6targetE0EEEvSM_ ; -- Begin function _ZN7rocprim17ROCPRIM_400000_NS6detail17trampoline_kernelINS0_14default_configENS1_22reduce_config_selectorIlEEZNS1_11reduce_implILb1ES3_PlS7_lN6hipcub16HIPCUB_304000_NS6detail34convert_binary_result_type_wrapperINS9_3SumENS9_22TransformInputIteratorIb7NonZeroIfEPflEElEEEE10hipError_tPvRmT1_T2_T3_mT4_P12ihipStream_tbEUlT_E0_NS1_11comp_targetILNS1_3genE9ELNS1_11target_archE1100ELNS1_3gpuE3ELNS1_3repE0EEENS1_30default_config_static_selectorELNS0_4arch9wavefront6targetE0EEEvSM_
	.globl	_ZN7rocprim17ROCPRIM_400000_NS6detail17trampoline_kernelINS0_14default_configENS1_22reduce_config_selectorIlEEZNS1_11reduce_implILb1ES3_PlS7_lN6hipcub16HIPCUB_304000_NS6detail34convert_binary_result_type_wrapperINS9_3SumENS9_22TransformInputIteratorIb7NonZeroIfEPflEElEEEE10hipError_tPvRmT1_T2_T3_mT4_P12ihipStream_tbEUlT_E0_NS1_11comp_targetILNS1_3genE9ELNS1_11target_archE1100ELNS1_3gpuE3ELNS1_3repE0EEENS1_30default_config_static_selectorELNS0_4arch9wavefront6targetE0EEEvSM_
	.p2align	8
	.type	_ZN7rocprim17ROCPRIM_400000_NS6detail17trampoline_kernelINS0_14default_configENS1_22reduce_config_selectorIlEEZNS1_11reduce_implILb1ES3_PlS7_lN6hipcub16HIPCUB_304000_NS6detail34convert_binary_result_type_wrapperINS9_3SumENS9_22TransformInputIteratorIb7NonZeroIfEPflEElEEEE10hipError_tPvRmT1_T2_T3_mT4_P12ihipStream_tbEUlT_E0_NS1_11comp_targetILNS1_3genE9ELNS1_11target_archE1100ELNS1_3gpuE3ELNS1_3repE0EEENS1_30default_config_static_selectorELNS0_4arch9wavefront6targetE0EEEvSM_,@function
_ZN7rocprim17ROCPRIM_400000_NS6detail17trampoline_kernelINS0_14default_configENS1_22reduce_config_selectorIlEEZNS1_11reduce_implILb1ES3_PlS7_lN6hipcub16HIPCUB_304000_NS6detail34convert_binary_result_type_wrapperINS9_3SumENS9_22TransformInputIteratorIb7NonZeroIfEPflEElEEEE10hipError_tPvRmT1_T2_T3_mT4_P12ihipStream_tbEUlT_E0_NS1_11comp_targetILNS1_3genE9ELNS1_11target_archE1100ELNS1_3gpuE3ELNS1_3repE0EEENS1_30default_config_static_selectorELNS0_4arch9wavefront6targetE0EEEvSM_: ; @_ZN7rocprim17ROCPRIM_400000_NS6detail17trampoline_kernelINS0_14default_configENS1_22reduce_config_selectorIlEEZNS1_11reduce_implILb1ES3_PlS7_lN6hipcub16HIPCUB_304000_NS6detail34convert_binary_result_type_wrapperINS9_3SumENS9_22TransformInputIteratorIb7NonZeroIfEPflEElEEEE10hipError_tPvRmT1_T2_T3_mT4_P12ihipStream_tbEUlT_E0_NS1_11comp_targetILNS1_3genE9ELNS1_11target_archE1100ELNS1_3gpuE3ELNS1_3repE0EEENS1_30default_config_static_selectorELNS0_4arch9wavefront6targetE0EEEvSM_
; %bb.0:
	s_mov_b32 s2, s15
	s_clause 0x2
	s_load_b256 s[4:11], s[0:1], 0x0
	s_load_b128 s[12:15], s[0:1], 0x20
	s_load_b64 s[16:17], s[0:1], 0x30
	s_mov_b32 s1, 0
	v_lshlrev_b32_e32 v10, 3, v0
	v_mbcnt_lo_u32_b32 v9, -1, 0
	s_mov_b32 s3, s1
	s_waitcnt lgkmcnt(0)
	s_lshl_b64 s[6:7], s[6:7], 3
	s_delay_alu instid0(SALU_CYCLE_1) | instskip(SKIP_4) | instid1(SALU_CYCLE_1)
	s_add_u32 s18, s4, s6
	s_addc_u32 s19, s5, s7
	s_lshl_b32 s0, s2, 10
	s_lshr_b64 s[6:7], s[8:9], 10
	s_lshl_b64 s[4:5], s[0:1], 3
	s_add_u32 s4, s18, s4
	s_addc_u32 s5, s19, s5
	s_cmp_lg_u64 s[6:7], s[2:3]
	s_cbranch_scc0 .LBB224_6
; %bb.1:
	v_add_co_u32 v3, s1, s4, v10
	s_delay_alu instid0(VALU_DEP_1)
	v_add_co_ci_u32_e64 v4, null, s5, 0, s1
	global_load_b64 v[1:2], v10, s[4:5] offset:2048
	v_add_co_u32 v3, vcc_lo, 0x1000, v3
	v_add_co_ci_u32_e32 v4, vcc_lo, 0, v4, vcc_lo
	s_mov_b32 s1, exec_lo
	s_clause 0x2
	global_load_b64 v[5:6], v10, s[4:5]
	global_load_b64 v[7:8], v[3:4], off
	global_load_b64 v[3:4], v[3:4], off offset:2048
	s_waitcnt vmcnt(2)
	v_add_co_u32 v1, vcc_lo, v1, v5
	v_add_co_ci_u32_e32 v2, vcc_lo, v2, v6, vcc_lo
	s_waitcnt vmcnt(1)
	s_delay_alu instid0(VALU_DEP_2) | instskip(NEXT) | instid1(VALU_DEP_2)
	v_add_co_u32 v1, vcc_lo, v1, v7
	v_add_co_ci_u32_e32 v2, vcc_lo, v2, v8, vcc_lo
	s_waitcnt vmcnt(0)
	s_delay_alu instid0(VALU_DEP_2) | instskip(NEXT) | instid1(VALU_DEP_2)
	v_add_co_u32 v1, vcc_lo, v1, v3
	v_add_co_ci_u32_e32 v2, vcc_lo, v2, v4, vcc_lo
	s_delay_alu instid0(VALU_DEP_2) | instskip(NEXT) | instid1(VALU_DEP_1)
	v_mov_b32_dpp v3, v1 quad_perm:[1,0,3,2] row_mask:0xf bank_mask:0xf
	v_add_co_u32 v1, vcc_lo, v1, v3
	s_delay_alu instid0(VALU_DEP_3) | instskip(SKIP_1) | instid1(VALU_DEP_3)
	v_mov_b32_dpp v3, v2 quad_perm:[1,0,3,2] row_mask:0xf bank_mask:0xf
	v_add_co_ci_u32_e32 v2, vcc_lo, 0, v2, vcc_lo
	v_mov_b32_dpp v4, v1 quad_perm:[2,3,0,1] row_mask:0xf bank_mask:0xf
	v_add_co_u32 v1, vcc_lo, 0, v1
	s_delay_alu instid0(VALU_DEP_3) | instskip(NEXT) | instid1(VALU_DEP_2)
	v_add_co_ci_u32_e32 v2, vcc_lo, v3, v2, vcc_lo
	v_add_co_u32 v1, vcc_lo, v1, v4
	s_delay_alu instid0(VALU_DEP_2) | instskip(SKIP_1) | instid1(VALU_DEP_3)
	v_mov_b32_dpp v3, v2 quad_perm:[2,3,0,1] row_mask:0xf bank_mask:0xf
	v_add_co_ci_u32_e32 v2, vcc_lo, 0, v2, vcc_lo
	v_mov_b32_dpp v4, v1 row_ror:4 row_mask:0xf bank_mask:0xf
	v_add_co_u32 v1, vcc_lo, v1, 0
	s_delay_alu instid0(VALU_DEP_3) | instskip(NEXT) | instid1(VALU_DEP_2)
	v_add_co_ci_u32_e32 v2, vcc_lo, v2, v3, vcc_lo
	v_add_co_u32 v1, vcc_lo, v1, v4
	s_delay_alu instid0(VALU_DEP_2) | instskip(SKIP_1) | instid1(VALU_DEP_3)
	v_mov_b32_dpp v3, v2 row_ror:4 row_mask:0xf bank_mask:0xf
	v_add_co_ci_u32_e32 v2, vcc_lo, 0, v2, vcc_lo
	v_mov_b32_dpp v4, v1 row_ror:8 row_mask:0xf bank_mask:0xf
	v_add_co_u32 v1, vcc_lo, v1, 0
	s_delay_alu instid0(VALU_DEP_3) | instskip(NEXT) | instid1(VALU_DEP_2)
	v_add_co_ci_u32_e32 v2, vcc_lo, v2, v3, vcc_lo
	v_add_co_u32 v1, vcc_lo, v1, v4
	s_delay_alu instid0(VALU_DEP_2)
	v_mov_b32_dpp v3, v2 row_ror:8 row_mask:0xf bank_mask:0xf
	v_add_co_ci_u32_e32 v2, vcc_lo, 0, v2, vcc_lo
	ds_swizzle_b32 v4, v1 offset:swizzle(BROADCAST,32,15)
	v_add_co_u32 v1, vcc_lo, v1, 0
	v_add_co_ci_u32_e32 v2, vcc_lo, v2, v3, vcc_lo
	ds_swizzle_b32 v3, v2 offset:swizzle(BROADCAST,32,15)
	s_waitcnt lgkmcnt(1)
	v_add_co_u32 v1, vcc_lo, v1, v4
	v_add_co_ci_u32_e32 v2, vcc_lo, 0, v2, vcc_lo
	v_mov_b32_e32 v4, 0
	s_waitcnt lgkmcnt(0)
	s_delay_alu instid0(VALU_DEP_2)
	v_add_nc_u32_e32 v2, v3, v2
	ds_bpermute_b32 v1, v4, v1 offset:124
	ds_bpermute_b32 v2, v4, v2 offset:124
	v_cmpx_eq_u32_e32 0, v9
	s_cbranch_execz .LBB224_3
; %bb.2:
	v_lshrrev_b32_e32 v3, 2, v0
	s_delay_alu instid0(VALU_DEP_1)
	v_and_b32_e32 v3, 56, v3
	s_waitcnt lgkmcnt(0)
	ds_store_b64 v3, v[1:2]
.LBB224_3:
	s_or_b32 exec_lo, exec_lo, s1
	s_delay_alu instid0(SALU_CYCLE_1)
	s_mov_b32 s1, exec_lo
	s_waitcnt lgkmcnt(0)
	s_barrier
	buffer_gl0_inv
	v_cmpx_gt_u32_e32 32, v0
	s_cbranch_execz .LBB224_5
; %bb.4:
	v_and_b32_e32 v3, 7, v9
	s_delay_alu instid0(VALU_DEP_1) | instskip(SKIP_4) | instid1(VALU_DEP_2)
	v_lshlrev_b32_e32 v1, 3, v3
	v_cmp_ne_u32_e32 vcc_lo, 7, v3
	ds_load_b64 v[1:2], v1
	v_add_co_ci_u32_e32 v4, vcc_lo, 0, v9, vcc_lo
	v_cmp_gt_u32_e32 vcc_lo, 6, v3
	v_lshlrev_b32_e32 v4, 2, v4
	v_cndmask_b32_e64 v6, 0, 1, vcc_lo
	s_delay_alu instid0(VALU_DEP_1) | instskip(NEXT) | instid1(VALU_DEP_1)
	v_lshlrev_b32_e32 v6, 1, v6
	v_add_lshl_u32 v6, v6, v9, 2
	s_waitcnt lgkmcnt(0)
	ds_bpermute_b32 v5, v4, v1
	ds_bpermute_b32 v4, v4, v2
	s_waitcnt lgkmcnt(1)
	v_add_co_u32 v1, vcc_lo, v1, v5
	v_add_co_ci_u32_e32 v2, vcc_lo, 0, v2, vcc_lo
	ds_bpermute_b32 v5, v6, v1
	v_add_co_u32 v1, vcc_lo, 0, v1
	s_waitcnt lgkmcnt(1)
	v_add_co_ci_u32_e32 v2, vcc_lo, v4, v2, vcc_lo
	v_cmp_gt_u32_e32 vcc_lo, 4, v3
	ds_bpermute_b32 v4, v6, v2
	v_cndmask_b32_e64 v3, 0, 1, vcc_lo
	s_delay_alu instid0(VALU_DEP_1) | instskip(NEXT) | instid1(VALU_DEP_1)
	v_lshlrev_b32_e32 v3, 2, v3
	v_add_lshl_u32 v3, v3, v9, 2
	s_waitcnt lgkmcnt(1)
	v_add_co_u32 v1, vcc_lo, v1, v5
	v_add_co_ci_u32_e32 v2, vcc_lo, 0, v2, vcc_lo
	ds_bpermute_b32 v5, v3, v1
	v_add_co_u32 v1, vcc_lo, v1, 0
	s_waitcnt lgkmcnt(1)
	v_add_co_ci_u32_e32 v2, vcc_lo, v2, v4, vcc_lo
	ds_bpermute_b32 v3, v3, v2
	s_waitcnt lgkmcnt(1)
	v_add_co_u32 v1, vcc_lo, v1, v5
	v_add_co_ci_u32_e32 v2, vcc_lo, 0, v2, vcc_lo
	s_delay_alu instid0(VALU_DEP_2) | instskip(SKIP_1) | instid1(VALU_DEP_2)
	v_add_co_u32 v1, vcc_lo, v1, 0
	s_waitcnt lgkmcnt(0)
	v_add_co_ci_u32_e32 v2, vcc_lo, v2, v3, vcc_lo
.LBB224_5:
	s_or_b32 exec_lo, exec_lo, s1
	s_branch .LBB224_36
.LBB224_6:
                                        ; implicit-def: $vgpr1_vgpr2
	s_cbranch_execz .LBB224_36
; %bb.7:
	s_sub_i32 s6, s8, s0
	s_mov_b32 s0, exec_lo
                                        ; implicit-def: $vgpr1_vgpr2_vgpr3_vgpr4_vgpr5_vgpr6_vgpr7_vgpr8
	v_cmpx_gt_u32_e64 s6, v0
	s_cbranch_execz .LBB224_9
; %bb.8:
	global_load_b64 v[1:2], v10, s[4:5]
.LBB224_9:
	s_or_b32 exec_lo, exec_lo, s0
	v_or_b32_e32 v11, 0x100, v0
	s_delay_alu instid0(VALU_DEP_1)
	v_cmp_gt_u32_e32 vcc_lo, s6, v11
	s_and_saveexec_b32 s0, vcc_lo
	s_cbranch_execz .LBB224_11
; %bb.10:
	global_load_b64 v[3:4], v10, s[4:5] offset:2048
.LBB224_11:
	s_or_b32 exec_lo, exec_lo, s0
	v_or_b32_e32 v10, 0x200, v0
	s_delay_alu instid0(VALU_DEP_1) | instskip(NEXT) | instid1(VALU_DEP_1)
	v_cmp_gt_u32_e64 s0, s6, v10
	s_and_saveexec_b32 s1, s0
	s_cbranch_execz .LBB224_13
; %bb.12:
	v_lshlrev_b32_e32 v5, 3, v10
	global_load_b64 v[5:6], v5, s[4:5]
.LBB224_13:
	s_or_b32 exec_lo, exec_lo, s1
	v_or_b32_e32 v10, 0x300, v0
	s_delay_alu instid0(VALU_DEP_1) | instskip(NEXT) | instid1(VALU_DEP_1)
	v_cmp_gt_u32_e64 s1, s6, v10
	s_and_saveexec_b32 s7, s1
	s_cbranch_execz .LBB224_15
; %bb.14:
	v_lshlrev_b32_e32 v7, 3, v10
	global_load_b64 v[7:8], v7, s[4:5]
.LBB224_15:
	s_or_b32 exec_lo, exec_lo, s7
	s_waitcnt vmcnt(0)
	v_dual_cndmask_b32 v3, 0, v3 :: v_dual_cndmask_b32 v4, 0, v4
	s_delay_alu instid0(VALU_DEP_1) | instskip(NEXT) | instid1(VALU_DEP_2)
	v_add_co_u32 v1, vcc_lo, v3, v1
	v_add_co_ci_u32_e32 v2, vcc_lo, v4, v2, vcc_lo
	v_cmp_ne_u32_e32 vcc_lo, 31, v9
	v_cndmask_b32_e64 v4, 0, v5, s0
	v_cndmask_b32_e64 v3, 0, v6, s0
	;; [unrolled: 1-line block ×3, first 2 shown]
	s_min_u32 s0, s6, 0x100
	v_add_co_ci_u32_e32 v6, vcc_lo, 0, v9, vcc_lo
	v_add_co_u32 v1, vcc_lo, v1, v4
	v_add_co_ci_u32_e32 v2, vcc_lo, v2, v3, vcc_lo
	v_cndmask_b32_e64 v3, 0, v8, s1
	s_delay_alu instid0(VALU_DEP_3) | instskip(SKIP_1) | instid1(VALU_DEP_3)
	v_add_co_u32 v1, vcc_lo, v1, v5
	v_lshlrev_b32_e32 v4, 2, v6
	v_add_co_ci_u32_e32 v2, vcc_lo, v2, v3, vcc_lo
	v_and_b32_e32 v3, 0xe0, v0
	ds_bpermute_b32 v6, v4, v1
	ds_bpermute_b32 v5, v4, v2
	v_add_nc_u32_e32 v4, 1, v9
	v_sub_nc_u32_e64 v3, s0, v3 clamp
	s_delay_alu instid0(VALU_DEP_1)
	v_cmp_lt_u32_e32 vcc_lo, v4, v3
	v_mov_b32_e32 v4, v1
	s_and_saveexec_b32 s1, vcc_lo
	s_cbranch_execz .LBB224_17
; %bb.16:
	s_waitcnt lgkmcnt(1)
	v_add_co_u32 v4, vcc_lo, v1, v6
	v_add_co_ci_u32_e32 v2, vcc_lo, 0, v2, vcc_lo
	s_delay_alu instid0(VALU_DEP_2) | instskip(SKIP_1) | instid1(VALU_DEP_2)
	v_add_co_u32 v1, vcc_lo, v4, 0
	s_waitcnt lgkmcnt(0)
	v_add_co_ci_u32_e32 v2, vcc_lo, v2, v5, vcc_lo
.LBB224_17:
	s_or_b32 exec_lo, exec_lo, s1
	v_cmp_gt_u32_e32 vcc_lo, 30, v9
	v_add_nc_u32_e32 v7, 2, v9
	s_mov_b32 s1, exec_lo
	s_waitcnt lgkmcnt(0)
	v_cndmask_b32_e64 v5, 0, 1, vcc_lo
	s_delay_alu instid0(VALU_DEP_1) | instskip(NEXT) | instid1(VALU_DEP_1)
	v_lshlrev_b32_e32 v5, 1, v5
	v_add_lshl_u32 v5, v5, v9, 2
	ds_bpermute_b32 v6, v5, v4
	ds_bpermute_b32 v5, v5, v2
	v_cmpx_lt_u32_e64 v7, v3
	s_cbranch_execz .LBB224_19
; %bb.18:
	s_waitcnt lgkmcnt(1)
	v_add_co_u32 v4, vcc_lo, v1, v6
	v_add_co_ci_u32_e32 v2, vcc_lo, 0, v2, vcc_lo
	s_delay_alu instid0(VALU_DEP_2) | instskip(SKIP_1) | instid1(VALU_DEP_2)
	v_add_co_u32 v1, vcc_lo, 0, v4
	s_waitcnt lgkmcnt(0)
	v_add_co_ci_u32_e32 v2, vcc_lo, v5, v2, vcc_lo
.LBB224_19:
	s_or_b32 exec_lo, exec_lo, s1
	v_cmp_gt_u32_e32 vcc_lo, 28, v9
	v_add_nc_u32_e32 v7, 4, v9
	s_mov_b32 s1, exec_lo
	s_waitcnt lgkmcnt(0)
	v_cndmask_b32_e64 v5, 0, 1, vcc_lo
	s_delay_alu instid0(VALU_DEP_1) | instskip(NEXT) | instid1(VALU_DEP_1)
	v_lshlrev_b32_e32 v5, 2, v5
	v_add_lshl_u32 v5, v5, v9, 2
	ds_bpermute_b32 v6, v5, v4
	ds_bpermute_b32 v5, v5, v2
	v_cmpx_lt_u32_e64 v7, v3
	;; [unrolled: 22-line block ×3, first 2 shown]
	s_cbranch_execz .LBB224_23
; %bb.22:
	s_waitcnt lgkmcnt(1)
	v_add_co_u32 v4, vcc_lo, v1, v6
	v_add_co_ci_u32_e32 v2, vcc_lo, 0, v2, vcc_lo
	s_delay_alu instid0(VALU_DEP_2) | instskip(SKIP_1) | instid1(VALU_DEP_2)
	v_add_co_u32 v1, vcc_lo, 0, v4
	s_waitcnt lgkmcnt(0)
	v_add_co_ci_u32_e32 v2, vcc_lo, v5, v2, vcc_lo
.LBB224_23:
	s_or_b32 exec_lo, exec_lo, s1
	v_cmp_gt_u32_e32 vcc_lo, 16, v9
	s_mov_b32 s1, exec_lo
	s_waitcnt lgkmcnt(0)
	v_cndmask_b32_e64 v5, 0, 1, vcc_lo
	s_delay_alu instid0(VALU_DEP_1) | instskip(NEXT) | instid1(VALU_DEP_1)
	v_lshlrev_b32_e32 v5, 4, v5
	v_add_lshl_u32 v6, v5, v9, 2
	ds_bpermute_b32 v5, v6, v4
	ds_bpermute_b32 v4, v6, v2
	v_add_nc_u32_e32 v6, 16, v9
	s_delay_alu instid0(VALU_DEP_1)
	v_cmpx_lt_u32_e64 v6, v3
	s_cbranch_execz .LBB224_25
; %bb.24:
	s_waitcnt lgkmcnt(1)
	v_add_co_u32 v1, vcc_lo, v1, v5
	v_add_co_ci_u32_e32 v2, vcc_lo, 0, v2, vcc_lo
	s_delay_alu instid0(VALU_DEP_2) | instskip(SKIP_1) | instid1(VALU_DEP_2)
	v_add_co_u32 v1, vcc_lo, v1, 0
	s_waitcnt lgkmcnt(0)
	v_add_co_ci_u32_e32 v2, vcc_lo, v2, v4, vcc_lo
.LBB224_25:
	s_or_b32 exec_lo, exec_lo, s1
	s_delay_alu instid0(SALU_CYCLE_1)
	s_mov_b32 s1, exec_lo
	v_cmpx_eq_u32_e32 0, v9
	s_cbranch_execz .LBB224_27
; %bb.26:
	v_lshrrev_b32_e32 v3, 2, v0
	s_delay_alu instid0(VALU_DEP_1)
	v_and_b32_e32 v3, 56, v3
	ds_store_b64 v3, v[1:2] offset:64
.LBB224_27:
	s_or_b32 exec_lo, exec_lo, s1
	s_delay_alu instid0(SALU_CYCLE_1)
	s_mov_b32 s1, exec_lo
	s_waitcnt lgkmcnt(0)
	s_barrier
	buffer_gl0_inv
	v_cmpx_gt_u32_e32 8, v0
	s_cbranch_execz .LBB224_35
; %bb.28:
	v_lshlrev_b32_e32 v1, 3, v9
	s_add_i32 s0, s0, 31
	s_delay_alu instid0(SALU_CYCLE_1) | instskip(SKIP_2) | instid1(VALU_DEP_1)
	s_lshr_b32 s0, s0, 5
	ds_load_b64 v[1:2], v1 offset:64
	v_and_b32_e32 v3, 7, v9
	v_cmp_ne_u32_e32 vcc_lo, 7, v3
	v_add_co_ci_u32_e32 v4, vcc_lo, 0, v9, vcc_lo
	s_delay_alu instid0(VALU_DEP_1) | instskip(SKIP_4) | instid1(VALU_DEP_1)
	v_lshlrev_b32_e32 v4, 2, v4
	s_waitcnt lgkmcnt(0)
	ds_bpermute_b32 v6, v4, v1
	ds_bpermute_b32 v5, v4, v2
	v_add_nc_u32_e32 v4, 1, v3
	v_cmp_gt_u32_e32 vcc_lo, s0, v4
	v_mov_b32_e32 v4, v1
	s_and_saveexec_b32 s4, vcc_lo
	s_cbranch_execz .LBB224_30
; %bb.29:
	s_waitcnt lgkmcnt(1)
	v_add_co_u32 v4, vcc_lo, v1, v6
	v_add_co_ci_u32_e32 v2, vcc_lo, 0, v2, vcc_lo
	s_delay_alu instid0(VALU_DEP_2) | instskip(SKIP_1) | instid1(VALU_DEP_2)
	v_add_co_u32 v1, vcc_lo, 0, v4
	s_waitcnt lgkmcnt(0)
	v_add_co_ci_u32_e32 v2, vcc_lo, v5, v2, vcc_lo
.LBB224_30:
	s_or_b32 exec_lo, exec_lo, s4
	v_cmp_gt_u32_e32 vcc_lo, 6, v3
	v_add_nc_u32_e32 v7, 2, v3
	s_mov_b32 s4, exec_lo
	s_waitcnt lgkmcnt(0)
	v_cndmask_b32_e64 v5, 0, 1, vcc_lo
	s_delay_alu instid0(VALU_DEP_1) | instskip(NEXT) | instid1(VALU_DEP_1)
	v_lshlrev_b32_e32 v5, 1, v5
	v_add_lshl_u32 v5, v5, v9, 2
	ds_bpermute_b32 v6, v5, v4
	ds_bpermute_b32 v5, v5, v2
	v_cmpx_gt_u32_e64 s0, v7
	s_cbranch_execz .LBB224_32
; %bb.31:
	s_waitcnt lgkmcnt(1)
	v_add_co_u32 v4, vcc_lo, v1, v6
	v_add_co_ci_u32_e32 v2, vcc_lo, 0, v2, vcc_lo
	s_delay_alu instid0(VALU_DEP_2) | instskip(SKIP_1) | instid1(VALU_DEP_2)
	v_add_co_u32 v1, vcc_lo, 0, v4
	s_waitcnt lgkmcnt(0)
	v_add_co_ci_u32_e32 v2, vcc_lo, v5, v2, vcc_lo
.LBB224_32:
	s_or_b32 exec_lo, exec_lo, s4
	v_cmp_gt_u32_e32 vcc_lo, 4, v3
	v_add_nc_u32_e32 v3, 4, v3
	s_waitcnt lgkmcnt(0)
	v_cndmask_b32_e64 v5, 0, 1, vcc_lo
	s_delay_alu instid0(VALU_DEP_2) | instskip(NEXT) | instid1(VALU_DEP_2)
	v_cmp_gt_u32_e32 vcc_lo, s0, v3
	v_lshlrev_b32_e32 v5, 2, v5
	s_delay_alu instid0(VALU_DEP_1)
	v_add_lshl_u32 v6, v5, v9, 2
	ds_bpermute_b32 v5, v6, v4
	ds_bpermute_b32 v4, v6, v2
	s_and_saveexec_b32 s0, vcc_lo
	s_cbranch_execz .LBB224_34
; %bb.33:
	s_waitcnt lgkmcnt(1)
	v_add_co_u32 v1, vcc_lo, v1, v5
	v_add_co_ci_u32_e32 v2, vcc_lo, 0, v2, vcc_lo
	s_delay_alu instid0(VALU_DEP_2) | instskip(SKIP_1) | instid1(VALU_DEP_2)
	v_add_co_u32 v1, vcc_lo, v1, 0
	s_waitcnt lgkmcnt(0)
	v_add_co_ci_u32_e32 v2, vcc_lo, v2, v4, vcc_lo
.LBB224_34:
	s_or_b32 exec_lo, exec_lo, s0
.LBB224_35:
	s_delay_alu instid0(SALU_CYCLE_1)
	s_or_b32 exec_lo, exec_lo, s1
.LBB224_36:
	s_delay_alu instid0(SALU_CYCLE_1)
	s_mov_b32 s0, exec_lo
	v_cmpx_eq_u32_e32 0, v0
	s_cbranch_execz .LBB224_38
; %bb.37:
	s_mul_i32 s0, s14, s13
	s_mul_hi_u32 s1, s14, s12
	s_mul_i32 s4, s15, s12
	s_add_i32 s1, s1, s0
	s_mul_i32 s0, s14, s12
	s_add_i32 s1, s1, s4
	v_mov_b32_e32 v0, 0
	s_lshl_b64 s[0:1], s[0:1], 3
	s_delay_alu instid0(SALU_CYCLE_1)
	s_add_u32 s4, s10, s0
	s_addc_u32 s5, s11, s1
	s_cmp_eq_u64 s[8:9], 0
	s_cselect_b32 s6, -1, 0
	s_lshl_b64 s[0:1], s[2:3], 3
	v_cndmask_b32_e64 v2, v2, s17, s6
	v_cndmask_b32_e64 v1, v1, s16, s6
	s_add_u32 s0, s4, s0
	s_addc_u32 s1, s5, s1
	global_store_b64 v0, v[1:2], s[0:1]
.LBB224_38:
	s_nop 0
	s_sendmsg sendmsg(MSG_DEALLOC_VGPRS)
	s_endpgm
	.section	.rodata,"a",@progbits
	.p2align	6, 0x0
	.amdhsa_kernel _ZN7rocprim17ROCPRIM_400000_NS6detail17trampoline_kernelINS0_14default_configENS1_22reduce_config_selectorIlEEZNS1_11reduce_implILb1ES3_PlS7_lN6hipcub16HIPCUB_304000_NS6detail34convert_binary_result_type_wrapperINS9_3SumENS9_22TransformInputIteratorIb7NonZeroIfEPflEElEEEE10hipError_tPvRmT1_T2_T3_mT4_P12ihipStream_tbEUlT_E0_NS1_11comp_targetILNS1_3genE9ELNS1_11target_archE1100ELNS1_3gpuE3ELNS1_3repE0EEENS1_30default_config_static_selectorELNS0_4arch9wavefront6targetE0EEEvSM_
		.amdhsa_group_segment_fixed_size 128
		.amdhsa_private_segment_fixed_size 0
		.amdhsa_kernarg_size 64
		.amdhsa_user_sgpr_count 15
		.amdhsa_user_sgpr_dispatch_ptr 0
		.amdhsa_user_sgpr_queue_ptr 0
		.amdhsa_user_sgpr_kernarg_segment_ptr 1
		.amdhsa_user_sgpr_dispatch_id 0
		.amdhsa_user_sgpr_private_segment_size 0
		.amdhsa_wavefront_size32 1
		.amdhsa_uses_dynamic_stack 0
		.amdhsa_enable_private_segment 0
		.amdhsa_system_sgpr_workgroup_id_x 1
		.amdhsa_system_sgpr_workgroup_id_y 0
		.amdhsa_system_sgpr_workgroup_id_z 0
		.amdhsa_system_sgpr_workgroup_info 0
		.amdhsa_system_vgpr_workitem_id 0
		.amdhsa_next_free_vgpr 12
		.amdhsa_next_free_sgpr 20
		.amdhsa_reserve_vcc 1
		.amdhsa_float_round_mode_32 0
		.amdhsa_float_round_mode_16_64 0
		.amdhsa_float_denorm_mode_32 3
		.amdhsa_float_denorm_mode_16_64 3
		.amdhsa_dx10_clamp 1
		.amdhsa_ieee_mode 1
		.amdhsa_fp16_overflow 0
		.amdhsa_workgroup_processor_mode 1
		.amdhsa_memory_ordered 1
		.amdhsa_forward_progress 0
		.amdhsa_shared_vgpr_count 0
		.amdhsa_exception_fp_ieee_invalid_op 0
		.amdhsa_exception_fp_denorm_src 0
		.amdhsa_exception_fp_ieee_div_zero 0
		.amdhsa_exception_fp_ieee_overflow 0
		.amdhsa_exception_fp_ieee_underflow 0
		.amdhsa_exception_fp_ieee_inexact 0
		.amdhsa_exception_int_div_zero 0
	.end_amdhsa_kernel
	.section	.text._ZN7rocprim17ROCPRIM_400000_NS6detail17trampoline_kernelINS0_14default_configENS1_22reduce_config_selectorIlEEZNS1_11reduce_implILb1ES3_PlS7_lN6hipcub16HIPCUB_304000_NS6detail34convert_binary_result_type_wrapperINS9_3SumENS9_22TransformInputIteratorIb7NonZeroIfEPflEElEEEE10hipError_tPvRmT1_T2_T3_mT4_P12ihipStream_tbEUlT_E0_NS1_11comp_targetILNS1_3genE9ELNS1_11target_archE1100ELNS1_3gpuE3ELNS1_3repE0EEENS1_30default_config_static_selectorELNS0_4arch9wavefront6targetE0EEEvSM_,"axG",@progbits,_ZN7rocprim17ROCPRIM_400000_NS6detail17trampoline_kernelINS0_14default_configENS1_22reduce_config_selectorIlEEZNS1_11reduce_implILb1ES3_PlS7_lN6hipcub16HIPCUB_304000_NS6detail34convert_binary_result_type_wrapperINS9_3SumENS9_22TransformInputIteratorIb7NonZeroIfEPflEElEEEE10hipError_tPvRmT1_T2_T3_mT4_P12ihipStream_tbEUlT_E0_NS1_11comp_targetILNS1_3genE9ELNS1_11target_archE1100ELNS1_3gpuE3ELNS1_3repE0EEENS1_30default_config_static_selectorELNS0_4arch9wavefront6targetE0EEEvSM_,comdat
.Lfunc_end224:
	.size	_ZN7rocprim17ROCPRIM_400000_NS6detail17trampoline_kernelINS0_14default_configENS1_22reduce_config_selectorIlEEZNS1_11reduce_implILb1ES3_PlS7_lN6hipcub16HIPCUB_304000_NS6detail34convert_binary_result_type_wrapperINS9_3SumENS9_22TransformInputIteratorIb7NonZeroIfEPflEElEEEE10hipError_tPvRmT1_T2_T3_mT4_P12ihipStream_tbEUlT_E0_NS1_11comp_targetILNS1_3genE9ELNS1_11target_archE1100ELNS1_3gpuE3ELNS1_3repE0EEENS1_30default_config_static_selectorELNS0_4arch9wavefront6targetE0EEEvSM_, .Lfunc_end224-_ZN7rocprim17ROCPRIM_400000_NS6detail17trampoline_kernelINS0_14default_configENS1_22reduce_config_selectorIlEEZNS1_11reduce_implILb1ES3_PlS7_lN6hipcub16HIPCUB_304000_NS6detail34convert_binary_result_type_wrapperINS9_3SumENS9_22TransformInputIteratorIb7NonZeroIfEPflEElEEEE10hipError_tPvRmT1_T2_T3_mT4_P12ihipStream_tbEUlT_E0_NS1_11comp_targetILNS1_3genE9ELNS1_11target_archE1100ELNS1_3gpuE3ELNS1_3repE0EEENS1_30default_config_static_selectorELNS0_4arch9wavefront6targetE0EEEvSM_
                                        ; -- End function
	.section	.AMDGPU.csdata,"",@progbits
; Kernel info:
; codeLenInByte = 2140
; NumSgprs: 22
; NumVgprs: 12
; ScratchSize: 0
; MemoryBound: 0
; FloatMode: 240
; IeeeMode: 1
; LDSByteSize: 128 bytes/workgroup (compile time only)
; SGPRBlocks: 2
; VGPRBlocks: 1
; NumSGPRsForWavesPerEU: 22
; NumVGPRsForWavesPerEU: 12
; Occupancy: 16
; WaveLimiterHint : 1
; COMPUTE_PGM_RSRC2:SCRATCH_EN: 0
; COMPUTE_PGM_RSRC2:USER_SGPR: 15
; COMPUTE_PGM_RSRC2:TRAP_HANDLER: 0
; COMPUTE_PGM_RSRC2:TGID_X_EN: 1
; COMPUTE_PGM_RSRC2:TGID_Y_EN: 0
; COMPUTE_PGM_RSRC2:TGID_Z_EN: 0
; COMPUTE_PGM_RSRC2:TIDIG_COMP_CNT: 0
	.section	.text._ZN7rocprim17ROCPRIM_400000_NS6detail17trampoline_kernelINS0_14default_configENS1_22reduce_config_selectorIlEEZNS1_11reduce_implILb1ES3_PlS7_lN6hipcub16HIPCUB_304000_NS6detail34convert_binary_result_type_wrapperINS9_3SumENS9_22TransformInputIteratorIb7NonZeroIfEPflEElEEEE10hipError_tPvRmT1_T2_T3_mT4_P12ihipStream_tbEUlT_E0_NS1_11comp_targetILNS1_3genE8ELNS1_11target_archE1030ELNS1_3gpuE2ELNS1_3repE0EEENS1_30default_config_static_selectorELNS0_4arch9wavefront6targetE0EEEvSM_,"axG",@progbits,_ZN7rocprim17ROCPRIM_400000_NS6detail17trampoline_kernelINS0_14default_configENS1_22reduce_config_selectorIlEEZNS1_11reduce_implILb1ES3_PlS7_lN6hipcub16HIPCUB_304000_NS6detail34convert_binary_result_type_wrapperINS9_3SumENS9_22TransformInputIteratorIb7NonZeroIfEPflEElEEEE10hipError_tPvRmT1_T2_T3_mT4_P12ihipStream_tbEUlT_E0_NS1_11comp_targetILNS1_3genE8ELNS1_11target_archE1030ELNS1_3gpuE2ELNS1_3repE0EEENS1_30default_config_static_selectorELNS0_4arch9wavefront6targetE0EEEvSM_,comdat
	.protected	_ZN7rocprim17ROCPRIM_400000_NS6detail17trampoline_kernelINS0_14default_configENS1_22reduce_config_selectorIlEEZNS1_11reduce_implILb1ES3_PlS7_lN6hipcub16HIPCUB_304000_NS6detail34convert_binary_result_type_wrapperINS9_3SumENS9_22TransformInputIteratorIb7NonZeroIfEPflEElEEEE10hipError_tPvRmT1_T2_T3_mT4_P12ihipStream_tbEUlT_E0_NS1_11comp_targetILNS1_3genE8ELNS1_11target_archE1030ELNS1_3gpuE2ELNS1_3repE0EEENS1_30default_config_static_selectorELNS0_4arch9wavefront6targetE0EEEvSM_ ; -- Begin function _ZN7rocprim17ROCPRIM_400000_NS6detail17trampoline_kernelINS0_14default_configENS1_22reduce_config_selectorIlEEZNS1_11reduce_implILb1ES3_PlS7_lN6hipcub16HIPCUB_304000_NS6detail34convert_binary_result_type_wrapperINS9_3SumENS9_22TransformInputIteratorIb7NonZeroIfEPflEElEEEE10hipError_tPvRmT1_T2_T3_mT4_P12ihipStream_tbEUlT_E0_NS1_11comp_targetILNS1_3genE8ELNS1_11target_archE1030ELNS1_3gpuE2ELNS1_3repE0EEENS1_30default_config_static_selectorELNS0_4arch9wavefront6targetE0EEEvSM_
	.globl	_ZN7rocprim17ROCPRIM_400000_NS6detail17trampoline_kernelINS0_14default_configENS1_22reduce_config_selectorIlEEZNS1_11reduce_implILb1ES3_PlS7_lN6hipcub16HIPCUB_304000_NS6detail34convert_binary_result_type_wrapperINS9_3SumENS9_22TransformInputIteratorIb7NonZeroIfEPflEElEEEE10hipError_tPvRmT1_T2_T3_mT4_P12ihipStream_tbEUlT_E0_NS1_11comp_targetILNS1_3genE8ELNS1_11target_archE1030ELNS1_3gpuE2ELNS1_3repE0EEENS1_30default_config_static_selectorELNS0_4arch9wavefront6targetE0EEEvSM_
	.p2align	8
	.type	_ZN7rocprim17ROCPRIM_400000_NS6detail17trampoline_kernelINS0_14default_configENS1_22reduce_config_selectorIlEEZNS1_11reduce_implILb1ES3_PlS7_lN6hipcub16HIPCUB_304000_NS6detail34convert_binary_result_type_wrapperINS9_3SumENS9_22TransformInputIteratorIb7NonZeroIfEPflEElEEEE10hipError_tPvRmT1_T2_T3_mT4_P12ihipStream_tbEUlT_E0_NS1_11comp_targetILNS1_3genE8ELNS1_11target_archE1030ELNS1_3gpuE2ELNS1_3repE0EEENS1_30default_config_static_selectorELNS0_4arch9wavefront6targetE0EEEvSM_,@function
_ZN7rocprim17ROCPRIM_400000_NS6detail17trampoline_kernelINS0_14default_configENS1_22reduce_config_selectorIlEEZNS1_11reduce_implILb1ES3_PlS7_lN6hipcub16HIPCUB_304000_NS6detail34convert_binary_result_type_wrapperINS9_3SumENS9_22TransformInputIteratorIb7NonZeroIfEPflEElEEEE10hipError_tPvRmT1_T2_T3_mT4_P12ihipStream_tbEUlT_E0_NS1_11comp_targetILNS1_3genE8ELNS1_11target_archE1030ELNS1_3gpuE2ELNS1_3repE0EEENS1_30default_config_static_selectorELNS0_4arch9wavefront6targetE0EEEvSM_: ; @_ZN7rocprim17ROCPRIM_400000_NS6detail17trampoline_kernelINS0_14default_configENS1_22reduce_config_selectorIlEEZNS1_11reduce_implILb1ES3_PlS7_lN6hipcub16HIPCUB_304000_NS6detail34convert_binary_result_type_wrapperINS9_3SumENS9_22TransformInputIteratorIb7NonZeroIfEPflEElEEEE10hipError_tPvRmT1_T2_T3_mT4_P12ihipStream_tbEUlT_E0_NS1_11comp_targetILNS1_3genE8ELNS1_11target_archE1030ELNS1_3gpuE2ELNS1_3repE0EEENS1_30default_config_static_selectorELNS0_4arch9wavefront6targetE0EEEvSM_
; %bb.0:
	.section	.rodata,"a",@progbits
	.p2align	6, 0x0
	.amdhsa_kernel _ZN7rocprim17ROCPRIM_400000_NS6detail17trampoline_kernelINS0_14default_configENS1_22reduce_config_selectorIlEEZNS1_11reduce_implILb1ES3_PlS7_lN6hipcub16HIPCUB_304000_NS6detail34convert_binary_result_type_wrapperINS9_3SumENS9_22TransformInputIteratorIb7NonZeroIfEPflEElEEEE10hipError_tPvRmT1_T2_T3_mT4_P12ihipStream_tbEUlT_E0_NS1_11comp_targetILNS1_3genE8ELNS1_11target_archE1030ELNS1_3gpuE2ELNS1_3repE0EEENS1_30default_config_static_selectorELNS0_4arch9wavefront6targetE0EEEvSM_
		.amdhsa_group_segment_fixed_size 0
		.amdhsa_private_segment_fixed_size 0
		.amdhsa_kernarg_size 64
		.amdhsa_user_sgpr_count 15
		.amdhsa_user_sgpr_dispatch_ptr 0
		.amdhsa_user_sgpr_queue_ptr 0
		.amdhsa_user_sgpr_kernarg_segment_ptr 1
		.amdhsa_user_sgpr_dispatch_id 0
		.amdhsa_user_sgpr_private_segment_size 0
		.amdhsa_wavefront_size32 1
		.amdhsa_uses_dynamic_stack 0
		.amdhsa_enable_private_segment 0
		.amdhsa_system_sgpr_workgroup_id_x 1
		.amdhsa_system_sgpr_workgroup_id_y 0
		.amdhsa_system_sgpr_workgroup_id_z 0
		.amdhsa_system_sgpr_workgroup_info 0
		.amdhsa_system_vgpr_workitem_id 0
		.amdhsa_next_free_vgpr 1
		.amdhsa_next_free_sgpr 1
		.amdhsa_reserve_vcc 0
		.amdhsa_float_round_mode_32 0
		.amdhsa_float_round_mode_16_64 0
		.amdhsa_float_denorm_mode_32 3
		.amdhsa_float_denorm_mode_16_64 3
		.amdhsa_dx10_clamp 1
		.amdhsa_ieee_mode 1
		.amdhsa_fp16_overflow 0
		.amdhsa_workgroup_processor_mode 1
		.amdhsa_memory_ordered 1
		.amdhsa_forward_progress 0
		.amdhsa_shared_vgpr_count 0
		.amdhsa_exception_fp_ieee_invalid_op 0
		.amdhsa_exception_fp_denorm_src 0
		.amdhsa_exception_fp_ieee_div_zero 0
		.amdhsa_exception_fp_ieee_overflow 0
		.amdhsa_exception_fp_ieee_underflow 0
		.amdhsa_exception_fp_ieee_inexact 0
		.amdhsa_exception_int_div_zero 0
	.end_amdhsa_kernel
	.section	.text._ZN7rocprim17ROCPRIM_400000_NS6detail17trampoline_kernelINS0_14default_configENS1_22reduce_config_selectorIlEEZNS1_11reduce_implILb1ES3_PlS7_lN6hipcub16HIPCUB_304000_NS6detail34convert_binary_result_type_wrapperINS9_3SumENS9_22TransformInputIteratorIb7NonZeroIfEPflEElEEEE10hipError_tPvRmT1_T2_T3_mT4_P12ihipStream_tbEUlT_E0_NS1_11comp_targetILNS1_3genE8ELNS1_11target_archE1030ELNS1_3gpuE2ELNS1_3repE0EEENS1_30default_config_static_selectorELNS0_4arch9wavefront6targetE0EEEvSM_,"axG",@progbits,_ZN7rocprim17ROCPRIM_400000_NS6detail17trampoline_kernelINS0_14default_configENS1_22reduce_config_selectorIlEEZNS1_11reduce_implILb1ES3_PlS7_lN6hipcub16HIPCUB_304000_NS6detail34convert_binary_result_type_wrapperINS9_3SumENS9_22TransformInputIteratorIb7NonZeroIfEPflEElEEEE10hipError_tPvRmT1_T2_T3_mT4_P12ihipStream_tbEUlT_E0_NS1_11comp_targetILNS1_3genE8ELNS1_11target_archE1030ELNS1_3gpuE2ELNS1_3repE0EEENS1_30default_config_static_selectorELNS0_4arch9wavefront6targetE0EEEvSM_,comdat
.Lfunc_end225:
	.size	_ZN7rocprim17ROCPRIM_400000_NS6detail17trampoline_kernelINS0_14default_configENS1_22reduce_config_selectorIlEEZNS1_11reduce_implILb1ES3_PlS7_lN6hipcub16HIPCUB_304000_NS6detail34convert_binary_result_type_wrapperINS9_3SumENS9_22TransformInputIteratorIb7NonZeroIfEPflEElEEEE10hipError_tPvRmT1_T2_T3_mT4_P12ihipStream_tbEUlT_E0_NS1_11comp_targetILNS1_3genE8ELNS1_11target_archE1030ELNS1_3gpuE2ELNS1_3repE0EEENS1_30default_config_static_selectorELNS0_4arch9wavefront6targetE0EEEvSM_, .Lfunc_end225-_ZN7rocprim17ROCPRIM_400000_NS6detail17trampoline_kernelINS0_14default_configENS1_22reduce_config_selectorIlEEZNS1_11reduce_implILb1ES3_PlS7_lN6hipcub16HIPCUB_304000_NS6detail34convert_binary_result_type_wrapperINS9_3SumENS9_22TransformInputIteratorIb7NonZeroIfEPflEElEEEE10hipError_tPvRmT1_T2_T3_mT4_P12ihipStream_tbEUlT_E0_NS1_11comp_targetILNS1_3genE8ELNS1_11target_archE1030ELNS1_3gpuE2ELNS1_3repE0EEENS1_30default_config_static_selectorELNS0_4arch9wavefront6targetE0EEEvSM_
                                        ; -- End function
	.section	.AMDGPU.csdata,"",@progbits
; Kernel info:
; codeLenInByte = 0
; NumSgprs: 0
; NumVgprs: 0
; ScratchSize: 0
; MemoryBound: 0
; FloatMode: 240
; IeeeMode: 1
; LDSByteSize: 0 bytes/workgroup (compile time only)
; SGPRBlocks: 0
; VGPRBlocks: 0
; NumSGPRsForWavesPerEU: 1
; NumVGPRsForWavesPerEU: 1
; Occupancy: 16
; WaveLimiterHint : 0
; COMPUTE_PGM_RSRC2:SCRATCH_EN: 0
; COMPUTE_PGM_RSRC2:USER_SGPR: 15
; COMPUTE_PGM_RSRC2:TRAP_HANDLER: 0
; COMPUTE_PGM_RSRC2:TGID_X_EN: 1
; COMPUTE_PGM_RSRC2:TGID_Y_EN: 0
; COMPUTE_PGM_RSRC2:TGID_Z_EN: 0
; COMPUTE_PGM_RSRC2:TIDIG_COMP_CNT: 0
	.section	.text._ZN7rocprim17ROCPRIM_400000_NS6detail17trampoline_kernelINS0_14default_configENS1_22reduce_config_selectorIlEEZNS1_11reduce_implILb1ES3_PlS7_lN6hipcub16HIPCUB_304000_NS6detail34convert_binary_result_type_wrapperINS9_3SumENS9_22TransformInputIteratorIb7NonZeroIfEPflEElEEEE10hipError_tPvRmT1_T2_T3_mT4_P12ihipStream_tbEUlT_E1_NS1_11comp_targetILNS1_3genE0ELNS1_11target_archE4294967295ELNS1_3gpuE0ELNS1_3repE0EEENS1_30default_config_static_selectorELNS0_4arch9wavefront6targetE0EEEvSM_,"axG",@progbits,_ZN7rocprim17ROCPRIM_400000_NS6detail17trampoline_kernelINS0_14default_configENS1_22reduce_config_selectorIlEEZNS1_11reduce_implILb1ES3_PlS7_lN6hipcub16HIPCUB_304000_NS6detail34convert_binary_result_type_wrapperINS9_3SumENS9_22TransformInputIteratorIb7NonZeroIfEPflEElEEEE10hipError_tPvRmT1_T2_T3_mT4_P12ihipStream_tbEUlT_E1_NS1_11comp_targetILNS1_3genE0ELNS1_11target_archE4294967295ELNS1_3gpuE0ELNS1_3repE0EEENS1_30default_config_static_selectorELNS0_4arch9wavefront6targetE0EEEvSM_,comdat
	.protected	_ZN7rocprim17ROCPRIM_400000_NS6detail17trampoline_kernelINS0_14default_configENS1_22reduce_config_selectorIlEEZNS1_11reduce_implILb1ES3_PlS7_lN6hipcub16HIPCUB_304000_NS6detail34convert_binary_result_type_wrapperINS9_3SumENS9_22TransformInputIteratorIb7NonZeroIfEPflEElEEEE10hipError_tPvRmT1_T2_T3_mT4_P12ihipStream_tbEUlT_E1_NS1_11comp_targetILNS1_3genE0ELNS1_11target_archE4294967295ELNS1_3gpuE0ELNS1_3repE0EEENS1_30default_config_static_selectorELNS0_4arch9wavefront6targetE0EEEvSM_ ; -- Begin function _ZN7rocprim17ROCPRIM_400000_NS6detail17trampoline_kernelINS0_14default_configENS1_22reduce_config_selectorIlEEZNS1_11reduce_implILb1ES3_PlS7_lN6hipcub16HIPCUB_304000_NS6detail34convert_binary_result_type_wrapperINS9_3SumENS9_22TransformInputIteratorIb7NonZeroIfEPflEElEEEE10hipError_tPvRmT1_T2_T3_mT4_P12ihipStream_tbEUlT_E1_NS1_11comp_targetILNS1_3genE0ELNS1_11target_archE4294967295ELNS1_3gpuE0ELNS1_3repE0EEENS1_30default_config_static_selectorELNS0_4arch9wavefront6targetE0EEEvSM_
	.globl	_ZN7rocprim17ROCPRIM_400000_NS6detail17trampoline_kernelINS0_14default_configENS1_22reduce_config_selectorIlEEZNS1_11reduce_implILb1ES3_PlS7_lN6hipcub16HIPCUB_304000_NS6detail34convert_binary_result_type_wrapperINS9_3SumENS9_22TransformInputIteratorIb7NonZeroIfEPflEElEEEE10hipError_tPvRmT1_T2_T3_mT4_P12ihipStream_tbEUlT_E1_NS1_11comp_targetILNS1_3genE0ELNS1_11target_archE4294967295ELNS1_3gpuE0ELNS1_3repE0EEENS1_30default_config_static_selectorELNS0_4arch9wavefront6targetE0EEEvSM_
	.p2align	8
	.type	_ZN7rocprim17ROCPRIM_400000_NS6detail17trampoline_kernelINS0_14default_configENS1_22reduce_config_selectorIlEEZNS1_11reduce_implILb1ES3_PlS7_lN6hipcub16HIPCUB_304000_NS6detail34convert_binary_result_type_wrapperINS9_3SumENS9_22TransformInputIteratorIb7NonZeroIfEPflEElEEEE10hipError_tPvRmT1_T2_T3_mT4_P12ihipStream_tbEUlT_E1_NS1_11comp_targetILNS1_3genE0ELNS1_11target_archE4294967295ELNS1_3gpuE0ELNS1_3repE0EEENS1_30default_config_static_selectorELNS0_4arch9wavefront6targetE0EEEvSM_,@function
_ZN7rocprim17ROCPRIM_400000_NS6detail17trampoline_kernelINS0_14default_configENS1_22reduce_config_selectorIlEEZNS1_11reduce_implILb1ES3_PlS7_lN6hipcub16HIPCUB_304000_NS6detail34convert_binary_result_type_wrapperINS9_3SumENS9_22TransformInputIteratorIb7NonZeroIfEPflEElEEEE10hipError_tPvRmT1_T2_T3_mT4_P12ihipStream_tbEUlT_E1_NS1_11comp_targetILNS1_3genE0ELNS1_11target_archE4294967295ELNS1_3gpuE0ELNS1_3repE0EEENS1_30default_config_static_selectorELNS0_4arch9wavefront6targetE0EEEvSM_: ; @_ZN7rocprim17ROCPRIM_400000_NS6detail17trampoline_kernelINS0_14default_configENS1_22reduce_config_selectorIlEEZNS1_11reduce_implILb1ES3_PlS7_lN6hipcub16HIPCUB_304000_NS6detail34convert_binary_result_type_wrapperINS9_3SumENS9_22TransformInputIteratorIb7NonZeroIfEPflEElEEEE10hipError_tPvRmT1_T2_T3_mT4_P12ihipStream_tbEUlT_E1_NS1_11comp_targetILNS1_3genE0ELNS1_11target_archE4294967295ELNS1_3gpuE0ELNS1_3repE0EEENS1_30default_config_static_selectorELNS0_4arch9wavefront6targetE0EEEvSM_
; %bb.0:
	.section	.rodata,"a",@progbits
	.p2align	6, 0x0
	.amdhsa_kernel _ZN7rocprim17ROCPRIM_400000_NS6detail17trampoline_kernelINS0_14default_configENS1_22reduce_config_selectorIlEEZNS1_11reduce_implILb1ES3_PlS7_lN6hipcub16HIPCUB_304000_NS6detail34convert_binary_result_type_wrapperINS9_3SumENS9_22TransformInputIteratorIb7NonZeroIfEPflEElEEEE10hipError_tPvRmT1_T2_T3_mT4_P12ihipStream_tbEUlT_E1_NS1_11comp_targetILNS1_3genE0ELNS1_11target_archE4294967295ELNS1_3gpuE0ELNS1_3repE0EEENS1_30default_config_static_selectorELNS0_4arch9wavefront6targetE0EEEvSM_
		.amdhsa_group_segment_fixed_size 0
		.amdhsa_private_segment_fixed_size 0
		.amdhsa_kernarg_size 48
		.amdhsa_user_sgpr_count 15
		.amdhsa_user_sgpr_dispatch_ptr 0
		.amdhsa_user_sgpr_queue_ptr 0
		.amdhsa_user_sgpr_kernarg_segment_ptr 1
		.amdhsa_user_sgpr_dispatch_id 0
		.amdhsa_user_sgpr_private_segment_size 0
		.amdhsa_wavefront_size32 1
		.amdhsa_uses_dynamic_stack 0
		.amdhsa_enable_private_segment 0
		.amdhsa_system_sgpr_workgroup_id_x 1
		.amdhsa_system_sgpr_workgroup_id_y 0
		.amdhsa_system_sgpr_workgroup_id_z 0
		.amdhsa_system_sgpr_workgroup_info 0
		.amdhsa_system_vgpr_workitem_id 0
		.amdhsa_next_free_vgpr 1
		.amdhsa_next_free_sgpr 1
		.amdhsa_reserve_vcc 0
		.amdhsa_float_round_mode_32 0
		.amdhsa_float_round_mode_16_64 0
		.amdhsa_float_denorm_mode_32 3
		.amdhsa_float_denorm_mode_16_64 3
		.amdhsa_dx10_clamp 1
		.amdhsa_ieee_mode 1
		.amdhsa_fp16_overflow 0
		.amdhsa_workgroup_processor_mode 1
		.amdhsa_memory_ordered 1
		.amdhsa_forward_progress 0
		.amdhsa_shared_vgpr_count 0
		.amdhsa_exception_fp_ieee_invalid_op 0
		.amdhsa_exception_fp_denorm_src 0
		.amdhsa_exception_fp_ieee_div_zero 0
		.amdhsa_exception_fp_ieee_overflow 0
		.amdhsa_exception_fp_ieee_underflow 0
		.amdhsa_exception_fp_ieee_inexact 0
		.amdhsa_exception_int_div_zero 0
	.end_amdhsa_kernel
	.section	.text._ZN7rocprim17ROCPRIM_400000_NS6detail17trampoline_kernelINS0_14default_configENS1_22reduce_config_selectorIlEEZNS1_11reduce_implILb1ES3_PlS7_lN6hipcub16HIPCUB_304000_NS6detail34convert_binary_result_type_wrapperINS9_3SumENS9_22TransformInputIteratorIb7NonZeroIfEPflEElEEEE10hipError_tPvRmT1_T2_T3_mT4_P12ihipStream_tbEUlT_E1_NS1_11comp_targetILNS1_3genE0ELNS1_11target_archE4294967295ELNS1_3gpuE0ELNS1_3repE0EEENS1_30default_config_static_selectorELNS0_4arch9wavefront6targetE0EEEvSM_,"axG",@progbits,_ZN7rocprim17ROCPRIM_400000_NS6detail17trampoline_kernelINS0_14default_configENS1_22reduce_config_selectorIlEEZNS1_11reduce_implILb1ES3_PlS7_lN6hipcub16HIPCUB_304000_NS6detail34convert_binary_result_type_wrapperINS9_3SumENS9_22TransformInputIteratorIb7NonZeroIfEPflEElEEEE10hipError_tPvRmT1_T2_T3_mT4_P12ihipStream_tbEUlT_E1_NS1_11comp_targetILNS1_3genE0ELNS1_11target_archE4294967295ELNS1_3gpuE0ELNS1_3repE0EEENS1_30default_config_static_selectorELNS0_4arch9wavefront6targetE0EEEvSM_,comdat
.Lfunc_end226:
	.size	_ZN7rocprim17ROCPRIM_400000_NS6detail17trampoline_kernelINS0_14default_configENS1_22reduce_config_selectorIlEEZNS1_11reduce_implILb1ES3_PlS7_lN6hipcub16HIPCUB_304000_NS6detail34convert_binary_result_type_wrapperINS9_3SumENS9_22TransformInputIteratorIb7NonZeroIfEPflEElEEEE10hipError_tPvRmT1_T2_T3_mT4_P12ihipStream_tbEUlT_E1_NS1_11comp_targetILNS1_3genE0ELNS1_11target_archE4294967295ELNS1_3gpuE0ELNS1_3repE0EEENS1_30default_config_static_selectorELNS0_4arch9wavefront6targetE0EEEvSM_, .Lfunc_end226-_ZN7rocprim17ROCPRIM_400000_NS6detail17trampoline_kernelINS0_14default_configENS1_22reduce_config_selectorIlEEZNS1_11reduce_implILb1ES3_PlS7_lN6hipcub16HIPCUB_304000_NS6detail34convert_binary_result_type_wrapperINS9_3SumENS9_22TransformInputIteratorIb7NonZeroIfEPflEElEEEE10hipError_tPvRmT1_T2_T3_mT4_P12ihipStream_tbEUlT_E1_NS1_11comp_targetILNS1_3genE0ELNS1_11target_archE4294967295ELNS1_3gpuE0ELNS1_3repE0EEENS1_30default_config_static_selectorELNS0_4arch9wavefront6targetE0EEEvSM_
                                        ; -- End function
	.section	.AMDGPU.csdata,"",@progbits
; Kernel info:
; codeLenInByte = 0
; NumSgprs: 0
; NumVgprs: 0
; ScratchSize: 0
; MemoryBound: 0
; FloatMode: 240
; IeeeMode: 1
; LDSByteSize: 0 bytes/workgroup (compile time only)
; SGPRBlocks: 0
; VGPRBlocks: 0
; NumSGPRsForWavesPerEU: 1
; NumVGPRsForWavesPerEU: 1
; Occupancy: 16
; WaveLimiterHint : 0
; COMPUTE_PGM_RSRC2:SCRATCH_EN: 0
; COMPUTE_PGM_RSRC2:USER_SGPR: 15
; COMPUTE_PGM_RSRC2:TRAP_HANDLER: 0
; COMPUTE_PGM_RSRC2:TGID_X_EN: 1
; COMPUTE_PGM_RSRC2:TGID_Y_EN: 0
; COMPUTE_PGM_RSRC2:TGID_Z_EN: 0
; COMPUTE_PGM_RSRC2:TIDIG_COMP_CNT: 0
	.section	.text._ZN7rocprim17ROCPRIM_400000_NS6detail17trampoline_kernelINS0_14default_configENS1_22reduce_config_selectorIlEEZNS1_11reduce_implILb1ES3_PlS7_lN6hipcub16HIPCUB_304000_NS6detail34convert_binary_result_type_wrapperINS9_3SumENS9_22TransformInputIteratorIb7NonZeroIfEPflEElEEEE10hipError_tPvRmT1_T2_T3_mT4_P12ihipStream_tbEUlT_E1_NS1_11comp_targetILNS1_3genE5ELNS1_11target_archE942ELNS1_3gpuE9ELNS1_3repE0EEENS1_30default_config_static_selectorELNS0_4arch9wavefront6targetE0EEEvSM_,"axG",@progbits,_ZN7rocprim17ROCPRIM_400000_NS6detail17trampoline_kernelINS0_14default_configENS1_22reduce_config_selectorIlEEZNS1_11reduce_implILb1ES3_PlS7_lN6hipcub16HIPCUB_304000_NS6detail34convert_binary_result_type_wrapperINS9_3SumENS9_22TransformInputIteratorIb7NonZeroIfEPflEElEEEE10hipError_tPvRmT1_T2_T3_mT4_P12ihipStream_tbEUlT_E1_NS1_11comp_targetILNS1_3genE5ELNS1_11target_archE942ELNS1_3gpuE9ELNS1_3repE0EEENS1_30default_config_static_selectorELNS0_4arch9wavefront6targetE0EEEvSM_,comdat
	.protected	_ZN7rocprim17ROCPRIM_400000_NS6detail17trampoline_kernelINS0_14default_configENS1_22reduce_config_selectorIlEEZNS1_11reduce_implILb1ES3_PlS7_lN6hipcub16HIPCUB_304000_NS6detail34convert_binary_result_type_wrapperINS9_3SumENS9_22TransformInputIteratorIb7NonZeroIfEPflEElEEEE10hipError_tPvRmT1_T2_T3_mT4_P12ihipStream_tbEUlT_E1_NS1_11comp_targetILNS1_3genE5ELNS1_11target_archE942ELNS1_3gpuE9ELNS1_3repE0EEENS1_30default_config_static_selectorELNS0_4arch9wavefront6targetE0EEEvSM_ ; -- Begin function _ZN7rocprim17ROCPRIM_400000_NS6detail17trampoline_kernelINS0_14default_configENS1_22reduce_config_selectorIlEEZNS1_11reduce_implILb1ES3_PlS7_lN6hipcub16HIPCUB_304000_NS6detail34convert_binary_result_type_wrapperINS9_3SumENS9_22TransformInputIteratorIb7NonZeroIfEPflEElEEEE10hipError_tPvRmT1_T2_T3_mT4_P12ihipStream_tbEUlT_E1_NS1_11comp_targetILNS1_3genE5ELNS1_11target_archE942ELNS1_3gpuE9ELNS1_3repE0EEENS1_30default_config_static_selectorELNS0_4arch9wavefront6targetE0EEEvSM_
	.globl	_ZN7rocprim17ROCPRIM_400000_NS6detail17trampoline_kernelINS0_14default_configENS1_22reduce_config_selectorIlEEZNS1_11reduce_implILb1ES3_PlS7_lN6hipcub16HIPCUB_304000_NS6detail34convert_binary_result_type_wrapperINS9_3SumENS9_22TransformInputIteratorIb7NonZeroIfEPflEElEEEE10hipError_tPvRmT1_T2_T3_mT4_P12ihipStream_tbEUlT_E1_NS1_11comp_targetILNS1_3genE5ELNS1_11target_archE942ELNS1_3gpuE9ELNS1_3repE0EEENS1_30default_config_static_selectorELNS0_4arch9wavefront6targetE0EEEvSM_
	.p2align	8
	.type	_ZN7rocprim17ROCPRIM_400000_NS6detail17trampoline_kernelINS0_14default_configENS1_22reduce_config_selectorIlEEZNS1_11reduce_implILb1ES3_PlS7_lN6hipcub16HIPCUB_304000_NS6detail34convert_binary_result_type_wrapperINS9_3SumENS9_22TransformInputIteratorIb7NonZeroIfEPflEElEEEE10hipError_tPvRmT1_T2_T3_mT4_P12ihipStream_tbEUlT_E1_NS1_11comp_targetILNS1_3genE5ELNS1_11target_archE942ELNS1_3gpuE9ELNS1_3repE0EEENS1_30default_config_static_selectorELNS0_4arch9wavefront6targetE0EEEvSM_,@function
_ZN7rocprim17ROCPRIM_400000_NS6detail17trampoline_kernelINS0_14default_configENS1_22reduce_config_selectorIlEEZNS1_11reduce_implILb1ES3_PlS7_lN6hipcub16HIPCUB_304000_NS6detail34convert_binary_result_type_wrapperINS9_3SumENS9_22TransformInputIteratorIb7NonZeroIfEPflEElEEEE10hipError_tPvRmT1_T2_T3_mT4_P12ihipStream_tbEUlT_E1_NS1_11comp_targetILNS1_3genE5ELNS1_11target_archE942ELNS1_3gpuE9ELNS1_3repE0EEENS1_30default_config_static_selectorELNS0_4arch9wavefront6targetE0EEEvSM_: ; @_ZN7rocprim17ROCPRIM_400000_NS6detail17trampoline_kernelINS0_14default_configENS1_22reduce_config_selectorIlEEZNS1_11reduce_implILb1ES3_PlS7_lN6hipcub16HIPCUB_304000_NS6detail34convert_binary_result_type_wrapperINS9_3SumENS9_22TransformInputIteratorIb7NonZeroIfEPflEElEEEE10hipError_tPvRmT1_T2_T3_mT4_P12ihipStream_tbEUlT_E1_NS1_11comp_targetILNS1_3genE5ELNS1_11target_archE942ELNS1_3gpuE9ELNS1_3repE0EEENS1_30default_config_static_selectorELNS0_4arch9wavefront6targetE0EEEvSM_
; %bb.0:
	.section	.rodata,"a",@progbits
	.p2align	6, 0x0
	.amdhsa_kernel _ZN7rocprim17ROCPRIM_400000_NS6detail17trampoline_kernelINS0_14default_configENS1_22reduce_config_selectorIlEEZNS1_11reduce_implILb1ES3_PlS7_lN6hipcub16HIPCUB_304000_NS6detail34convert_binary_result_type_wrapperINS9_3SumENS9_22TransformInputIteratorIb7NonZeroIfEPflEElEEEE10hipError_tPvRmT1_T2_T3_mT4_P12ihipStream_tbEUlT_E1_NS1_11comp_targetILNS1_3genE5ELNS1_11target_archE942ELNS1_3gpuE9ELNS1_3repE0EEENS1_30default_config_static_selectorELNS0_4arch9wavefront6targetE0EEEvSM_
		.amdhsa_group_segment_fixed_size 0
		.amdhsa_private_segment_fixed_size 0
		.amdhsa_kernarg_size 48
		.amdhsa_user_sgpr_count 15
		.amdhsa_user_sgpr_dispatch_ptr 0
		.amdhsa_user_sgpr_queue_ptr 0
		.amdhsa_user_sgpr_kernarg_segment_ptr 1
		.amdhsa_user_sgpr_dispatch_id 0
		.amdhsa_user_sgpr_private_segment_size 0
		.amdhsa_wavefront_size32 1
		.amdhsa_uses_dynamic_stack 0
		.amdhsa_enable_private_segment 0
		.amdhsa_system_sgpr_workgroup_id_x 1
		.amdhsa_system_sgpr_workgroup_id_y 0
		.amdhsa_system_sgpr_workgroup_id_z 0
		.amdhsa_system_sgpr_workgroup_info 0
		.amdhsa_system_vgpr_workitem_id 0
		.amdhsa_next_free_vgpr 1
		.amdhsa_next_free_sgpr 1
		.amdhsa_reserve_vcc 0
		.amdhsa_float_round_mode_32 0
		.amdhsa_float_round_mode_16_64 0
		.amdhsa_float_denorm_mode_32 3
		.amdhsa_float_denorm_mode_16_64 3
		.amdhsa_dx10_clamp 1
		.amdhsa_ieee_mode 1
		.amdhsa_fp16_overflow 0
		.amdhsa_workgroup_processor_mode 1
		.amdhsa_memory_ordered 1
		.amdhsa_forward_progress 0
		.amdhsa_shared_vgpr_count 0
		.amdhsa_exception_fp_ieee_invalid_op 0
		.amdhsa_exception_fp_denorm_src 0
		.amdhsa_exception_fp_ieee_div_zero 0
		.amdhsa_exception_fp_ieee_overflow 0
		.amdhsa_exception_fp_ieee_underflow 0
		.amdhsa_exception_fp_ieee_inexact 0
		.amdhsa_exception_int_div_zero 0
	.end_amdhsa_kernel
	.section	.text._ZN7rocprim17ROCPRIM_400000_NS6detail17trampoline_kernelINS0_14default_configENS1_22reduce_config_selectorIlEEZNS1_11reduce_implILb1ES3_PlS7_lN6hipcub16HIPCUB_304000_NS6detail34convert_binary_result_type_wrapperINS9_3SumENS9_22TransformInputIteratorIb7NonZeroIfEPflEElEEEE10hipError_tPvRmT1_T2_T3_mT4_P12ihipStream_tbEUlT_E1_NS1_11comp_targetILNS1_3genE5ELNS1_11target_archE942ELNS1_3gpuE9ELNS1_3repE0EEENS1_30default_config_static_selectorELNS0_4arch9wavefront6targetE0EEEvSM_,"axG",@progbits,_ZN7rocprim17ROCPRIM_400000_NS6detail17trampoline_kernelINS0_14default_configENS1_22reduce_config_selectorIlEEZNS1_11reduce_implILb1ES3_PlS7_lN6hipcub16HIPCUB_304000_NS6detail34convert_binary_result_type_wrapperINS9_3SumENS9_22TransformInputIteratorIb7NonZeroIfEPflEElEEEE10hipError_tPvRmT1_T2_T3_mT4_P12ihipStream_tbEUlT_E1_NS1_11comp_targetILNS1_3genE5ELNS1_11target_archE942ELNS1_3gpuE9ELNS1_3repE0EEENS1_30default_config_static_selectorELNS0_4arch9wavefront6targetE0EEEvSM_,comdat
.Lfunc_end227:
	.size	_ZN7rocprim17ROCPRIM_400000_NS6detail17trampoline_kernelINS0_14default_configENS1_22reduce_config_selectorIlEEZNS1_11reduce_implILb1ES3_PlS7_lN6hipcub16HIPCUB_304000_NS6detail34convert_binary_result_type_wrapperINS9_3SumENS9_22TransformInputIteratorIb7NonZeroIfEPflEElEEEE10hipError_tPvRmT1_T2_T3_mT4_P12ihipStream_tbEUlT_E1_NS1_11comp_targetILNS1_3genE5ELNS1_11target_archE942ELNS1_3gpuE9ELNS1_3repE0EEENS1_30default_config_static_selectorELNS0_4arch9wavefront6targetE0EEEvSM_, .Lfunc_end227-_ZN7rocprim17ROCPRIM_400000_NS6detail17trampoline_kernelINS0_14default_configENS1_22reduce_config_selectorIlEEZNS1_11reduce_implILb1ES3_PlS7_lN6hipcub16HIPCUB_304000_NS6detail34convert_binary_result_type_wrapperINS9_3SumENS9_22TransformInputIteratorIb7NonZeroIfEPflEElEEEE10hipError_tPvRmT1_T2_T3_mT4_P12ihipStream_tbEUlT_E1_NS1_11comp_targetILNS1_3genE5ELNS1_11target_archE942ELNS1_3gpuE9ELNS1_3repE0EEENS1_30default_config_static_selectorELNS0_4arch9wavefront6targetE0EEEvSM_
                                        ; -- End function
	.section	.AMDGPU.csdata,"",@progbits
; Kernel info:
; codeLenInByte = 0
; NumSgprs: 0
; NumVgprs: 0
; ScratchSize: 0
; MemoryBound: 0
; FloatMode: 240
; IeeeMode: 1
; LDSByteSize: 0 bytes/workgroup (compile time only)
; SGPRBlocks: 0
; VGPRBlocks: 0
; NumSGPRsForWavesPerEU: 1
; NumVGPRsForWavesPerEU: 1
; Occupancy: 16
; WaveLimiterHint : 0
; COMPUTE_PGM_RSRC2:SCRATCH_EN: 0
; COMPUTE_PGM_RSRC2:USER_SGPR: 15
; COMPUTE_PGM_RSRC2:TRAP_HANDLER: 0
; COMPUTE_PGM_RSRC2:TGID_X_EN: 1
; COMPUTE_PGM_RSRC2:TGID_Y_EN: 0
; COMPUTE_PGM_RSRC2:TGID_Z_EN: 0
; COMPUTE_PGM_RSRC2:TIDIG_COMP_CNT: 0
	.section	.text._ZN7rocprim17ROCPRIM_400000_NS6detail17trampoline_kernelINS0_14default_configENS1_22reduce_config_selectorIlEEZNS1_11reduce_implILb1ES3_PlS7_lN6hipcub16HIPCUB_304000_NS6detail34convert_binary_result_type_wrapperINS9_3SumENS9_22TransformInputIteratorIb7NonZeroIfEPflEElEEEE10hipError_tPvRmT1_T2_T3_mT4_P12ihipStream_tbEUlT_E1_NS1_11comp_targetILNS1_3genE4ELNS1_11target_archE910ELNS1_3gpuE8ELNS1_3repE0EEENS1_30default_config_static_selectorELNS0_4arch9wavefront6targetE0EEEvSM_,"axG",@progbits,_ZN7rocprim17ROCPRIM_400000_NS6detail17trampoline_kernelINS0_14default_configENS1_22reduce_config_selectorIlEEZNS1_11reduce_implILb1ES3_PlS7_lN6hipcub16HIPCUB_304000_NS6detail34convert_binary_result_type_wrapperINS9_3SumENS9_22TransformInputIteratorIb7NonZeroIfEPflEElEEEE10hipError_tPvRmT1_T2_T3_mT4_P12ihipStream_tbEUlT_E1_NS1_11comp_targetILNS1_3genE4ELNS1_11target_archE910ELNS1_3gpuE8ELNS1_3repE0EEENS1_30default_config_static_selectorELNS0_4arch9wavefront6targetE0EEEvSM_,comdat
	.protected	_ZN7rocprim17ROCPRIM_400000_NS6detail17trampoline_kernelINS0_14default_configENS1_22reduce_config_selectorIlEEZNS1_11reduce_implILb1ES3_PlS7_lN6hipcub16HIPCUB_304000_NS6detail34convert_binary_result_type_wrapperINS9_3SumENS9_22TransformInputIteratorIb7NonZeroIfEPflEElEEEE10hipError_tPvRmT1_T2_T3_mT4_P12ihipStream_tbEUlT_E1_NS1_11comp_targetILNS1_3genE4ELNS1_11target_archE910ELNS1_3gpuE8ELNS1_3repE0EEENS1_30default_config_static_selectorELNS0_4arch9wavefront6targetE0EEEvSM_ ; -- Begin function _ZN7rocprim17ROCPRIM_400000_NS6detail17trampoline_kernelINS0_14default_configENS1_22reduce_config_selectorIlEEZNS1_11reduce_implILb1ES3_PlS7_lN6hipcub16HIPCUB_304000_NS6detail34convert_binary_result_type_wrapperINS9_3SumENS9_22TransformInputIteratorIb7NonZeroIfEPflEElEEEE10hipError_tPvRmT1_T2_T3_mT4_P12ihipStream_tbEUlT_E1_NS1_11comp_targetILNS1_3genE4ELNS1_11target_archE910ELNS1_3gpuE8ELNS1_3repE0EEENS1_30default_config_static_selectorELNS0_4arch9wavefront6targetE0EEEvSM_
	.globl	_ZN7rocprim17ROCPRIM_400000_NS6detail17trampoline_kernelINS0_14default_configENS1_22reduce_config_selectorIlEEZNS1_11reduce_implILb1ES3_PlS7_lN6hipcub16HIPCUB_304000_NS6detail34convert_binary_result_type_wrapperINS9_3SumENS9_22TransformInputIteratorIb7NonZeroIfEPflEElEEEE10hipError_tPvRmT1_T2_T3_mT4_P12ihipStream_tbEUlT_E1_NS1_11comp_targetILNS1_3genE4ELNS1_11target_archE910ELNS1_3gpuE8ELNS1_3repE0EEENS1_30default_config_static_selectorELNS0_4arch9wavefront6targetE0EEEvSM_
	.p2align	8
	.type	_ZN7rocprim17ROCPRIM_400000_NS6detail17trampoline_kernelINS0_14default_configENS1_22reduce_config_selectorIlEEZNS1_11reduce_implILb1ES3_PlS7_lN6hipcub16HIPCUB_304000_NS6detail34convert_binary_result_type_wrapperINS9_3SumENS9_22TransformInputIteratorIb7NonZeroIfEPflEElEEEE10hipError_tPvRmT1_T2_T3_mT4_P12ihipStream_tbEUlT_E1_NS1_11comp_targetILNS1_3genE4ELNS1_11target_archE910ELNS1_3gpuE8ELNS1_3repE0EEENS1_30default_config_static_selectorELNS0_4arch9wavefront6targetE0EEEvSM_,@function
_ZN7rocprim17ROCPRIM_400000_NS6detail17trampoline_kernelINS0_14default_configENS1_22reduce_config_selectorIlEEZNS1_11reduce_implILb1ES3_PlS7_lN6hipcub16HIPCUB_304000_NS6detail34convert_binary_result_type_wrapperINS9_3SumENS9_22TransformInputIteratorIb7NonZeroIfEPflEElEEEE10hipError_tPvRmT1_T2_T3_mT4_P12ihipStream_tbEUlT_E1_NS1_11comp_targetILNS1_3genE4ELNS1_11target_archE910ELNS1_3gpuE8ELNS1_3repE0EEENS1_30default_config_static_selectorELNS0_4arch9wavefront6targetE0EEEvSM_: ; @_ZN7rocprim17ROCPRIM_400000_NS6detail17trampoline_kernelINS0_14default_configENS1_22reduce_config_selectorIlEEZNS1_11reduce_implILb1ES3_PlS7_lN6hipcub16HIPCUB_304000_NS6detail34convert_binary_result_type_wrapperINS9_3SumENS9_22TransformInputIteratorIb7NonZeroIfEPflEElEEEE10hipError_tPvRmT1_T2_T3_mT4_P12ihipStream_tbEUlT_E1_NS1_11comp_targetILNS1_3genE4ELNS1_11target_archE910ELNS1_3gpuE8ELNS1_3repE0EEENS1_30default_config_static_selectorELNS0_4arch9wavefront6targetE0EEEvSM_
; %bb.0:
	.section	.rodata,"a",@progbits
	.p2align	6, 0x0
	.amdhsa_kernel _ZN7rocprim17ROCPRIM_400000_NS6detail17trampoline_kernelINS0_14default_configENS1_22reduce_config_selectorIlEEZNS1_11reduce_implILb1ES3_PlS7_lN6hipcub16HIPCUB_304000_NS6detail34convert_binary_result_type_wrapperINS9_3SumENS9_22TransformInputIteratorIb7NonZeroIfEPflEElEEEE10hipError_tPvRmT1_T2_T3_mT4_P12ihipStream_tbEUlT_E1_NS1_11comp_targetILNS1_3genE4ELNS1_11target_archE910ELNS1_3gpuE8ELNS1_3repE0EEENS1_30default_config_static_selectorELNS0_4arch9wavefront6targetE0EEEvSM_
		.amdhsa_group_segment_fixed_size 0
		.amdhsa_private_segment_fixed_size 0
		.amdhsa_kernarg_size 48
		.amdhsa_user_sgpr_count 15
		.amdhsa_user_sgpr_dispatch_ptr 0
		.amdhsa_user_sgpr_queue_ptr 0
		.amdhsa_user_sgpr_kernarg_segment_ptr 1
		.amdhsa_user_sgpr_dispatch_id 0
		.amdhsa_user_sgpr_private_segment_size 0
		.amdhsa_wavefront_size32 1
		.amdhsa_uses_dynamic_stack 0
		.amdhsa_enable_private_segment 0
		.amdhsa_system_sgpr_workgroup_id_x 1
		.amdhsa_system_sgpr_workgroup_id_y 0
		.amdhsa_system_sgpr_workgroup_id_z 0
		.amdhsa_system_sgpr_workgroup_info 0
		.amdhsa_system_vgpr_workitem_id 0
		.amdhsa_next_free_vgpr 1
		.amdhsa_next_free_sgpr 1
		.amdhsa_reserve_vcc 0
		.amdhsa_float_round_mode_32 0
		.amdhsa_float_round_mode_16_64 0
		.amdhsa_float_denorm_mode_32 3
		.amdhsa_float_denorm_mode_16_64 3
		.amdhsa_dx10_clamp 1
		.amdhsa_ieee_mode 1
		.amdhsa_fp16_overflow 0
		.amdhsa_workgroup_processor_mode 1
		.amdhsa_memory_ordered 1
		.amdhsa_forward_progress 0
		.amdhsa_shared_vgpr_count 0
		.amdhsa_exception_fp_ieee_invalid_op 0
		.amdhsa_exception_fp_denorm_src 0
		.amdhsa_exception_fp_ieee_div_zero 0
		.amdhsa_exception_fp_ieee_overflow 0
		.amdhsa_exception_fp_ieee_underflow 0
		.amdhsa_exception_fp_ieee_inexact 0
		.amdhsa_exception_int_div_zero 0
	.end_amdhsa_kernel
	.section	.text._ZN7rocprim17ROCPRIM_400000_NS6detail17trampoline_kernelINS0_14default_configENS1_22reduce_config_selectorIlEEZNS1_11reduce_implILb1ES3_PlS7_lN6hipcub16HIPCUB_304000_NS6detail34convert_binary_result_type_wrapperINS9_3SumENS9_22TransformInputIteratorIb7NonZeroIfEPflEElEEEE10hipError_tPvRmT1_T2_T3_mT4_P12ihipStream_tbEUlT_E1_NS1_11comp_targetILNS1_3genE4ELNS1_11target_archE910ELNS1_3gpuE8ELNS1_3repE0EEENS1_30default_config_static_selectorELNS0_4arch9wavefront6targetE0EEEvSM_,"axG",@progbits,_ZN7rocprim17ROCPRIM_400000_NS6detail17trampoline_kernelINS0_14default_configENS1_22reduce_config_selectorIlEEZNS1_11reduce_implILb1ES3_PlS7_lN6hipcub16HIPCUB_304000_NS6detail34convert_binary_result_type_wrapperINS9_3SumENS9_22TransformInputIteratorIb7NonZeroIfEPflEElEEEE10hipError_tPvRmT1_T2_T3_mT4_P12ihipStream_tbEUlT_E1_NS1_11comp_targetILNS1_3genE4ELNS1_11target_archE910ELNS1_3gpuE8ELNS1_3repE0EEENS1_30default_config_static_selectorELNS0_4arch9wavefront6targetE0EEEvSM_,comdat
.Lfunc_end228:
	.size	_ZN7rocprim17ROCPRIM_400000_NS6detail17trampoline_kernelINS0_14default_configENS1_22reduce_config_selectorIlEEZNS1_11reduce_implILb1ES3_PlS7_lN6hipcub16HIPCUB_304000_NS6detail34convert_binary_result_type_wrapperINS9_3SumENS9_22TransformInputIteratorIb7NonZeroIfEPflEElEEEE10hipError_tPvRmT1_T2_T3_mT4_P12ihipStream_tbEUlT_E1_NS1_11comp_targetILNS1_3genE4ELNS1_11target_archE910ELNS1_3gpuE8ELNS1_3repE0EEENS1_30default_config_static_selectorELNS0_4arch9wavefront6targetE0EEEvSM_, .Lfunc_end228-_ZN7rocprim17ROCPRIM_400000_NS6detail17trampoline_kernelINS0_14default_configENS1_22reduce_config_selectorIlEEZNS1_11reduce_implILb1ES3_PlS7_lN6hipcub16HIPCUB_304000_NS6detail34convert_binary_result_type_wrapperINS9_3SumENS9_22TransformInputIteratorIb7NonZeroIfEPflEElEEEE10hipError_tPvRmT1_T2_T3_mT4_P12ihipStream_tbEUlT_E1_NS1_11comp_targetILNS1_3genE4ELNS1_11target_archE910ELNS1_3gpuE8ELNS1_3repE0EEENS1_30default_config_static_selectorELNS0_4arch9wavefront6targetE0EEEvSM_
                                        ; -- End function
	.section	.AMDGPU.csdata,"",@progbits
; Kernel info:
; codeLenInByte = 0
; NumSgprs: 0
; NumVgprs: 0
; ScratchSize: 0
; MemoryBound: 0
; FloatMode: 240
; IeeeMode: 1
; LDSByteSize: 0 bytes/workgroup (compile time only)
; SGPRBlocks: 0
; VGPRBlocks: 0
; NumSGPRsForWavesPerEU: 1
; NumVGPRsForWavesPerEU: 1
; Occupancy: 16
; WaveLimiterHint : 0
; COMPUTE_PGM_RSRC2:SCRATCH_EN: 0
; COMPUTE_PGM_RSRC2:USER_SGPR: 15
; COMPUTE_PGM_RSRC2:TRAP_HANDLER: 0
; COMPUTE_PGM_RSRC2:TGID_X_EN: 1
; COMPUTE_PGM_RSRC2:TGID_Y_EN: 0
; COMPUTE_PGM_RSRC2:TGID_Z_EN: 0
; COMPUTE_PGM_RSRC2:TIDIG_COMP_CNT: 0
	.section	.text._ZN7rocprim17ROCPRIM_400000_NS6detail17trampoline_kernelINS0_14default_configENS1_22reduce_config_selectorIlEEZNS1_11reduce_implILb1ES3_PlS7_lN6hipcub16HIPCUB_304000_NS6detail34convert_binary_result_type_wrapperINS9_3SumENS9_22TransformInputIteratorIb7NonZeroIfEPflEElEEEE10hipError_tPvRmT1_T2_T3_mT4_P12ihipStream_tbEUlT_E1_NS1_11comp_targetILNS1_3genE3ELNS1_11target_archE908ELNS1_3gpuE7ELNS1_3repE0EEENS1_30default_config_static_selectorELNS0_4arch9wavefront6targetE0EEEvSM_,"axG",@progbits,_ZN7rocprim17ROCPRIM_400000_NS6detail17trampoline_kernelINS0_14default_configENS1_22reduce_config_selectorIlEEZNS1_11reduce_implILb1ES3_PlS7_lN6hipcub16HIPCUB_304000_NS6detail34convert_binary_result_type_wrapperINS9_3SumENS9_22TransformInputIteratorIb7NonZeroIfEPflEElEEEE10hipError_tPvRmT1_T2_T3_mT4_P12ihipStream_tbEUlT_E1_NS1_11comp_targetILNS1_3genE3ELNS1_11target_archE908ELNS1_3gpuE7ELNS1_3repE0EEENS1_30default_config_static_selectorELNS0_4arch9wavefront6targetE0EEEvSM_,comdat
	.protected	_ZN7rocprim17ROCPRIM_400000_NS6detail17trampoline_kernelINS0_14default_configENS1_22reduce_config_selectorIlEEZNS1_11reduce_implILb1ES3_PlS7_lN6hipcub16HIPCUB_304000_NS6detail34convert_binary_result_type_wrapperINS9_3SumENS9_22TransformInputIteratorIb7NonZeroIfEPflEElEEEE10hipError_tPvRmT1_T2_T3_mT4_P12ihipStream_tbEUlT_E1_NS1_11comp_targetILNS1_3genE3ELNS1_11target_archE908ELNS1_3gpuE7ELNS1_3repE0EEENS1_30default_config_static_selectorELNS0_4arch9wavefront6targetE0EEEvSM_ ; -- Begin function _ZN7rocprim17ROCPRIM_400000_NS6detail17trampoline_kernelINS0_14default_configENS1_22reduce_config_selectorIlEEZNS1_11reduce_implILb1ES3_PlS7_lN6hipcub16HIPCUB_304000_NS6detail34convert_binary_result_type_wrapperINS9_3SumENS9_22TransformInputIteratorIb7NonZeroIfEPflEElEEEE10hipError_tPvRmT1_T2_T3_mT4_P12ihipStream_tbEUlT_E1_NS1_11comp_targetILNS1_3genE3ELNS1_11target_archE908ELNS1_3gpuE7ELNS1_3repE0EEENS1_30default_config_static_selectorELNS0_4arch9wavefront6targetE0EEEvSM_
	.globl	_ZN7rocprim17ROCPRIM_400000_NS6detail17trampoline_kernelINS0_14default_configENS1_22reduce_config_selectorIlEEZNS1_11reduce_implILb1ES3_PlS7_lN6hipcub16HIPCUB_304000_NS6detail34convert_binary_result_type_wrapperINS9_3SumENS9_22TransformInputIteratorIb7NonZeroIfEPflEElEEEE10hipError_tPvRmT1_T2_T3_mT4_P12ihipStream_tbEUlT_E1_NS1_11comp_targetILNS1_3genE3ELNS1_11target_archE908ELNS1_3gpuE7ELNS1_3repE0EEENS1_30default_config_static_selectorELNS0_4arch9wavefront6targetE0EEEvSM_
	.p2align	8
	.type	_ZN7rocprim17ROCPRIM_400000_NS6detail17trampoline_kernelINS0_14default_configENS1_22reduce_config_selectorIlEEZNS1_11reduce_implILb1ES3_PlS7_lN6hipcub16HIPCUB_304000_NS6detail34convert_binary_result_type_wrapperINS9_3SumENS9_22TransformInputIteratorIb7NonZeroIfEPflEElEEEE10hipError_tPvRmT1_T2_T3_mT4_P12ihipStream_tbEUlT_E1_NS1_11comp_targetILNS1_3genE3ELNS1_11target_archE908ELNS1_3gpuE7ELNS1_3repE0EEENS1_30default_config_static_selectorELNS0_4arch9wavefront6targetE0EEEvSM_,@function
_ZN7rocprim17ROCPRIM_400000_NS6detail17trampoline_kernelINS0_14default_configENS1_22reduce_config_selectorIlEEZNS1_11reduce_implILb1ES3_PlS7_lN6hipcub16HIPCUB_304000_NS6detail34convert_binary_result_type_wrapperINS9_3SumENS9_22TransformInputIteratorIb7NonZeroIfEPflEElEEEE10hipError_tPvRmT1_T2_T3_mT4_P12ihipStream_tbEUlT_E1_NS1_11comp_targetILNS1_3genE3ELNS1_11target_archE908ELNS1_3gpuE7ELNS1_3repE0EEENS1_30default_config_static_selectorELNS0_4arch9wavefront6targetE0EEEvSM_: ; @_ZN7rocprim17ROCPRIM_400000_NS6detail17trampoline_kernelINS0_14default_configENS1_22reduce_config_selectorIlEEZNS1_11reduce_implILb1ES3_PlS7_lN6hipcub16HIPCUB_304000_NS6detail34convert_binary_result_type_wrapperINS9_3SumENS9_22TransformInputIteratorIb7NonZeroIfEPflEElEEEE10hipError_tPvRmT1_T2_T3_mT4_P12ihipStream_tbEUlT_E1_NS1_11comp_targetILNS1_3genE3ELNS1_11target_archE908ELNS1_3gpuE7ELNS1_3repE0EEENS1_30default_config_static_selectorELNS0_4arch9wavefront6targetE0EEEvSM_
; %bb.0:
	.section	.rodata,"a",@progbits
	.p2align	6, 0x0
	.amdhsa_kernel _ZN7rocprim17ROCPRIM_400000_NS6detail17trampoline_kernelINS0_14default_configENS1_22reduce_config_selectorIlEEZNS1_11reduce_implILb1ES3_PlS7_lN6hipcub16HIPCUB_304000_NS6detail34convert_binary_result_type_wrapperINS9_3SumENS9_22TransformInputIteratorIb7NonZeroIfEPflEElEEEE10hipError_tPvRmT1_T2_T3_mT4_P12ihipStream_tbEUlT_E1_NS1_11comp_targetILNS1_3genE3ELNS1_11target_archE908ELNS1_3gpuE7ELNS1_3repE0EEENS1_30default_config_static_selectorELNS0_4arch9wavefront6targetE0EEEvSM_
		.amdhsa_group_segment_fixed_size 0
		.amdhsa_private_segment_fixed_size 0
		.amdhsa_kernarg_size 48
		.amdhsa_user_sgpr_count 15
		.amdhsa_user_sgpr_dispatch_ptr 0
		.amdhsa_user_sgpr_queue_ptr 0
		.amdhsa_user_sgpr_kernarg_segment_ptr 1
		.amdhsa_user_sgpr_dispatch_id 0
		.amdhsa_user_sgpr_private_segment_size 0
		.amdhsa_wavefront_size32 1
		.amdhsa_uses_dynamic_stack 0
		.amdhsa_enable_private_segment 0
		.amdhsa_system_sgpr_workgroup_id_x 1
		.amdhsa_system_sgpr_workgroup_id_y 0
		.amdhsa_system_sgpr_workgroup_id_z 0
		.amdhsa_system_sgpr_workgroup_info 0
		.amdhsa_system_vgpr_workitem_id 0
		.amdhsa_next_free_vgpr 1
		.amdhsa_next_free_sgpr 1
		.amdhsa_reserve_vcc 0
		.amdhsa_float_round_mode_32 0
		.amdhsa_float_round_mode_16_64 0
		.amdhsa_float_denorm_mode_32 3
		.amdhsa_float_denorm_mode_16_64 3
		.amdhsa_dx10_clamp 1
		.amdhsa_ieee_mode 1
		.amdhsa_fp16_overflow 0
		.amdhsa_workgroup_processor_mode 1
		.amdhsa_memory_ordered 1
		.amdhsa_forward_progress 0
		.amdhsa_shared_vgpr_count 0
		.amdhsa_exception_fp_ieee_invalid_op 0
		.amdhsa_exception_fp_denorm_src 0
		.amdhsa_exception_fp_ieee_div_zero 0
		.amdhsa_exception_fp_ieee_overflow 0
		.amdhsa_exception_fp_ieee_underflow 0
		.amdhsa_exception_fp_ieee_inexact 0
		.amdhsa_exception_int_div_zero 0
	.end_amdhsa_kernel
	.section	.text._ZN7rocprim17ROCPRIM_400000_NS6detail17trampoline_kernelINS0_14default_configENS1_22reduce_config_selectorIlEEZNS1_11reduce_implILb1ES3_PlS7_lN6hipcub16HIPCUB_304000_NS6detail34convert_binary_result_type_wrapperINS9_3SumENS9_22TransformInputIteratorIb7NonZeroIfEPflEElEEEE10hipError_tPvRmT1_T2_T3_mT4_P12ihipStream_tbEUlT_E1_NS1_11comp_targetILNS1_3genE3ELNS1_11target_archE908ELNS1_3gpuE7ELNS1_3repE0EEENS1_30default_config_static_selectorELNS0_4arch9wavefront6targetE0EEEvSM_,"axG",@progbits,_ZN7rocprim17ROCPRIM_400000_NS6detail17trampoline_kernelINS0_14default_configENS1_22reduce_config_selectorIlEEZNS1_11reduce_implILb1ES3_PlS7_lN6hipcub16HIPCUB_304000_NS6detail34convert_binary_result_type_wrapperINS9_3SumENS9_22TransformInputIteratorIb7NonZeroIfEPflEElEEEE10hipError_tPvRmT1_T2_T3_mT4_P12ihipStream_tbEUlT_E1_NS1_11comp_targetILNS1_3genE3ELNS1_11target_archE908ELNS1_3gpuE7ELNS1_3repE0EEENS1_30default_config_static_selectorELNS0_4arch9wavefront6targetE0EEEvSM_,comdat
.Lfunc_end229:
	.size	_ZN7rocprim17ROCPRIM_400000_NS6detail17trampoline_kernelINS0_14default_configENS1_22reduce_config_selectorIlEEZNS1_11reduce_implILb1ES3_PlS7_lN6hipcub16HIPCUB_304000_NS6detail34convert_binary_result_type_wrapperINS9_3SumENS9_22TransformInputIteratorIb7NonZeroIfEPflEElEEEE10hipError_tPvRmT1_T2_T3_mT4_P12ihipStream_tbEUlT_E1_NS1_11comp_targetILNS1_3genE3ELNS1_11target_archE908ELNS1_3gpuE7ELNS1_3repE0EEENS1_30default_config_static_selectorELNS0_4arch9wavefront6targetE0EEEvSM_, .Lfunc_end229-_ZN7rocprim17ROCPRIM_400000_NS6detail17trampoline_kernelINS0_14default_configENS1_22reduce_config_selectorIlEEZNS1_11reduce_implILb1ES3_PlS7_lN6hipcub16HIPCUB_304000_NS6detail34convert_binary_result_type_wrapperINS9_3SumENS9_22TransformInputIteratorIb7NonZeroIfEPflEElEEEE10hipError_tPvRmT1_T2_T3_mT4_P12ihipStream_tbEUlT_E1_NS1_11comp_targetILNS1_3genE3ELNS1_11target_archE908ELNS1_3gpuE7ELNS1_3repE0EEENS1_30default_config_static_selectorELNS0_4arch9wavefront6targetE0EEEvSM_
                                        ; -- End function
	.section	.AMDGPU.csdata,"",@progbits
; Kernel info:
; codeLenInByte = 0
; NumSgprs: 0
; NumVgprs: 0
; ScratchSize: 0
; MemoryBound: 0
; FloatMode: 240
; IeeeMode: 1
; LDSByteSize: 0 bytes/workgroup (compile time only)
; SGPRBlocks: 0
; VGPRBlocks: 0
; NumSGPRsForWavesPerEU: 1
; NumVGPRsForWavesPerEU: 1
; Occupancy: 16
; WaveLimiterHint : 0
; COMPUTE_PGM_RSRC2:SCRATCH_EN: 0
; COMPUTE_PGM_RSRC2:USER_SGPR: 15
; COMPUTE_PGM_RSRC2:TRAP_HANDLER: 0
; COMPUTE_PGM_RSRC2:TGID_X_EN: 1
; COMPUTE_PGM_RSRC2:TGID_Y_EN: 0
; COMPUTE_PGM_RSRC2:TGID_Z_EN: 0
; COMPUTE_PGM_RSRC2:TIDIG_COMP_CNT: 0
	.section	.text._ZN7rocprim17ROCPRIM_400000_NS6detail17trampoline_kernelINS0_14default_configENS1_22reduce_config_selectorIlEEZNS1_11reduce_implILb1ES3_PlS7_lN6hipcub16HIPCUB_304000_NS6detail34convert_binary_result_type_wrapperINS9_3SumENS9_22TransformInputIteratorIb7NonZeroIfEPflEElEEEE10hipError_tPvRmT1_T2_T3_mT4_P12ihipStream_tbEUlT_E1_NS1_11comp_targetILNS1_3genE2ELNS1_11target_archE906ELNS1_3gpuE6ELNS1_3repE0EEENS1_30default_config_static_selectorELNS0_4arch9wavefront6targetE0EEEvSM_,"axG",@progbits,_ZN7rocprim17ROCPRIM_400000_NS6detail17trampoline_kernelINS0_14default_configENS1_22reduce_config_selectorIlEEZNS1_11reduce_implILb1ES3_PlS7_lN6hipcub16HIPCUB_304000_NS6detail34convert_binary_result_type_wrapperINS9_3SumENS9_22TransformInputIteratorIb7NonZeroIfEPflEElEEEE10hipError_tPvRmT1_T2_T3_mT4_P12ihipStream_tbEUlT_E1_NS1_11comp_targetILNS1_3genE2ELNS1_11target_archE906ELNS1_3gpuE6ELNS1_3repE0EEENS1_30default_config_static_selectorELNS0_4arch9wavefront6targetE0EEEvSM_,comdat
	.protected	_ZN7rocprim17ROCPRIM_400000_NS6detail17trampoline_kernelINS0_14default_configENS1_22reduce_config_selectorIlEEZNS1_11reduce_implILb1ES3_PlS7_lN6hipcub16HIPCUB_304000_NS6detail34convert_binary_result_type_wrapperINS9_3SumENS9_22TransformInputIteratorIb7NonZeroIfEPflEElEEEE10hipError_tPvRmT1_T2_T3_mT4_P12ihipStream_tbEUlT_E1_NS1_11comp_targetILNS1_3genE2ELNS1_11target_archE906ELNS1_3gpuE6ELNS1_3repE0EEENS1_30default_config_static_selectorELNS0_4arch9wavefront6targetE0EEEvSM_ ; -- Begin function _ZN7rocprim17ROCPRIM_400000_NS6detail17trampoline_kernelINS0_14default_configENS1_22reduce_config_selectorIlEEZNS1_11reduce_implILb1ES3_PlS7_lN6hipcub16HIPCUB_304000_NS6detail34convert_binary_result_type_wrapperINS9_3SumENS9_22TransformInputIteratorIb7NonZeroIfEPflEElEEEE10hipError_tPvRmT1_T2_T3_mT4_P12ihipStream_tbEUlT_E1_NS1_11comp_targetILNS1_3genE2ELNS1_11target_archE906ELNS1_3gpuE6ELNS1_3repE0EEENS1_30default_config_static_selectorELNS0_4arch9wavefront6targetE0EEEvSM_
	.globl	_ZN7rocprim17ROCPRIM_400000_NS6detail17trampoline_kernelINS0_14default_configENS1_22reduce_config_selectorIlEEZNS1_11reduce_implILb1ES3_PlS7_lN6hipcub16HIPCUB_304000_NS6detail34convert_binary_result_type_wrapperINS9_3SumENS9_22TransformInputIteratorIb7NonZeroIfEPflEElEEEE10hipError_tPvRmT1_T2_T3_mT4_P12ihipStream_tbEUlT_E1_NS1_11comp_targetILNS1_3genE2ELNS1_11target_archE906ELNS1_3gpuE6ELNS1_3repE0EEENS1_30default_config_static_selectorELNS0_4arch9wavefront6targetE0EEEvSM_
	.p2align	8
	.type	_ZN7rocprim17ROCPRIM_400000_NS6detail17trampoline_kernelINS0_14default_configENS1_22reduce_config_selectorIlEEZNS1_11reduce_implILb1ES3_PlS7_lN6hipcub16HIPCUB_304000_NS6detail34convert_binary_result_type_wrapperINS9_3SumENS9_22TransformInputIteratorIb7NonZeroIfEPflEElEEEE10hipError_tPvRmT1_T2_T3_mT4_P12ihipStream_tbEUlT_E1_NS1_11comp_targetILNS1_3genE2ELNS1_11target_archE906ELNS1_3gpuE6ELNS1_3repE0EEENS1_30default_config_static_selectorELNS0_4arch9wavefront6targetE0EEEvSM_,@function
_ZN7rocprim17ROCPRIM_400000_NS6detail17trampoline_kernelINS0_14default_configENS1_22reduce_config_selectorIlEEZNS1_11reduce_implILb1ES3_PlS7_lN6hipcub16HIPCUB_304000_NS6detail34convert_binary_result_type_wrapperINS9_3SumENS9_22TransformInputIteratorIb7NonZeroIfEPflEElEEEE10hipError_tPvRmT1_T2_T3_mT4_P12ihipStream_tbEUlT_E1_NS1_11comp_targetILNS1_3genE2ELNS1_11target_archE906ELNS1_3gpuE6ELNS1_3repE0EEENS1_30default_config_static_selectorELNS0_4arch9wavefront6targetE0EEEvSM_: ; @_ZN7rocprim17ROCPRIM_400000_NS6detail17trampoline_kernelINS0_14default_configENS1_22reduce_config_selectorIlEEZNS1_11reduce_implILb1ES3_PlS7_lN6hipcub16HIPCUB_304000_NS6detail34convert_binary_result_type_wrapperINS9_3SumENS9_22TransformInputIteratorIb7NonZeroIfEPflEElEEEE10hipError_tPvRmT1_T2_T3_mT4_P12ihipStream_tbEUlT_E1_NS1_11comp_targetILNS1_3genE2ELNS1_11target_archE906ELNS1_3gpuE6ELNS1_3repE0EEENS1_30default_config_static_selectorELNS0_4arch9wavefront6targetE0EEEvSM_
; %bb.0:
	.section	.rodata,"a",@progbits
	.p2align	6, 0x0
	.amdhsa_kernel _ZN7rocprim17ROCPRIM_400000_NS6detail17trampoline_kernelINS0_14default_configENS1_22reduce_config_selectorIlEEZNS1_11reduce_implILb1ES3_PlS7_lN6hipcub16HIPCUB_304000_NS6detail34convert_binary_result_type_wrapperINS9_3SumENS9_22TransformInputIteratorIb7NonZeroIfEPflEElEEEE10hipError_tPvRmT1_T2_T3_mT4_P12ihipStream_tbEUlT_E1_NS1_11comp_targetILNS1_3genE2ELNS1_11target_archE906ELNS1_3gpuE6ELNS1_3repE0EEENS1_30default_config_static_selectorELNS0_4arch9wavefront6targetE0EEEvSM_
		.amdhsa_group_segment_fixed_size 0
		.amdhsa_private_segment_fixed_size 0
		.amdhsa_kernarg_size 48
		.amdhsa_user_sgpr_count 15
		.amdhsa_user_sgpr_dispatch_ptr 0
		.amdhsa_user_sgpr_queue_ptr 0
		.amdhsa_user_sgpr_kernarg_segment_ptr 1
		.amdhsa_user_sgpr_dispatch_id 0
		.amdhsa_user_sgpr_private_segment_size 0
		.amdhsa_wavefront_size32 1
		.amdhsa_uses_dynamic_stack 0
		.amdhsa_enable_private_segment 0
		.amdhsa_system_sgpr_workgroup_id_x 1
		.amdhsa_system_sgpr_workgroup_id_y 0
		.amdhsa_system_sgpr_workgroup_id_z 0
		.amdhsa_system_sgpr_workgroup_info 0
		.amdhsa_system_vgpr_workitem_id 0
		.amdhsa_next_free_vgpr 1
		.amdhsa_next_free_sgpr 1
		.amdhsa_reserve_vcc 0
		.amdhsa_float_round_mode_32 0
		.amdhsa_float_round_mode_16_64 0
		.amdhsa_float_denorm_mode_32 3
		.amdhsa_float_denorm_mode_16_64 3
		.amdhsa_dx10_clamp 1
		.amdhsa_ieee_mode 1
		.amdhsa_fp16_overflow 0
		.amdhsa_workgroup_processor_mode 1
		.amdhsa_memory_ordered 1
		.amdhsa_forward_progress 0
		.amdhsa_shared_vgpr_count 0
		.amdhsa_exception_fp_ieee_invalid_op 0
		.amdhsa_exception_fp_denorm_src 0
		.amdhsa_exception_fp_ieee_div_zero 0
		.amdhsa_exception_fp_ieee_overflow 0
		.amdhsa_exception_fp_ieee_underflow 0
		.amdhsa_exception_fp_ieee_inexact 0
		.amdhsa_exception_int_div_zero 0
	.end_amdhsa_kernel
	.section	.text._ZN7rocprim17ROCPRIM_400000_NS6detail17trampoline_kernelINS0_14default_configENS1_22reduce_config_selectorIlEEZNS1_11reduce_implILb1ES3_PlS7_lN6hipcub16HIPCUB_304000_NS6detail34convert_binary_result_type_wrapperINS9_3SumENS9_22TransformInputIteratorIb7NonZeroIfEPflEElEEEE10hipError_tPvRmT1_T2_T3_mT4_P12ihipStream_tbEUlT_E1_NS1_11comp_targetILNS1_3genE2ELNS1_11target_archE906ELNS1_3gpuE6ELNS1_3repE0EEENS1_30default_config_static_selectorELNS0_4arch9wavefront6targetE0EEEvSM_,"axG",@progbits,_ZN7rocprim17ROCPRIM_400000_NS6detail17trampoline_kernelINS0_14default_configENS1_22reduce_config_selectorIlEEZNS1_11reduce_implILb1ES3_PlS7_lN6hipcub16HIPCUB_304000_NS6detail34convert_binary_result_type_wrapperINS9_3SumENS9_22TransformInputIteratorIb7NonZeroIfEPflEElEEEE10hipError_tPvRmT1_T2_T3_mT4_P12ihipStream_tbEUlT_E1_NS1_11comp_targetILNS1_3genE2ELNS1_11target_archE906ELNS1_3gpuE6ELNS1_3repE0EEENS1_30default_config_static_selectorELNS0_4arch9wavefront6targetE0EEEvSM_,comdat
.Lfunc_end230:
	.size	_ZN7rocprim17ROCPRIM_400000_NS6detail17trampoline_kernelINS0_14default_configENS1_22reduce_config_selectorIlEEZNS1_11reduce_implILb1ES3_PlS7_lN6hipcub16HIPCUB_304000_NS6detail34convert_binary_result_type_wrapperINS9_3SumENS9_22TransformInputIteratorIb7NonZeroIfEPflEElEEEE10hipError_tPvRmT1_T2_T3_mT4_P12ihipStream_tbEUlT_E1_NS1_11comp_targetILNS1_3genE2ELNS1_11target_archE906ELNS1_3gpuE6ELNS1_3repE0EEENS1_30default_config_static_selectorELNS0_4arch9wavefront6targetE0EEEvSM_, .Lfunc_end230-_ZN7rocprim17ROCPRIM_400000_NS6detail17trampoline_kernelINS0_14default_configENS1_22reduce_config_selectorIlEEZNS1_11reduce_implILb1ES3_PlS7_lN6hipcub16HIPCUB_304000_NS6detail34convert_binary_result_type_wrapperINS9_3SumENS9_22TransformInputIteratorIb7NonZeroIfEPflEElEEEE10hipError_tPvRmT1_T2_T3_mT4_P12ihipStream_tbEUlT_E1_NS1_11comp_targetILNS1_3genE2ELNS1_11target_archE906ELNS1_3gpuE6ELNS1_3repE0EEENS1_30default_config_static_selectorELNS0_4arch9wavefront6targetE0EEEvSM_
                                        ; -- End function
	.section	.AMDGPU.csdata,"",@progbits
; Kernel info:
; codeLenInByte = 0
; NumSgprs: 0
; NumVgprs: 0
; ScratchSize: 0
; MemoryBound: 0
; FloatMode: 240
; IeeeMode: 1
; LDSByteSize: 0 bytes/workgroup (compile time only)
; SGPRBlocks: 0
; VGPRBlocks: 0
; NumSGPRsForWavesPerEU: 1
; NumVGPRsForWavesPerEU: 1
; Occupancy: 16
; WaveLimiterHint : 0
; COMPUTE_PGM_RSRC2:SCRATCH_EN: 0
; COMPUTE_PGM_RSRC2:USER_SGPR: 15
; COMPUTE_PGM_RSRC2:TRAP_HANDLER: 0
; COMPUTE_PGM_RSRC2:TGID_X_EN: 1
; COMPUTE_PGM_RSRC2:TGID_Y_EN: 0
; COMPUTE_PGM_RSRC2:TGID_Z_EN: 0
; COMPUTE_PGM_RSRC2:TIDIG_COMP_CNT: 0
	.section	.text._ZN7rocprim17ROCPRIM_400000_NS6detail17trampoline_kernelINS0_14default_configENS1_22reduce_config_selectorIlEEZNS1_11reduce_implILb1ES3_PlS7_lN6hipcub16HIPCUB_304000_NS6detail34convert_binary_result_type_wrapperINS9_3SumENS9_22TransformInputIteratorIb7NonZeroIfEPflEElEEEE10hipError_tPvRmT1_T2_T3_mT4_P12ihipStream_tbEUlT_E1_NS1_11comp_targetILNS1_3genE10ELNS1_11target_archE1201ELNS1_3gpuE5ELNS1_3repE0EEENS1_30default_config_static_selectorELNS0_4arch9wavefront6targetE0EEEvSM_,"axG",@progbits,_ZN7rocprim17ROCPRIM_400000_NS6detail17trampoline_kernelINS0_14default_configENS1_22reduce_config_selectorIlEEZNS1_11reduce_implILb1ES3_PlS7_lN6hipcub16HIPCUB_304000_NS6detail34convert_binary_result_type_wrapperINS9_3SumENS9_22TransformInputIteratorIb7NonZeroIfEPflEElEEEE10hipError_tPvRmT1_T2_T3_mT4_P12ihipStream_tbEUlT_E1_NS1_11comp_targetILNS1_3genE10ELNS1_11target_archE1201ELNS1_3gpuE5ELNS1_3repE0EEENS1_30default_config_static_selectorELNS0_4arch9wavefront6targetE0EEEvSM_,comdat
	.protected	_ZN7rocprim17ROCPRIM_400000_NS6detail17trampoline_kernelINS0_14default_configENS1_22reduce_config_selectorIlEEZNS1_11reduce_implILb1ES3_PlS7_lN6hipcub16HIPCUB_304000_NS6detail34convert_binary_result_type_wrapperINS9_3SumENS9_22TransformInputIteratorIb7NonZeroIfEPflEElEEEE10hipError_tPvRmT1_T2_T3_mT4_P12ihipStream_tbEUlT_E1_NS1_11comp_targetILNS1_3genE10ELNS1_11target_archE1201ELNS1_3gpuE5ELNS1_3repE0EEENS1_30default_config_static_selectorELNS0_4arch9wavefront6targetE0EEEvSM_ ; -- Begin function _ZN7rocprim17ROCPRIM_400000_NS6detail17trampoline_kernelINS0_14default_configENS1_22reduce_config_selectorIlEEZNS1_11reduce_implILb1ES3_PlS7_lN6hipcub16HIPCUB_304000_NS6detail34convert_binary_result_type_wrapperINS9_3SumENS9_22TransformInputIteratorIb7NonZeroIfEPflEElEEEE10hipError_tPvRmT1_T2_T3_mT4_P12ihipStream_tbEUlT_E1_NS1_11comp_targetILNS1_3genE10ELNS1_11target_archE1201ELNS1_3gpuE5ELNS1_3repE0EEENS1_30default_config_static_selectorELNS0_4arch9wavefront6targetE0EEEvSM_
	.globl	_ZN7rocprim17ROCPRIM_400000_NS6detail17trampoline_kernelINS0_14default_configENS1_22reduce_config_selectorIlEEZNS1_11reduce_implILb1ES3_PlS7_lN6hipcub16HIPCUB_304000_NS6detail34convert_binary_result_type_wrapperINS9_3SumENS9_22TransformInputIteratorIb7NonZeroIfEPflEElEEEE10hipError_tPvRmT1_T2_T3_mT4_P12ihipStream_tbEUlT_E1_NS1_11comp_targetILNS1_3genE10ELNS1_11target_archE1201ELNS1_3gpuE5ELNS1_3repE0EEENS1_30default_config_static_selectorELNS0_4arch9wavefront6targetE0EEEvSM_
	.p2align	8
	.type	_ZN7rocprim17ROCPRIM_400000_NS6detail17trampoline_kernelINS0_14default_configENS1_22reduce_config_selectorIlEEZNS1_11reduce_implILb1ES3_PlS7_lN6hipcub16HIPCUB_304000_NS6detail34convert_binary_result_type_wrapperINS9_3SumENS9_22TransformInputIteratorIb7NonZeroIfEPflEElEEEE10hipError_tPvRmT1_T2_T3_mT4_P12ihipStream_tbEUlT_E1_NS1_11comp_targetILNS1_3genE10ELNS1_11target_archE1201ELNS1_3gpuE5ELNS1_3repE0EEENS1_30default_config_static_selectorELNS0_4arch9wavefront6targetE0EEEvSM_,@function
_ZN7rocprim17ROCPRIM_400000_NS6detail17trampoline_kernelINS0_14default_configENS1_22reduce_config_selectorIlEEZNS1_11reduce_implILb1ES3_PlS7_lN6hipcub16HIPCUB_304000_NS6detail34convert_binary_result_type_wrapperINS9_3SumENS9_22TransformInputIteratorIb7NonZeroIfEPflEElEEEE10hipError_tPvRmT1_T2_T3_mT4_P12ihipStream_tbEUlT_E1_NS1_11comp_targetILNS1_3genE10ELNS1_11target_archE1201ELNS1_3gpuE5ELNS1_3repE0EEENS1_30default_config_static_selectorELNS0_4arch9wavefront6targetE0EEEvSM_: ; @_ZN7rocprim17ROCPRIM_400000_NS6detail17trampoline_kernelINS0_14default_configENS1_22reduce_config_selectorIlEEZNS1_11reduce_implILb1ES3_PlS7_lN6hipcub16HIPCUB_304000_NS6detail34convert_binary_result_type_wrapperINS9_3SumENS9_22TransformInputIteratorIb7NonZeroIfEPflEElEEEE10hipError_tPvRmT1_T2_T3_mT4_P12ihipStream_tbEUlT_E1_NS1_11comp_targetILNS1_3genE10ELNS1_11target_archE1201ELNS1_3gpuE5ELNS1_3repE0EEENS1_30default_config_static_selectorELNS0_4arch9wavefront6targetE0EEEvSM_
; %bb.0:
	.section	.rodata,"a",@progbits
	.p2align	6, 0x0
	.amdhsa_kernel _ZN7rocprim17ROCPRIM_400000_NS6detail17trampoline_kernelINS0_14default_configENS1_22reduce_config_selectorIlEEZNS1_11reduce_implILb1ES3_PlS7_lN6hipcub16HIPCUB_304000_NS6detail34convert_binary_result_type_wrapperINS9_3SumENS9_22TransformInputIteratorIb7NonZeroIfEPflEElEEEE10hipError_tPvRmT1_T2_T3_mT4_P12ihipStream_tbEUlT_E1_NS1_11comp_targetILNS1_3genE10ELNS1_11target_archE1201ELNS1_3gpuE5ELNS1_3repE0EEENS1_30default_config_static_selectorELNS0_4arch9wavefront6targetE0EEEvSM_
		.amdhsa_group_segment_fixed_size 0
		.amdhsa_private_segment_fixed_size 0
		.amdhsa_kernarg_size 48
		.amdhsa_user_sgpr_count 15
		.amdhsa_user_sgpr_dispatch_ptr 0
		.amdhsa_user_sgpr_queue_ptr 0
		.amdhsa_user_sgpr_kernarg_segment_ptr 1
		.amdhsa_user_sgpr_dispatch_id 0
		.amdhsa_user_sgpr_private_segment_size 0
		.amdhsa_wavefront_size32 1
		.amdhsa_uses_dynamic_stack 0
		.amdhsa_enable_private_segment 0
		.amdhsa_system_sgpr_workgroup_id_x 1
		.amdhsa_system_sgpr_workgroup_id_y 0
		.amdhsa_system_sgpr_workgroup_id_z 0
		.amdhsa_system_sgpr_workgroup_info 0
		.amdhsa_system_vgpr_workitem_id 0
		.amdhsa_next_free_vgpr 1
		.amdhsa_next_free_sgpr 1
		.amdhsa_reserve_vcc 0
		.amdhsa_float_round_mode_32 0
		.amdhsa_float_round_mode_16_64 0
		.amdhsa_float_denorm_mode_32 3
		.amdhsa_float_denorm_mode_16_64 3
		.amdhsa_dx10_clamp 1
		.amdhsa_ieee_mode 1
		.amdhsa_fp16_overflow 0
		.amdhsa_workgroup_processor_mode 1
		.amdhsa_memory_ordered 1
		.amdhsa_forward_progress 0
		.amdhsa_shared_vgpr_count 0
		.amdhsa_exception_fp_ieee_invalid_op 0
		.amdhsa_exception_fp_denorm_src 0
		.amdhsa_exception_fp_ieee_div_zero 0
		.amdhsa_exception_fp_ieee_overflow 0
		.amdhsa_exception_fp_ieee_underflow 0
		.amdhsa_exception_fp_ieee_inexact 0
		.amdhsa_exception_int_div_zero 0
	.end_amdhsa_kernel
	.section	.text._ZN7rocprim17ROCPRIM_400000_NS6detail17trampoline_kernelINS0_14default_configENS1_22reduce_config_selectorIlEEZNS1_11reduce_implILb1ES3_PlS7_lN6hipcub16HIPCUB_304000_NS6detail34convert_binary_result_type_wrapperINS9_3SumENS9_22TransformInputIteratorIb7NonZeroIfEPflEElEEEE10hipError_tPvRmT1_T2_T3_mT4_P12ihipStream_tbEUlT_E1_NS1_11comp_targetILNS1_3genE10ELNS1_11target_archE1201ELNS1_3gpuE5ELNS1_3repE0EEENS1_30default_config_static_selectorELNS0_4arch9wavefront6targetE0EEEvSM_,"axG",@progbits,_ZN7rocprim17ROCPRIM_400000_NS6detail17trampoline_kernelINS0_14default_configENS1_22reduce_config_selectorIlEEZNS1_11reduce_implILb1ES3_PlS7_lN6hipcub16HIPCUB_304000_NS6detail34convert_binary_result_type_wrapperINS9_3SumENS9_22TransformInputIteratorIb7NonZeroIfEPflEElEEEE10hipError_tPvRmT1_T2_T3_mT4_P12ihipStream_tbEUlT_E1_NS1_11comp_targetILNS1_3genE10ELNS1_11target_archE1201ELNS1_3gpuE5ELNS1_3repE0EEENS1_30default_config_static_selectorELNS0_4arch9wavefront6targetE0EEEvSM_,comdat
.Lfunc_end231:
	.size	_ZN7rocprim17ROCPRIM_400000_NS6detail17trampoline_kernelINS0_14default_configENS1_22reduce_config_selectorIlEEZNS1_11reduce_implILb1ES3_PlS7_lN6hipcub16HIPCUB_304000_NS6detail34convert_binary_result_type_wrapperINS9_3SumENS9_22TransformInputIteratorIb7NonZeroIfEPflEElEEEE10hipError_tPvRmT1_T2_T3_mT4_P12ihipStream_tbEUlT_E1_NS1_11comp_targetILNS1_3genE10ELNS1_11target_archE1201ELNS1_3gpuE5ELNS1_3repE0EEENS1_30default_config_static_selectorELNS0_4arch9wavefront6targetE0EEEvSM_, .Lfunc_end231-_ZN7rocprim17ROCPRIM_400000_NS6detail17trampoline_kernelINS0_14default_configENS1_22reduce_config_selectorIlEEZNS1_11reduce_implILb1ES3_PlS7_lN6hipcub16HIPCUB_304000_NS6detail34convert_binary_result_type_wrapperINS9_3SumENS9_22TransformInputIteratorIb7NonZeroIfEPflEElEEEE10hipError_tPvRmT1_T2_T3_mT4_P12ihipStream_tbEUlT_E1_NS1_11comp_targetILNS1_3genE10ELNS1_11target_archE1201ELNS1_3gpuE5ELNS1_3repE0EEENS1_30default_config_static_selectorELNS0_4arch9wavefront6targetE0EEEvSM_
                                        ; -- End function
	.section	.AMDGPU.csdata,"",@progbits
; Kernel info:
; codeLenInByte = 0
; NumSgprs: 0
; NumVgprs: 0
; ScratchSize: 0
; MemoryBound: 0
; FloatMode: 240
; IeeeMode: 1
; LDSByteSize: 0 bytes/workgroup (compile time only)
; SGPRBlocks: 0
; VGPRBlocks: 0
; NumSGPRsForWavesPerEU: 1
; NumVGPRsForWavesPerEU: 1
; Occupancy: 16
; WaveLimiterHint : 0
; COMPUTE_PGM_RSRC2:SCRATCH_EN: 0
; COMPUTE_PGM_RSRC2:USER_SGPR: 15
; COMPUTE_PGM_RSRC2:TRAP_HANDLER: 0
; COMPUTE_PGM_RSRC2:TGID_X_EN: 1
; COMPUTE_PGM_RSRC2:TGID_Y_EN: 0
; COMPUTE_PGM_RSRC2:TGID_Z_EN: 0
; COMPUTE_PGM_RSRC2:TIDIG_COMP_CNT: 0
	.section	.text._ZN7rocprim17ROCPRIM_400000_NS6detail17trampoline_kernelINS0_14default_configENS1_22reduce_config_selectorIlEEZNS1_11reduce_implILb1ES3_PlS7_lN6hipcub16HIPCUB_304000_NS6detail34convert_binary_result_type_wrapperINS9_3SumENS9_22TransformInputIteratorIb7NonZeroIfEPflEElEEEE10hipError_tPvRmT1_T2_T3_mT4_P12ihipStream_tbEUlT_E1_NS1_11comp_targetILNS1_3genE10ELNS1_11target_archE1200ELNS1_3gpuE4ELNS1_3repE0EEENS1_30default_config_static_selectorELNS0_4arch9wavefront6targetE0EEEvSM_,"axG",@progbits,_ZN7rocprim17ROCPRIM_400000_NS6detail17trampoline_kernelINS0_14default_configENS1_22reduce_config_selectorIlEEZNS1_11reduce_implILb1ES3_PlS7_lN6hipcub16HIPCUB_304000_NS6detail34convert_binary_result_type_wrapperINS9_3SumENS9_22TransformInputIteratorIb7NonZeroIfEPflEElEEEE10hipError_tPvRmT1_T2_T3_mT4_P12ihipStream_tbEUlT_E1_NS1_11comp_targetILNS1_3genE10ELNS1_11target_archE1200ELNS1_3gpuE4ELNS1_3repE0EEENS1_30default_config_static_selectorELNS0_4arch9wavefront6targetE0EEEvSM_,comdat
	.protected	_ZN7rocprim17ROCPRIM_400000_NS6detail17trampoline_kernelINS0_14default_configENS1_22reduce_config_selectorIlEEZNS1_11reduce_implILb1ES3_PlS7_lN6hipcub16HIPCUB_304000_NS6detail34convert_binary_result_type_wrapperINS9_3SumENS9_22TransformInputIteratorIb7NonZeroIfEPflEElEEEE10hipError_tPvRmT1_T2_T3_mT4_P12ihipStream_tbEUlT_E1_NS1_11comp_targetILNS1_3genE10ELNS1_11target_archE1200ELNS1_3gpuE4ELNS1_3repE0EEENS1_30default_config_static_selectorELNS0_4arch9wavefront6targetE0EEEvSM_ ; -- Begin function _ZN7rocprim17ROCPRIM_400000_NS6detail17trampoline_kernelINS0_14default_configENS1_22reduce_config_selectorIlEEZNS1_11reduce_implILb1ES3_PlS7_lN6hipcub16HIPCUB_304000_NS6detail34convert_binary_result_type_wrapperINS9_3SumENS9_22TransformInputIteratorIb7NonZeroIfEPflEElEEEE10hipError_tPvRmT1_T2_T3_mT4_P12ihipStream_tbEUlT_E1_NS1_11comp_targetILNS1_3genE10ELNS1_11target_archE1200ELNS1_3gpuE4ELNS1_3repE0EEENS1_30default_config_static_selectorELNS0_4arch9wavefront6targetE0EEEvSM_
	.globl	_ZN7rocprim17ROCPRIM_400000_NS6detail17trampoline_kernelINS0_14default_configENS1_22reduce_config_selectorIlEEZNS1_11reduce_implILb1ES3_PlS7_lN6hipcub16HIPCUB_304000_NS6detail34convert_binary_result_type_wrapperINS9_3SumENS9_22TransformInputIteratorIb7NonZeroIfEPflEElEEEE10hipError_tPvRmT1_T2_T3_mT4_P12ihipStream_tbEUlT_E1_NS1_11comp_targetILNS1_3genE10ELNS1_11target_archE1200ELNS1_3gpuE4ELNS1_3repE0EEENS1_30default_config_static_selectorELNS0_4arch9wavefront6targetE0EEEvSM_
	.p2align	8
	.type	_ZN7rocprim17ROCPRIM_400000_NS6detail17trampoline_kernelINS0_14default_configENS1_22reduce_config_selectorIlEEZNS1_11reduce_implILb1ES3_PlS7_lN6hipcub16HIPCUB_304000_NS6detail34convert_binary_result_type_wrapperINS9_3SumENS9_22TransformInputIteratorIb7NonZeroIfEPflEElEEEE10hipError_tPvRmT1_T2_T3_mT4_P12ihipStream_tbEUlT_E1_NS1_11comp_targetILNS1_3genE10ELNS1_11target_archE1200ELNS1_3gpuE4ELNS1_3repE0EEENS1_30default_config_static_selectorELNS0_4arch9wavefront6targetE0EEEvSM_,@function
_ZN7rocprim17ROCPRIM_400000_NS6detail17trampoline_kernelINS0_14default_configENS1_22reduce_config_selectorIlEEZNS1_11reduce_implILb1ES3_PlS7_lN6hipcub16HIPCUB_304000_NS6detail34convert_binary_result_type_wrapperINS9_3SumENS9_22TransformInputIteratorIb7NonZeroIfEPflEElEEEE10hipError_tPvRmT1_T2_T3_mT4_P12ihipStream_tbEUlT_E1_NS1_11comp_targetILNS1_3genE10ELNS1_11target_archE1200ELNS1_3gpuE4ELNS1_3repE0EEENS1_30default_config_static_selectorELNS0_4arch9wavefront6targetE0EEEvSM_: ; @_ZN7rocprim17ROCPRIM_400000_NS6detail17trampoline_kernelINS0_14default_configENS1_22reduce_config_selectorIlEEZNS1_11reduce_implILb1ES3_PlS7_lN6hipcub16HIPCUB_304000_NS6detail34convert_binary_result_type_wrapperINS9_3SumENS9_22TransformInputIteratorIb7NonZeroIfEPflEElEEEE10hipError_tPvRmT1_T2_T3_mT4_P12ihipStream_tbEUlT_E1_NS1_11comp_targetILNS1_3genE10ELNS1_11target_archE1200ELNS1_3gpuE4ELNS1_3repE0EEENS1_30default_config_static_selectorELNS0_4arch9wavefront6targetE0EEEvSM_
; %bb.0:
	.section	.rodata,"a",@progbits
	.p2align	6, 0x0
	.amdhsa_kernel _ZN7rocprim17ROCPRIM_400000_NS6detail17trampoline_kernelINS0_14default_configENS1_22reduce_config_selectorIlEEZNS1_11reduce_implILb1ES3_PlS7_lN6hipcub16HIPCUB_304000_NS6detail34convert_binary_result_type_wrapperINS9_3SumENS9_22TransformInputIteratorIb7NonZeroIfEPflEElEEEE10hipError_tPvRmT1_T2_T3_mT4_P12ihipStream_tbEUlT_E1_NS1_11comp_targetILNS1_3genE10ELNS1_11target_archE1200ELNS1_3gpuE4ELNS1_3repE0EEENS1_30default_config_static_selectorELNS0_4arch9wavefront6targetE0EEEvSM_
		.amdhsa_group_segment_fixed_size 0
		.amdhsa_private_segment_fixed_size 0
		.amdhsa_kernarg_size 48
		.amdhsa_user_sgpr_count 15
		.amdhsa_user_sgpr_dispatch_ptr 0
		.amdhsa_user_sgpr_queue_ptr 0
		.amdhsa_user_sgpr_kernarg_segment_ptr 1
		.amdhsa_user_sgpr_dispatch_id 0
		.amdhsa_user_sgpr_private_segment_size 0
		.amdhsa_wavefront_size32 1
		.amdhsa_uses_dynamic_stack 0
		.amdhsa_enable_private_segment 0
		.amdhsa_system_sgpr_workgroup_id_x 1
		.amdhsa_system_sgpr_workgroup_id_y 0
		.amdhsa_system_sgpr_workgroup_id_z 0
		.amdhsa_system_sgpr_workgroup_info 0
		.amdhsa_system_vgpr_workitem_id 0
		.amdhsa_next_free_vgpr 1
		.amdhsa_next_free_sgpr 1
		.amdhsa_reserve_vcc 0
		.amdhsa_float_round_mode_32 0
		.amdhsa_float_round_mode_16_64 0
		.amdhsa_float_denorm_mode_32 3
		.amdhsa_float_denorm_mode_16_64 3
		.amdhsa_dx10_clamp 1
		.amdhsa_ieee_mode 1
		.amdhsa_fp16_overflow 0
		.amdhsa_workgroup_processor_mode 1
		.amdhsa_memory_ordered 1
		.amdhsa_forward_progress 0
		.amdhsa_shared_vgpr_count 0
		.amdhsa_exception_fp_ieee_invalid_op 0
		.amdhsa_exception_fp_denorm_src 0
		.amdhsa_exception_fp_ieee_div_zero 0
		.amdhsa_exception_fp_ieee_overflow 0
		.amdhsa_exception_fp_ieee_underflow 0
		.amdhsa_exception_fp_ieee_inexact 0
		.amdhsa_exception_int_div_zero 0
	.end_amdhsa_kernel
	.section	.text._ZN7rocprim17ROCPRIM_400000_NS6detail17trampoline_kernelINS0_14default_configENS1_22reduce_config_selectorIlEEZNS1_11reduce_implILb1ES3_PlS7_lN6hipcub16HIPCUB_304000_NS6detail34convert_binary_result_type_wrapperINS9_3SumENS9_22TransformInputIteratorIb7NonZeroIfEPflEElEEEE10hipError_tPvRmT1_T2_T3_mT4_P12ihipStream_tbEUlT_E1_NS1_11comp_targetILNS1_3genE10ELNS1_11target_archE1200ELNS1_3gpuE4ELNS1_3repE0EEENS1_30default_config_static_selectorELNS0_4arch9wavefront6targetE0EEEvSM_,"axG",@progbits,_ZN7rocprim17ROCPRIM_400000_NS6detail17trampoline_kernelINS0_14default_configENS1_22reduce_config_selectorIlEEZNS1_11reduce_implILb1ES3_PlS7_lN6hipcub16HIPCUB_304000_NS6detail34convert_binary_result_type_wrapperINS9_3SumENS9_22TransformInputIteratorIb7NonZeroIfEPflEElEEEE10hipError_tPvRmT1_T2_T3_mT4_P12ihipStream_tbEUlT_E1_NS1_11comp_targetILNS1_3genE10ELNS1_11target_archE1200ELNS1_3gpuE4ELNS1_3repE0EEENS1_30default_config_static_selectorELNS0_4arch9wavefront6targetE0EEEvSM_,comdat
.Lfunc_end232:
	.size	_ZN7rocprim17ROCPRIM_400000_NS6detail17trampoline_kernelINS0_14default_configENS1_22reduce_config_selectorIlEEZNS1_11reduce_implILb1ES3_PlS7_lN6hipcub16HIPCUB_304000_NS6detail34convert_binary_result_type_wrapperINS9_3SumENS9_22TransformInputIteratorIb7NonZeroIfEPflEElEEEE10hipError_tPvRmT1_T2_T3_mT4_P12ihipStream_tbEUlT_E1_NS1_11comp_targetILNS1_3genE10ELNS1_11target_archE1200ELNS1_3gpuE4ELNS1_3repE0EEENS1_30default_config_static_selectorELNS0_4arch9wavefront6targetE0EEEvSM_, .Lfunc_end232-_ZN7rocprim17ROCPRIM_400000_NS6detail17trampoline_kernelINS0_14default_configENS1_22reduce_config_selectorIlEEZNS1_11reduce_implILb1ES3_PlS7_lN6hipcub16HIPCUB_304000_NS6detail34convert_binary_result_type_wrapperINS9_3SumENS9_22TransformInputIteratorIb7NonZeroIfEPflEElEEEE10hipError_tPvRmT1_T2_T3_mT4_P12ihipStream_tbEUlT_E1_NS1_11comp_targetILNS1_3genE10ELNS1_11target_archE1200ELNS1_3gpuE4ELNS1_3repE0EEENS1_30default_config_static_selectorELNS0_4arch9wavefront6targetE0EEEvSM_
                                        ; -- End function
	.section	.AMDGPU.csdata,"",@progbits
; Kernel info:
; codeLenInByte = 0
; NumSgprs: 0
; NumVgprs: 0
; ScratchSize: 0
; MemoryBound: 0
; FloatMode: 240
; IeeeMode: 1
; LDSByteSize: 0 bytes/workgroup (compile time only)
; SGPRBlocks: 0
; VGPRBlocks: 0
; NumSGPRsForWavesPerEU: 1
; NumVGPRsForWavesPerEU: 1
; Occupancy: 16
; WaveLimiterHint : 0
; COMPUTE_PGM_RSRC2:SCRATCH_EN: 0
; COMPUTE_PGM_RSRC2:USER_SGPR: 15
; COMPUTE_PGM_RSRC2:TRAP_HANDLER: 0
; COMPUTE_PGM_RSRC2:TGID_X_EN: 1
; COMPUTE_PGM_RSRC2:TGID_Y_EN: 0
; COMPUTE_PGM_RSRC2:TGID_Z_EN: 0
; COMPUTE_PGM_RSRC2:TIDIG_COMP_CNT: 0
	.section	.text._ZN7rocprim17ROCPRIM_400000_NS6detail17trampoline_kernelINS0_14default_configENS1_22reduce_config_selectorIlEEZNS1_11reduce_implILb1ES3_PlS7_lN6hipcub16HIPCUB_304000_NS6detail34convert_binary_result_type_wrapperINS9_3SumENS9_22TransformInputIteratorIb7NonZeroIfEPflEElEEEE10hipError_tPvRmT1_T2_T3_mT4_P12ihipStream_tbEUlT_E1_NS1_11comp_targetILNS1_3genE9ELNS1_11target_archE1100ELNS1_3gpuE3ELNS1_3repE0EEENS1_30default_config_static_selectorELNS0_4arch9wavefront6targetE0EEEvSM_,"axG",@progbits,_ZN7rocprim17ROCPRIM_400000_NS6detail17trampoline_kernelINS0_14default_configENS1_22reduce_config_selectorIlEEZNS1_11reduce_implILb1ES3_PlS7_lN6hipcub16HIPCUB_304000_NS6detail34convert_binary_result_type_wrapperINS9_3SumENS9_22TransformInputIteratorIb7NonZeroIfEPflEElEEEE10hipError_tPvRmT1_T2_T3_mT4_P12ihipStream_tbEUlT_E1_NS1_11comp_targetILNS1_3genE9ELNS1_11target_archE1100ELNS1_3gpuE3ELNS1_3repE0EEENS1_30default_config_static_selectorELNS0_4arch9wavefront6targetE0EEEvSM_,comdat
	.protected	_ZN7rocprim17ROCPRIM_400000_NS6detail17trampoline_kernelINS0_14default_configENS1_22reduce_config_selectorIlEEZNS1_11reduce_implILb1ES3_PlS7_lN6hipcub16HIPCUB_304000_NS6detail34convert_binary_result_type_wrapperINS9_3SumENS9_22TransformInputIteratorIb7NonZeroIfEPflEElEEEE10hipError_tPvRmT1_T2_T3_mT4_P12ihipStream_tbEUlT_E1_NS1_11comp_targetILNS1_3genE9ELNS1_11target_archE1100ELNS1_3gpuE3ELNS1_3repE0EEENS1_30default_config_static_selectorELNS0_4arch9wavefront6targetE0EEEvSM_ ; -- Begin function _ZN7rocprim17ROCPRIM_400000_NS6detail17trampoline_kernelINS0_14default_configENS1_22reduce_config_selectorIlEEZNS1_11reduce_implILb1ES3_PlS7_lN6hipcub16HIPCUB_304000_NS6detail34convert_binary_result_type_wrapperINS9_3SumENS9_22TransformInputIteratorIb7NonZeroIfEPflEElEEEE10hipError_tPvRmT1_T2_T3_mT4_P12ihipStream_tbEUlT_E1_NS1_11comp_targetILNS1_3genE9ELNS1_11target_archE1100ELNS1_3gpuE3ELNS1_3repE0EEENS1_30default_config_static_selectorELNS0_4arch9wavefront6targetE0EEEvSM_
	.globl	_ZN7rocprim17ROCPRIM_400000_NS6detail17trampoline_kernelINS0_14default_configENS1_22reduce_config_selectorIlEEZNS1_11reduce_implILb1ES3_PlS7_lN6hipcub16HIPCUB_304000_NS6detail34convert_binary_result_type_wrapperINS9_3SumENS9_22TransformInputIteratorIb7NonZeroIfEPflEElEEEE10hipError_tPvRmT1_T2_T3_mT4_P12ihipStream_tbEUlT_E1_NS1_11comp_targetILNS1_3genE9ELNS1_11target_archE1100ELNS1_3gpuE3ELNS1_3repE0EEENS1_30default_config_static_selectorELNS0_4arch9wavefront6targetE0EEEvSM_
	.p2align	8
	.type	_ZN7rocprim17ROCPRIM_400000_NS6detail17trampoline_kernelINS0_14default_configENS1_22reduce_config_selectorIlEEZNS1_11reduce_implILb1ES3_PlS7_lN6hipcub16HIPCUB_304000_NS6detail34convert_binary_result_type_wrapperINS9_3SumENS9_22TransformInputIteratorIb7NonZeroIfEPflEElEEEE10hipError_tPvRmT1_T2_T3_mT4_P12ihipStream_tbEUlT_E1_NS1_11comp_targetILNS1_3genE9ELNS1_11target_archE1100ELNS1_3gpuE3ELNS1_3repE0EEENS1_30default_config_static_selectorELNS0_4arch9wavefront6targetE0EEEvSM_,@function
_ZN7rocprim17ROCPRIM_400000_NS6detail17trampoline_kernelINS0_14default_configENS1_22reduce_config_selectorIlEEZNS1_11reduce_implILb1ES3_PlS7_lN6hipcub16HIPCUB_304000_NS6detail34convert_binary_result_type_wrapperINS9_3SumENS9_22TransformInputIteratorIb7NonZeroIfEPflEElEEEE10hipError_tPvRmT1_T2_T3_mT4_P12ihipStream_tbEUlT_E1_NS1_11comp_targetILNS1_3genE9ELNS1_11target_archE1100ELNS1_3gpuE3ELNS1_3repE0EEENS1_30default_config_static_selectorELNS0_4arch9wavefront6targetE0EEEvSM_: ; @_ZN7rocprim17ROCPRIM_400000_NS6detail17trampoline_kernelINS0_14default_configENS1_22reduce_config_selectorIlEEZNS1_11reduce_implILb1ES3_PlS7_lN6hipcub16HIPCUB_304000_NS6detail34convert_binary_result_type_wrapperINS9_3SumENS9_22TransformInputIteratorIb7NonZeroIfEPflEElEEEE10hipError_tPvRmT1_T2_T3_mT4_P12ihipStream_tbEUlT_E1_NS1_11comp_targetILNS1_3genE9ELNS1_11target_archE1100ELNS1_3gpuE3ELNS1_3repE0EEENS1_30default_config_static_selectorELNS0_4arch9wavefront6targetE0EEEvSM_
; %bb.0:
	s_clause 0x1
	s_load_b32 s26, s[0:1], 0x4
	s_load_b256 s[16:23], s[0:1], 0x8
	s_mov_b32 s14, s15
	s_waitcnt lgkmcnt(0)
	s_cmp_lt_i32 s26, 4
	s_cbranch_scc1 .LBB233_11
; %bb.1:
	s_cmp_gt_i32 s26, 7
	s_cbranch_scc0 .LBB233_12
; %bb.2:
	s_cmp_gt_i32 s26, 15
	s_cbranch_scc0 .LBB233_13
; %bb.3:
	s_mov_b32 s27, 0
	s_cmp_eq_u32 s26, 16
	s_mov_b32 s0, 0
                                        ; implicit-def: $vgpr1_vgpr2
	s_cbranch_scc0 .LBB233_14
; %bb.4:
	s_mov_b32 s15, 0
	s_lshl_b32 s0, s14, 12
	s_mov_b32 s1, s15
	s_lshr_b64 s[4:5], s[18:19], 12
	s_lshl_b64 s[2:3], s[0:1], 3
	s_delay_alu instid0(SALU_CYCLE_1)
	s_add_u32 s24, s16, s2
	s_addc_u32 s25, s17, s3
	s_cmp_lg_u64 s[4:5], s[14:15]
	s_cbranch_scc0 .LBB233_22
; %bb.5:
	v_lshlrev_b32_e32 v3, 3, v0
	s_delay_alu instid0(VALU_DEP_1) | instskip(NEXT) | instid1(VALU_DEP_1)
	v_add_co_u32 v29, s1, s24, v3
	v_add_co_ci_u32_e64 v30, null, s25, 0, s1
	s_clause 0x1
	global_load_b64 v[1:2], v3, s[24:25]
	global_load_b64 v[3:4], v3, s[24:25] offset:2048
	v_add_co_u32 v5, vcc_lo, v29, 0x2000
	v_add_co_ci_u32_e32 v6, vcc_lo, 0, v30, vcc_lo
	v_add_co_u32 v7, vcc_lo, 0x1000, v29
	v_add_co_ci_u32_e32 v8, vcc_lo, 0, v30, vcc_lo
	v_add_co_u32 v11, vcc_lo, 0x2000, v29
	s_clause 0x1
	global_load_b64 v[9:10], v[5:6], off offset:-4096
	global_load_b64 v[7:8], v[7:8], off offset:2048
	v_add_co_ci_u32_e32 v12, vcc_lo, 0, v30, vcc_lo
	global_load_b64 v[5:6], v[5:6], off
	v_add_co_u32 v13, vcc_lo, v29, 0x4000
	global_load_b64 v[11:12], v[11:12], off offset:2048
	v_add_co_ci_u32_e32 v14, vcc_lo, 0, v30, vcc_lo
	v_add_co_u32 v15, vcc_lo, 0x3000, v29
	v_add_co_ci_u32_e32 v16, vcc_lo, 0, v30, vcc_lo
	s_clause 0x1
	global_load_b64 v[17:18], v[13:14], off offset:-4096
	global_load_b64 v[15:16], v[15:16], off offset:2048
	v_add_co_u32 v19, vcc_lo, 0x4000, v29
	v_add_co_ci_u32_e32 v20, vcc_lo, 0, v30, vcc_lo
	global_load_b64 v[13:14], v[13:14], off
	v_add_co_u32 v21, vcc_lo, v29, 0x6000
	global_load_b64 v[19:20], v[19:20], off offset:2048
	v_add_co_ci_u32_e32 v22, vcc_lo, 0, v30, vcc_lo
	v_add_co_u32 v23, vcc_lo, 0x5000, v29
	v_add_co_ci_u32_e32 v24, vcc_lo, 0, v30, vcc_lo
	s_clause 0x1
	global_load_b64 v[25:26], v[21:22], off offset:-4096
	global_load_b64 v[23:24], v[23:24], off offset:2048
	v_add_co_u32 v27, vcc_lo, 0x6000, v29
	v_add_co_ci_u32_e32 v28, vcc_lo, 0, v30, vcc_lo
	global_load_b64 v[21:22], v[21:22], off
	v_add_co_u32 v29, vcc_lo, 0x7000, v29
	v_add_co_ci_u32_e32 v30, vcc_lo, 0, v30, vcc_lo
	s_clause 0x2
	global_load_b64 v[27:28], v[27:28], off offset:2048
	global_load_b64 v[31:32], v[29:30], off
	global_load_b64 v[29:30], v[29:30], off offset:2048
	s_mov_b32 s1, exec_lo
	s_waitcnt vmcnt(14)
	v_add_co_u32 v1, vcc_lo, v3, v1
	v_add_co_ci_u32_e32 v2, vcc_lo, v4, v2, vcc_lo
	s_waitcnt vmcnt(13)
	s_delay_alu instid0(VALU_DEP_2) | instskip(NEXT) | instid1(VALU_DEP_2)
	v_add_co_u32 v1, vcc_lo, v1, v9
	v_add_co_ci_u32_e32 v2, vcc_lo, v2, v10, vcc_lo
	s_waitcnt vmcnt(12)
	s_delay_alu instid0(VALU_DEP_2) | instskip(NEXT) | instid1(VALU_DEP_2)
	;; [unrolled: 4-line block ×14, first 2 shown]
	v_add_co_u32 v1, vcc_lo, v1, v29
	v_add_co_ci_u32_e32 v2, vcc_lo, v2, v30, vcc_lo
	s_delay_alu instid0(VALU_DEP_2) | instskip(NEXT) | instid1(VALU_DEP_1)
	v_mov_b32_dpp v3, v1 quad_perm:[1,0,3,2] row_mask:0xf bank_mask:0xf
	v_add_co_u32 v1, vcc_lo, v1, v3
	s_delay_alu instid0(VALU_DEP_3) | instskip(SKIP_1) | instid1(VALU_DEP_3)
	v_mov_b32_dpp v3, v2 quad_perm:[1,0,3,2] row_mask:0xf bank_mask:0xf
	v_add_co_ci_u32_e32 v2, vcc_lo, 0, v2, vcc_lo
	v_mov_b32_dpp v4, v1 quad_perm:[2,3,0,1] row_mask:0xf bank_mask:0xf
	v_add_co_u32 v1, vcc_lo, 0, v1
	s_delay_alu instid0(VALU_DEP_3) | instskip(NEXT) | instid1(VALU_DEP_2)
	v_add_co_ci_u32_e32 v2, vcc_lo, v3, v2, vcc_lo
	v_add_co_u32 v1, vcc_lo, v1, v4
	s_delay_alu instid0(VALU_DEP_2) | instskip(SKIP_1) | instid1(VALU_DEP_3)
	v_mov_b32_dpp v3, v2 quad_perm:[2,3,0,1] row_mask:0xf bank_mask:0xf
	v_add_co_ci_u32_e32 v2, vcc_lo, 0, v2, vcc_lo
	v_mov_b32_dpp v4, v1 row_ror:4 row_mask:0xf bank_mask:0xf
	v_add_co_u32 v1, vcc_lo, v1, 0
	s_delay_alu instid0(VALU_DEP_3) | instskip(NEXT) | instid1(VALU_DEP_2)
	v_add_co_ci_u32_e32 v2, vcc_lo, v2, v3, vcc_lo
	v_add_co_u32 v1, vcc_lo, v1, v4
	s_delay_alu instid0(VALU_DEP_2) | instskip(SKIP_1) | instid1(VALU_DEP_3)
	v_mov_b32_dpp v3, v2 row_ror:4 row_mask:0xf bank_mask:0xf
	v_add_co_ci_u32_e32 v2, vcc_lo, 0, v2, vcc_lo
	v_mov_b32_dpp v4, v1 row_ror:8 row_mask:0xf bank_mask:0xf
	v_add_co_u32 v1, vcc_lo, v1, 0
	s_delay_alu instid0(VALU_DEP_3) | instskip(NEXT) | instid1(VALU_DEP_2)
	v_add_co_ci_u32_e32 v2, vcc_lo, v2, v3, vcc_lo
	v_add_co_u32 v1, vcc_lo, v1, v4
	s_delay_alu instid0(VALU_DEP_2)
	v_mov_b32_dpp v3, v2 row_ror:8 row_mask:0xf bank_mask:0xf
	v_add_co_ci_u32_e32 v2, vcc_lo, 0, v2, vcc_lo
	ds_swizzle_b32 v4, v1 offset:swizzle(BROADCAST,32,15)
	v_add_co_u32 v1, vcc_lo, v1, 0
	v_add_co_ci_u32_e32 v2, vcc_lo, v2, v3, vcc_lo
	ds_swizzle_b32 v3, v2 offset:swizzle(BROADCAST,32,15)
	s_waitcnt lgkmcnt(1)
	v_add_co_u32 v1, vcc_lo, v1, v4
	v_add_co_ci_u32_e32 v2, vcc_lo, 0, v2, vcc_lo
	v_mov_b32_e32 v4, 0
	s_waitcnt lgkmcnt(0)
	s_delay_alu instid0(VALU_DEP_2)
	v_add_nc_u32_e32 v2, v3, v2
	ds_bpermute_b32 v1, v4, v1 offset:124
	v_mbcnt_lo_u32_b32 v3, -1, 0
	ds_bpermute_b32 v2, v4, v2 offset:124
	v_cmpx_eq_u32_e32 0, v3
	s_cbranch_execz .LBB233_7
; %bb.6:
	v_lshrrev_b32_e32 v4, 2, v0
	s_delay_alu instid0(VALU_DEP_1)
	v_and_b32_e32 v4, 56, v4
	s_waitcnt lgkmcnt(0)
	ds_store_b64 v4, v[1:2]
.LBB233_7:
	s_or_b32 exec_lo, exec_lo, s1
	s_delay_alu instid0(SALU_CYCLE_1)
	s_mov_b32 s1, exec_lo
	s_waitcnt lgkmcnt(0)
	s_barrier
	buffer_gl0_inv
	v_cmpx_gt_u32_e32 32, v0
	s_cbranch_execz .LBB233_9
; %bb.8:
	v_and_b32_e32 v4, 7, v3
	s_delay_alu instid0(VALU_DEP_1) | instskip(SKIP_4) | instid1(VALU_DEP_2)
	v_lshlrev_b32_e32 v1, 3, v4
	v_cmp_ne_u32_e32 vcc_lo, 7, v4
	ds_load_b64 v[1:2], v1
	v_add_co_ci_u32_e32 v5, vcc_lo, 0, v3, vcc_lo
	v_cmp_gt_u32_e32 vcc_lo, 6, v4
	v_lshlrev_b32_e32 v5, 2, v5
	v_cndmask_b32_e64 v7, 0, 1, vcc_lo
	s_delay_alu instid0(VALU_DEP_1) | instskip(NEXT) | instid1(VALU_DEP_1)
	v_lshlrev_b32_e32 v7, 1, v7
	v_add_lshl_u32 v7, v7, v3, 2
	s_waitcnt lgkmcnt(0)
	ds_bpermute_b32 v6, v5, v1
	ds_bpermute_b32 v5, v5, v2
	s_waitcnt lgkmcnt(1)
	v_add_co_u32 v1, vcc_lo, v1, v6
	v_add_co_ci_u32_e32 v2, vcc_lo, 0, v2, vcc_lo
	ds_bpermute_b32 v6, v7, v1
	v_add_co_u32 v1, vcc_lo, 0, v1
	s_waitcnt lgkmcnt(1)
	v_add_co_ci_u32_e32 v2, vcc_lo, v5, v2, vcc_lo
	v_cmp_gt_u32_e32 vcc_lo, 4, v4
	ds_bpermute_b32 v5, v7, v2
	v_cndmask_b32_e64 v4, 0, 1, vcc_lo
	s_delay_alu instid0(VALU_DEP_1) | instskip(NEXT) | instid1(VALU_DEP_1)
	v_lshlrev_b32_e32 v4, 2, v4
	v_add_lshl_u32 v3, v4, v3, 2
	s_waitcnt lgkmcnt(1)
	v_add_co_u32 v1, vcc_lo, v1, v6
	v_add_co_ci_u32_e32 v2, vcc_lo, 0, v2, vcc_lo
	ds_bpermute_b32 v4, v3, v1
	v_add_co_u32 v1, vcc_lo, v1, 0
	s_waitcnt lgkmcnt(1)
	v_add_co_ci_u32_e32 v2, vcc_lo, v2, v5, vcc_lo
	ds_bpermute_b32 v3, v3, v2
	s_waitcnt lgkmcnt(1)
	v_add_co_u32 v1, vcc_lo, v1, v4
	v_add_co_ci_u32_e32 v2, vcc_lo, 0, v2, vcc_lo
	s_delay_alu instid0(VALU_DEP_2) | instskip(SKIP_1) | instid1(VALU_DEP_2)
	v_add_co_u32 v1, vcc_lo, v1, 0
	s_waitcnt lgkmcnt(0)
	v_add_co_ci_u32_e32 v2, vcc_lo, v2, v3, vcc_lo
.LBB233_9:
	s_or_b32 exec_lo, exec_lo, s1
.LBB233_10:
	v_cmp_eq_u32_e64 s0, 0, v0
	s_and_b32 vcc_lo, exec_lo, s27
	s_cbranch_vccnz .LBB233_15
	s_branch .LBB233_116
.LBB233_11:
	s_mov_b32 s0, 0
                                        ; implicit-def: $vgpr1_vgpr2
	s_cbranch_execnz .LBB233_156
	s_branch .LBB233_201
.LBB233_12:
	s_mov_b32 s0, 0
                                        ; implicit-def: $vgpr1_vgpr2
	s_cbranch_execnz .LBB233_117
	s_branch .LBB233_155
.LBB233_13:
	s_mov_b32 s27, -1
	s_mov_b32 s0, 0
                                        ; implicit-def: $vgpr1_vgpr2
.LBB233_14:
	s_and_b32 vcc_lo, exec_lo, s27
	s_cbranch_vccz .LBB233_116
.LBB233_15:
	s_cmp_eq_u32 s26, 8
                                        ; implicit-def: $vgpr1_vgpr2
	s_cbranch_scc0 .LBB233_116
; %bb.16:
	s_mov_b32 s15, 0
	s_lshl_b32 s0, s14, 11
	s_mov_b32 s1, s15
	s_lshr_b64 s[4:5], s[18:19], 11
	s_lshl_b64 s[2:3], s[0:1], 3
	s_delay_alu instid0(SALU_CYCLE_1)
	s_add_u32 s6, s16, s2
	s_addc_u32 s7, s17, s3
	s_cmp_lg_u64 s[4:5], s[14:15]
	s_cbranch_scc0 .LBB233_76
; %bb.17:
	s_waitcnt lgkmcnt(0)
	v_lshlrev_b32_e32 v3, 3, v0
	s_delay_alu instid0(VALU_DEP_1) | instskip(NEXT) | instid1(VALU_DEP_1)
	v_add_co_u32 v13, s1, s6, v3
	v_add_co_ci_u32_e64 v14, null, s7, 0, s1
	s_clause 0x1
	global_load_b64 v[1:2], v3, s[6:7]
	global_load_b64 v[3:4], v3, s[6:7] offset:2048
	v_add_co_u32 v5, vcc_lo, v13, 0x2000
	v_add_co_ci_u32_e32 v6, vcc_lo, 0, v14, vcc_lo
	v_add_co_u32 v7, vcc_lo, 0x1000, v13
	v_add_co_ci_u32_e32 v8, vcc_lo, 0, v14, vcc_lo
	v_add_co_u32 v11, vcc_lo, 0x2000, v13
	s_clause 0x1
	global_load_b64 v[9:10], v[5:6], off offset:-4096
	global_load_b64 v[7:8], v[7:8], off offset:2048
	v_add_co_ci_u32_e32 v12, vcc_lo, 0, v14, vcc_lo
	global_load_b64 v[5:6], v[5:6], off
	v_add_co_u32 v13, vcc_lo, 0x3000, v13
	v_add_co_ci_u32_e32 v14, vcc_lo, 0, v14, vcc_lo
	s_clause 0x2
	global_load_b64 v[11:12], v[11:12], off offset:2048
	global_load_b64 v[15:16], v[13:14], off
	global_load_b64 v[13:14], v[13:14], off offset:2048
	s_mov_b32 s1, exec_lo
	s_waitcnt vmcnt(6)
	v_add_co_u32 v1, vcc_lo, v3, v1
	v_add_co_ci_u32_e32 v2, vcc_lo, v4, v2, vcc_lo
	s_waitcnt vmcnt(5)
	s_delay_alu instid0(VALU_DEP_2) | instskip(NEXT) | instid1(VALU_DEP_2)
	v_add_co_u32 v1, vcc_lo, v1, v9
	v_add_co_ci_u32_e32 v2, vcc_lo, v2, v10, vcc_lo
	s_waitcnt vmcnt(4)
	s_delay_alu instid0(VALU_DEP_2) | instskip(NEXT) | instid1(VALU_DEP_2)
	;; [unrolled: 4-line block ×6, first 2 shown]
	v_add_co_u32 v1, vcc_lo, v1, v13
	v_add_co_ci_u32_e32 v2, vcc_lo, v2, v14, vcc_lo
	s_delay_alu instid0(VALU_DEP_2) | instskip(NEXT) | instid1(VALU_DEP_1)
	v_mov_b32_dpp v3, v1 quad_perm:[1,0,3,2] row_mask:0xf bank_mask:0xf
	v_add_co_u32 v1, vcc_lo, v1, v3
	s_delay_alu instid0(VALU_DEP_3) | instskip(SKIP_1) | instid1(VALU_DEP_3)
	v_mov_b32_dpp v3, v2 quad_perm:[1,0,3,2] row_mask:0xf bank_mask:0xf
	v_add_co_ci_u32_e32 v2, vcc_lo, 0, v2, vcc_lo
	v_mov_b32_dpp v4, v1 quad_perm:[2,3,0,1] row_mask:0xf bank_mask:0xf
	v_add_co_u32 v1, vcc_lo, 0, v1
	s_delay_alu instid0(VALU_DEP_3) | instskip(NEXT) | instid1(VALU_DEP_2)
	v_add_co_ci_u32_e32 v2, vcc_lo, v3, v2, vcc_lo
	v_add_co_u32 v1, vcc_lo, v1, v4
	s_delay_alu instid0(VALU_DEP_2) | instskip(SKIP_1) | instid1(VALU_DEP_3)
	v_mov_b32_dpp v3, v2 quad_perm:[2,3,0,1] row_mask:0xf bank_mask:0xf
	v_add_co_ci_u32_e32 v2, vcc_lo, 0, v2, vcc_lo
	v_mov_b32_dpp v4, v1 row_ror:4 row_mask:0xf bank_mask:0xf
	v_add_co_u32 v1, vcc_lo, v1, 0
	s_delay_alu instid0(VALU_DEP_3) | instskip(NEXT) | instid1(VALU_DEP_2)
	v_add_co_ci_u32_e32 v2, vcc_lo, v2, v3, vcc_lo
	v_add_co_u32 v1, vcc_lo, v1, v4
	s_delay_alu instid0(VALU_DEP_2) | instskip(SKIP_1) | instid1(VALU_DEP_3)
	v_mov_b32_dpp v3, v2 row_ror:4 row_mask:0xf bank_mask:0xf
	v_add_co_ci_u32_e32 v2, vcc_lo, 0, v2, vcc_lo
	v_mov_b32_dpp v4, v1 row_ror:8 row_mask:0xf bank_mask:0xf
	v_add_co_u32 v1, vcc_lo, v1, 0
	s_delay_alu instid0(VALU_DEP_3) | instskip(NEXT) | instid1(VALU_DEP_2)
	v_add_co_ci_u32_e32 v2, vcc_lo, v2, v3, vcc_lo
	v_add_co_u32 v1, vcc_lo, v1, v4
	s_delay_alu instid0(VALU_DEP_2)
	v_mov_b32_dpp v3, v2 row_ror:8 row_mask:0xf bank_mask:0xf
	v_add_co_ci_u32_e32 v2, vcc_lo, 0, v2, vcc_lo
	ds_swizzle_b32 v4, v1 offset:swizzle(BROADCAST,32,15)
	v_add_co_u32 v1, vcc_lo, v1, 0
	v_add_co_ci_u32_e32 v2, vcc_lo, v2, v3, vcc_lo
	ds_swizzle_b32 v3, v2 offset:swizzle(BROADCAST,32,15)
	s_waitcnt lgkmcnt(1)
	v_add_co_u32 v1, vcc_lo, v1, v4
	v_mov_b32_e32 v4, 0
	v_add_co_ci_u32_e32 v2, vcc_lo, 0, v2, vcc_lo
	ds_bpermute_b32 v1, v4, v1 offset:124
	s_waitcnt lgkmcnt(1)
	v_add_nc_u32_e32 v2, v3, v2
	v_mbcnt_lo_u32_b32 v3, -1, 0
	ds_bpermute_b32 v2, v4, v2 offset:124
	v_cmpx_eq_u32_e32 0, v3
	s_cbranch_execz .LBB233_19
; %bb.18:
	v_lshrrev_b32_e32 v4, 2, v0
	s_delay_alu instid0(VALU_DEP_1)
	v_and_b32_e32 v4, 56, v4
	s_waitcnt lgkmcnt(0)
	ds_store_b64 v4, v[1:2] offset:256
.LBB233_19:
	s_or_b32 exec_lo, exec_lo, s1
	s_delay_alu instid0(SALU_CYCLE_1)
	s_mov_b32 s1, exec_lo
	s_waitcnt lgkmcnt(0)
	s_barrier
	buffer_gl0_inv
	v_cmpx_gt_u32_e32 32, v0
	s_cbranch_execz .LBB233_21
; %bb.20:
	v_and_b32_e32 v4, 7, v3
	s_delay_alu instid0(VALU_DEP_1) | instskip(SKIP_4) | instid1(VALU_DEP_2)
	v_lshlrev_b32_e32 v1, 3, v4
	v_cmp_ne_u32_e32 vcc_lo, 7, v4
	ds_load_b64 v[1:2], v1 offset:256
	v_add_co_ci_u32_e32 v5, vcc_lo, 0, v3, vcc_lo
	v_cmp_gt_u32_e32 vcc_lo, 6, v4
	v_lshlrev_b32_e32 v5, 2, v5
	v_cndmask_b32_e64 v7, 0, 1, vcc_lo
	s_delay_alu instid0(VALU_DEP_1) | instskip(NEXT) | instid1(VALU_DEP_1)
	v_lshlrev_b32_e32 v7, 1, v7
	v_add_lshl_u32 v7, v7, v3, 2
	s_waitcnt lgkmcnt(0)
	ds_bpermute_b32 v6, v5, v1
	ds_bpermute_b32 v5, v5, v2
	s_waitcnt lgkmcnt(1)
	v_add_co_u32 v1, vcc_lo, v1, v6
	v_add_co_ci_u32_e32 v2, vcc_lo, 0, v2, vcc_lo
	ds_bpermute_b32 v6, v7, v1
	v_add_co_u32 v1, vcc_lo, 0, v1
	s_waitcnt lgkmcnt(1)
	v_add_co_ci_u32_e32 v2, vcc_lo, v5, v2, vcc_lo
	v_cmp_gt_u32_e32 vcc_lo, 4, v4
	ds_bpermute_b32 v5, v7, v2
	v_cndmask_b32_e64 v4, 0, 1, vcc_lo
	s_delay_alu instid0(VALU_DEP_1) | instskip(NEXT) | instid1(VALU_DEP_1)
	v_lshlrev_b32_e32 v4, 2, v4
	v_add_lshl_u32 v3, v4, v3, 2
	s_waitcnt lgkmcnt(1)
	v_add_co_u32 v1, vcc_lo, v1, v6
	v_add_co_ci_u32_e32 v2, vcc_lo, 0, v2, vcc_lo
	ds_bpermute_b32 v4, v3, v1
	v_add_co_u32 v1, vcc_lo, v1, 0
	s_waitcnt lgkmcnt(1)
	v_add_co_ci_u32_e32 v2, vcc_lo, v2, v5, vcc_lo
	ds_bpermute_b32 v3, v3, v2
	s_waitcnt lgkmcnt(1)
	v_add_co_u32 v1, vcc_lo, v1, v4
	v_add_co_ci_u32_e32 v2, vcc_lo, 0, v2, vcc_lo
	s_delay_alu instid0(VALU_DEP_2) | instskip(SKIP_1) | instid1(VALU_DEP_2)
	v_add_co_u32 v1, vcc_lo, v1, 0
	s_waitcnt lgkmcnt(0)
	v_add_co_ci_u32_e32 v2, vcc_lo, v2, v3, vcc_lo
.LBB233_21:
	s_or_b32 exec_lo, exec_lo, s1
	s_mov_b32 s1, 0
	s_branch .LBB233_77
.LBB233_22:
                                        ; implicit-def: $vgpr1_vgpr2
	s_cbranch_execz .LBB233_10
; %bb.23:
	s_sub_i32 s28, s18, s0
	s_mov_b32 s0, exec_lo
                                        ; implicit-def: $vgpr1_vgpr2_vgpr3_vgpr4_vgpr5_vgpr6_vgpr7_vgpr8_vgpr9_vgpr10_vgpr11_vgpr12_vgpr13_vgpr14_vgpr15_vgpr16_vgpr17_vgpr18_vgpr19_vgpr20_vgpr21_vgpr22_vgpr23_vgpr24_vgpr25_vgpr26_vgpr27_vgpr28_vgpr29_vgpr30_vgpr31_vgpr32
	v_cmpx_gt_u32_e64 s28, v0
	s_cbranch_execz .LBB233_25
; %bb.24:
	v_lshlrev_b32_e32 v1, 3, v0
	global_load_b64 v[1:2], v1, s[24:25]
.LBB233_25:
	s_or_b32 exec_lo, exec_lo, s0
	v_or_b32_e32 v33, 0x100, v0
	s_delay_alu instid0(VALU_DEP_1)
	v_cmp_gt_u32_e32 vcc_lo, s28, v33
	s_and_saveexec_b32 s0, vcc_lo
	s_cbranch_execz .LBB233_27
; %bb.26:
	v_lshlrev_b32_e32 v3, 3, v0
	global_load_b64 v[3:4], v3, s[24:25] offset:2048
.LBB233_27:
	s_or_b32 exec_lo, exec_lo, s0
	v_or_b32_e32 v33, 0x200, v0
	s_delay_alu instid0(VALU_DEP_1) | instskip(NEXT) | instid1(VALU_DEP_1)
	v_cmp_gt_u32_e64 s0, s28, v33
	s_and_saveexec_b32 s1, s0
	s_cbranch_execz .LBB233_29
; %bb.28:
	v_lshlrev_b32_e32 v5, 3, v33
	global_load_b64 v[5:6], v5, s[24:25]
.LBB233_29:
	s_or_b32 exec_lo, exec_lo, s1
	v_or_b32_e32 v33, 0x300, v0
	s_delay_alu instid0(VALU_DEP_1) | instskip(NEXT) | instid1(VALU_DEP_1)
	v_cmp_gt_u32_e64 s1, s28, v33
	s_and_saveexec_b32 s2, s1
	s_cbranch_execz .LBB233_31
; %bb.30:
	v_lshlrev_b32_e32 v7, 3, v33
	global_load_b64 v[7:8], v7, s[24:25]
.LBB233_31:
	;; [unrolled: 10-line block ×14, first 2 shown]
	s_or_b32 exec_lo, exec_lo, s29
	s_waitcnt vmcnt(0)
	v_dual_cndmask_b32 v3, 0, v3 :: v_dual_cndmask_b32 v4, 0, v4
	v_cndmask_b32_e64 v5, 0, v5, s0
	v_cndmask_b32_e64 v6, 0, v6, s0
	s_min_u32 s0, s28, 0x100
	s_delay_alu instid0(VALU_DEP_3) | instskip(SKIP_2) | instid1(VALU_DEP_3)
	v_add_co_u32 v1, vcc_lo, v3, v1
	v_add_co_ci_u32_e32 v2, vcc_lo, v4, v2, vcc_lo
	v_cndmask_b32_e64 v3, 0, v7, s1
	v_add_co_u32 v1, vcc_lo, v1, v5
	s_delay_alu instid0(VALU_DEP_3) | instskip(SKIP_2) | instid1(VALU_DEP_4)
	v_add_co_ci_u32_e32 v2, vcc_lo, v2, v6, vcc_lo
	v_cndmask_b32_e64 v4, 0, v8, s1
	v_cndmask_b32_e64 v5, 0, v9, s2
	v_add_co_u32 v1, vcc_lo, v1, v3
	v_cndmask_b32_e64 v3, 0, v10, s2
	s_delay_alu instid0(VALU_DEP_4) | instskip(SKIP_1) | instid1(VALU_DEP_4)
	v_add_co_ci_u32_e32 v2, vcc_lo, v2, v4, vcc_lo
	v_cndmask_b32_e64 v4, 0, v11, s3
	v_add_co_u32 v1, vcc_lo, v1, v5
	s_delay_alu instid0(VALU_DEP_3) | instskip(SKIP_2) | instid1(VALU_DEP_4)
	v_add_co_ci_u32_e32 v2, vcc_lo, v2, v3, vcc_lo
	v_cndmask_b32_e64 v3, 0, v12, s3
	v_cndmask_b32_e64 v5, 0, v13, s4
	v_add_co_u32 v1, vcc_lo, v1, v4
	v_cndmask_b32_e64 v4, 0, v15, s5
	s_delay_alu instid0(VALU_DEP_4) | instskip(SKIP_1) | instid1(VALU_DEP_4)
	v_add_co_ci_u32_e32 v2, vcc_lo, v2, v3, vcc_lo
	v_cndmask_b32_e64 v3, 0, v14, s4
	v_add_co_u32 v1, vcc_lo, v1, v5
	v_cndmask_b32_e64 v5, 0, v17, s6
	v_cndmask_b32_e64 v6, 0, v31, s13
	s_delay_alu instid0(VALU_DEP_4) | instskip(SKIP_3) | instid1(VALU_DEP_3)
	v_add_co_ci_u32_e32 v2, vcc_lo, v2, v3, vcc_lo
	v_cndmask_b32_e64 v3, 0, v16, s5
	v_add_co_u32 v1, vcc_lo, v1, v4
	v_cndmask_b32_e64 v4, 0, v19, s7
	v_add_co_ci_u32_e32 v2, vcc_lo, v2, v3, vcc_lo
	v_cndmask_b32_e64 v3, 0, v18, s6
	s_delay_alu instid0(VALU_DEP_4) | instskip(SKIP_1) | instid1(VALU_DEP_3)
	v_add_co_u32 v1, vcc_lo, v1, v5
	v_cndmask_b32_e64 v5, 0, v21, s8
	v_add_co_ci_u32_e32 v2, vcc_lo, v2, v3, vcc_lo
	v_cndmask_b32_e64 v3, 0, v20, s7
	s_delay_alu instid0(VALU_DEP_4) | instskip(SKIP_1) | instid1(VALU_DEP_3)
	;; [unrolled: 5-line block ×5, first 2 shown]
	v_add_co_u32 v1, vcc_lo, v1, v5
	v_cndmask_b32_e64 v5, 0, v28, s11
	v_add_co_ci_u32_e32 v2, vcc_lo, v2, v3, vcc_lo
	v_mbcnt_lo_u32_b32 v3, -1, 0
	s_delay_alu instid0(VALU_DEP_4) | instskip(NEXT) | instid1(VALU_DEP_3)
	v_add_co_u32 v1, vcc_lo, v1, v4
	v_add_co_ci_u32_e32 v2, vcc_lo, v2, v5, vcc_lo
	s_delay_alu instid0(VALU_DEP_3) | instskip(SKIP_3) | instid1(VALU_DEP_3)
	v_cmp_ne_u32_e32 vcc_lo, 31, v3
	v_cndmask_b32_e64 v5, 0, v29, s12
	v_cndmask_b32_e64 v4, 0, v30, s12
	v_add_co_ci_u32_e32 v7, vcc_lo, 0, v3, vcc_lo
	v_add_co_u32 v1, vcc_lo, v1, v5
	s_delay_alu instid0(VALU_DEP_3) | instskip(SKIP_1) | instid1(VALU_DEP_3)
	v_add_co_ci_u32_e32 v2, vcc_lo, v2, v4, vcc_lo
	v_cndmask_b32_e64 v4, 0, v32, s13
	v_add_co_u32 v1, vcc_lo, v1, v6
	v_lshlrev_b32_e32 v5, 2, v7
	s_delay_alu instid0(VALU_DEP_3)
	v_add_co_ci_u32_e32 v2, vcc_lo, v2, v4, vcc_lo
	v_and_b32_e32 v4, 0xe0, v0
	ds_bpermute_b32 v7, v5, v1
	ds_bpermute_b32 v6, v5, v2
	v_add_nc_u32_e32 v5, 1, v3
	v_sub_nc_u32_e64 v4, s0, v4 clamp
	s_delay_alu instid0(VALU_DEP_1)
	v_cmp_lt_u32_e32 vcc_lo, v5, v4
	v_mov_b32_e32 v5, v1
	s_and_saveexec_b32 s1, vcc_lo
	s_cbranch_execz .LBB233_57
; %bb.56:
	s_waitcnt lgkmcnt(1)
	v_add_co_u32 v5, vcc_lo, v1, v7
	v_add_co_ci_u32_e32 v2, vcc_lo, 0, v2, vcc_lo
	s_delay_alu instid0(VALU_DEP_2) | instskip(SKIP_1) | instid1(VALU_DEP_2)
	v_add_co_u32 v1, vcc_lo, v5, 0
	s_waitcnt lgkmcnt(0)
	v_add_co_ci_u32_e32 v2, vcc_lo, v2, v6, vcc_lo
.LBB233_57:
	s_or_b32 exec_lo, exec_lo, s1
	v_cmp_gt_u32_e32 vcc_lo, 30, v3
	v_add_nc_u32_e32 v8, 2, v3
	s_mov_b32 s1, exec_lo
	s_waitcnt lgkmcnt(0)
	v_cndmask_b32_e64 v6, 0, 1, vcc_lo
	s_delay_alu instid0(VALU_DEP_1) | instskip(NEXT) | instid1(VALU_DEP_1)
	v_lshlrev_b32_e32 v6, 1, v6
	v_add_lshl_u32 v6, v6, v3, 2
	ds_bpermute_b32 v7, v6, v5
	ds_bpermute_b32 v6, v6, v2
	v_cmpx_lt_u32_e64 v8, v4
	s_cbranch_execz .LBB233_59
; %bb.58:
	s_waitcnt lgkmcnt(1)
	v_add_co_u32 v5, vcc_lo, v1, v7
	v_add_co_ci_u32_e32 v2, vcc_lo, 0, v2, vcc_lo
	s_delay_alu instid0(VALU_DEP_2) | instskip(SKIP_1) | instid1(VALU_DEP_2)
	v_add_co_u32 v1, vcc_lo, 0, v5
	s_waitcnt lgkmcnt(0)
	v_add_co_ci_u32_e32 v2, vcc_lo, v6, v2, vcc_lo
.LBB233_59:
	s_or_b32 exec_lo, exec_lo, s1
	v_cmp_gt_u32_e32 vcc_lo, 28, v3
	v_add_nc_u32_e32 v8, 4, v3
	s_mov_b32 s1, exec_lo
	s_waitcnt lgkmcnt(0)
	v_cndmask_b32_e64 v6, 0, 1, vcc_lo
	s_delay_alu instid0(VALU_DEP_1) | instskip(NEXT) | instid1(VALU_DEP_1)
	v_lshlrev_b32_e32 v6, 2, v6
	v_add_lshl_u32 v6, v6, v3, 2
	ds_bpermute_b32 v7, v6, v5
	ds_bpermute_b32 v6, v6, v2
	v_cmpx_lt_u32_e64 v8, v4
	s_cbranch_execz .LBB233_61
; %bb.60:
	s_waitcnt lgkmcnt(1)
	v_add_co_u32 v5, vcc_lo, v1, v7
	v_add_co_ci_u32_e32 v2, vcc_lo, 0, v2, vcc_lo
	s_delay_alu instid0(VALU_DEP_2) | instskip(SKIP_1) | instid1(VALU_DEP_2)
	v_add_co_u32 v1, vcc_lo, 0, v5
	s_waitcnt lgkmcnt(0)
	v_add_co_ci_u32_e32 v2, vcc_lo, v6, v2, vcc_lo
.LBB233_61:
	s_or_b32 exec_lo, exec_lo, s1
	v_cmp_gt_u32_e32 vcc_lo, 24, v3
	v_add_nc_u32_e32 v8, 8, v3
	s_mov_b32 s1, exec_lo
	s_waitcnt lgkmcnt(0)
	v_cndmask_b32_e64 v6, 0, 1, vcc_lo
	s_delay_alu instid0(VALU_DEP_1) | instskip(NEXT) | instid1(VALU_DEP_1)
	v_lshlrev_b32_e32 v6, 3, v6
	v_add_lshl_u32 v6, v6, v3, 2
	ds_bpermute_b32 v7, v6, v5
	ds_bpermute_b32 v6, v6, v2
	v_cmpx_lt_u32_e64 v8, v4
	s_cbranch_execz .LBB233_63
; %bb.62:
	s_waitcnt lgkmcnt(1)
	v_add_co_u32 v5, vcc_lo, v1, v7
	v_add_co_ci_u32_e32 v2, vcc_lo, 0, v2, vcc_lo
	s_delay_alu instid0(VALU_DEP_2) | instskip(SKIP_1) | instid1(VALU_DEP_2)
	v_add_co_u32 v1, vcc_lo, 0, v5
	s_waitcnt lgkmcnt(0)
	v_add_co_ci_u32_e32 v2, vcc_lo, v6, v2, vcc_lo
.LBB233_63:
	s_or_b32 exec_lo, exec_lo, s1
	v_cmp_gt_u32_e32 vcc_lo, 16, v3
	s_mov_b32 s1, exec_lo
	s_waitcnt lgkmcnt(0)
	v_cndmask_b32_e64 v6, 0, 1, vcc_lo
	s_delay_alu instid0(VALU_DEP_1) | instskip(NEXT) | instid1(VALU_DEP_1)
	v_lshlrev_b32_e32 v6, 4, v6
	v_add_lshl_u32 v7, v6, v3, 2
	ds_bpermute_b32 v6, v7, v5
	ds_bpermute_b32 v5, v7, v2
	v_add_nc_u32_e32 v7, 16, v3
	s_delay_alu instid0(VALU_DEP_1)
	v_cmpx_lt_u32_e64 v7, v4
	s_cbranch_execz .LBB233_65
; %bb.64:
	s_waitcnt lgkmcnt(1)
	v_add_co_u32 v1, vcc_lo, v1, v6
	v_add_co_ci_u32_e32 v2, vcc_lo, 0, v2, vcc_lo
	s_delay_alu instid0(VALU_DEP_2) | instskip(SKIP_1) | instid1(VALU_DEP_2)
	v_add_co_u32 v1, vcc_lo, v1, 0
	s_waitcnt lgkmcnt(0)
	v_add_co_ci_u32_e32 v2, vcc_lo, v2, v5, vcc_lo
.LBB233_65:
	s_or_b32 exec_lo, exec_lo, s1
	s_delay_alu instid0(SALU_CYCLE_1)
	s_mov_b32 s1, exec_lo
	v_cmpx_eq_u32_e32 0, v3
	s_cbranch_execz .LBB233_67
; %bb.66:
	v_lshrrev_b32_e32 v4, 2, v0
	s_delay_alu instid0(VALU_DEP_1)
	v_and_b32_e32 v4, 56, v4
	ds_store_b64 v4, v[1:2] offset:320
.LBB233_67:
	s_or_b32 exec_lo, exec_lo, s1
	s_delay_alu instid0(SALU_CYCLE_1)
	s_mov_b32 s1, exec_lo
	s_waitcnt lgkmcnt(0)
	s_barrier
	buffer_gl0_inv
	v_cmpx_gt_u32_e32 8, v0
	s_cbranch_execz .LBB233_75
; %bb.68:
	v_lshlrev_b32_e32 v1, 3, v3
	s_add_i32 s0, s0, 31
	s_delay_alu instid0(SALU_CYCLE_1) | instskip(SKIP_2) | instid1(VALU_DEP_1)
	s_lshr_b32 s0, s0, 5
	ds_load_b64 v[1:2], v1 offset:320
	v_and_b32_e32 v4, 7, v3
	v_cmp_ne_u32_e32 vcc_lo, 7, v4
	v_add_co_ci_u32_e32 v5, vcc_lo, 0, v3, vcc_lo
	s_delay_alu instid0(VALU_DEP_1) | instskip(SKIP_4) | instid1(VALU_DEP_1)
	v_lshlrev_b32_e32 v5, 2, v5
	s_waitcnt lgkmcnt(0)
	ds_bpermute_b32 v7, v5, v1
	ds_bpermute_b32 v6, v5, v2
	v_add_nc_u32_e32 v5, 1, v4
	v_cmp_gt_u32_e32 vcc_lo, s0, v5
	v_mov_b32_e32 v5, v1
	s_and_saveexec_b32 s2, vcc_lo
	s_cbranch_execz .LBB233_70
; %bb.69:
	s_waitcnt lgkmcnt(1)
	v_add_co_u32 v5, vcc_lo, v1, v7
	v_add_co_ci_u32_e32 v2, vcc_lo, 0, v2, vcc_lo
	s_delay_alu instid0(VALU_DEP_2) | instskip(SKIP_1) | instid1(VALU_DEP_2)
	v_add_co_u32 v1, vcc_lo, 0, v5
	s_waitcnt lgkmcnt(0)
	v_add_co_ci_u32_e32 v2, vcc_lo, v6, v2, vcc_lo
.LBB233_70:
	s_or_b32 exec_lo, exec_lo, s2
	v_cmp_gt_u32_e32 vcc_lo, 6, v4
	v_add_nc_u32_e32 v8, 2, v4
	s_mov_b32 s2, exec_lo
	s_waitcnt lgkmcnt(0)
	v_cndmask_b32_e64 v6, 0, 1, vcc_lo
	s_delay_alu instid0(VALU_DEP_1) | instskip(NEXT) | instid1(VALU_DEP_1)
	v_lshlrev_b32_e32 v6, 1, v6
	v_add_lshl_u32 v6, v6, v3, 2
	ds_bpermute_b32 v7, v6, v5
	ds_bpermute_b32 v6, v6, v2
	v_cmpx_gt_u32_e64 s0, v8
	s_cbranch_execz .LBB233_72
; %bb.71:
	s_waitcnt lgkmcnt(1)
	v_add_co_u32 v5, vcc_lo, v1, v7
	v_add_co_ci_u32_e32 v2, vcc_lo, 0, v2, vcc_lo
	s_delay_alu instid0(VALU_DEP_2) | instskip(SKIP_1) | instid1(VALU_DEP_2)
	v_add_co_u32 v1, vcc_lo, 0, v5
	s_waitcnt lgkmcnt(0)
	v_add_co_ci_u32_e32 v2, vcc_lo, v6, v2, vcc_lo
.LBB233_72:
	s_or_b32 exec_lo, exec_lo, s2
	v_cmp_gt_u32_e32 vcc_lo, 4, v4
	v_add_nc_u32_e32 v4, 4, v4
	s_waitcnt lgkmcnt(0)
	v_cndmask_b32_e64 v6, 0, 1, vcc_lo
	s_delay_alu instid0(VALU_DEP_2) | instskip(NEXT) | instid1(VALU_DEP_2)
	v_cmp_gt_u32_e32 vcc_lo, s0, v4
	v_lshlrev_b32_e32 v6, 2, v6
	s_delay_alu instid0(VALU_DEP_1)
	v_add_lshl_u32 v3, v6, v3, 2
	ds_bpermute_b32 v5, v3, v5
	ds_bpermute_b32 v3, v3, v2
	s_and_saveexec_b32 s0, vcc_lo
	s_cbranch_execz .LBB233_74
; %bb.73:
	s_waitcnt lgkmcnt(1)
	v_add_co_u32 v1, vcc_lo, v1, v5
	v_add_co_ci_u32_e32 v2, vcc_lo, 0, v2, vcc_lo
	s_delay_alu instid0(VALU_DEP_2) | instskip(SKIP_1) | instid1(VALU_DEP_2)
	v_add_co_u32 v1, vcc_lo, v1, 0
	s_waitcnt lgkmcnt(0)
	v_add_co_ci_u32_e32 v2, vcc_lo, v2, v3, vcc_lo
.LBB233_74:
	s_or_b32 exec_lo, exec_lo, s0
.LBB233_75:
	s_delay_alu instid0(SALU_CYCLE_1)
	s_or_b32 exec_lo, exec_lo, s1
	v_cmp_eq_u32_e64 s0, 0, v0
	s_and_b32 vcc_lo, exec_lo, s27
	s_cbranch_vccnz .LBB233_15
	s_branch .LBB233_116
.LBB233_76:
	s_mov_b32 s1, -1
                                        ; implicit-def: $vgpr1_vgpr2
.LBB233_77:
	s_delay_alu instid0(SALU_CYCLE_1)
	s_and_b32 vcc_lo, exec_lo, s1
	s_cbranch_vccz .LBB233_115
; %bb.78:
	s_sub_i32 s8, s18, s0
	s_mov_b32 s0, exec_lo
                                        ; implicit-def: $vgpr1_vgpr2_vgpr3_vgpr4_vgpr5_vgpr6_vgpr7_vgpr8_vgpr9_vgpr10_vgpr11_vgpr12_vgpr13_vgpr14_vgpr15_vgpr16
	v_cmpx_gt_u32_e64 s8, v0
	s_cbranch_execz .LBB233_80
; %bb.79:
	v_lshlrev_b32_e32 v1, 3, v0
	global_load_b64 v[1:2], v1, s[6:7]
.LBB233_80:
	s_or_b32 exec_lo, exec_lo, s0
	v_or_b32_e32 v17, 0x100, v0
	s_delay_alu instid0(VALU_DEP_1)
	v_cmp_gt_u32_e32 vcc_lo, s8, v17
	s_and_saveexec_b32 s0, vcc_lo
	s_cbranch_execz .LBB233_82
; %bb.81:
	s_waitcnt lgkmcnt(0)
	v_lshlrev_b32_e32 v3, 3, v0
	global_load_b64 v[3:4], v3, s[6:7] offset:2048
.LBB233_82:
	s_or_b32 exec_lo, exec_lo, s0
	v_or_b32_e32 v17, 0x200, v0
	s_delay_alu instid0(VALU_DEP_1) | instskip(NEXT) | instid1(VALU_DEP_1)
	v_cmp_gt_u32_e64 s0, s8, v17
	s_and_saveexec_b32 s1, s0
	s_cbranch_execz .LBB233_84
; %bb.83:
	s_waitcnt lgkmcnt(1)
	v_lshlrev_b32_e32 v5, 3, v17
	global_load_b64 v[5:6], v5, s[6:7]
.LBB233_84:
	s_or_b32 exec_lo, exec_lo, s1
	v_or_b32_e32 v17, 0x300, v0
	s_delay_alu instid0(VALU_DEP_1) | instskip(NEXT) | instid1(VALU_DEP_1)
	v_cmp_gt_u32_e64 s1, s8, v17
	s_and_saveexec_b32 s2, s1
	s_cbranch_execz .LBB233_86
; %bb.85:
	v_lshlrev_b32_e32 v7, 3, v17
	global_load_b64 v[7:8], v7, s[6:7]
.LBB233_86:
	s_or_b32 exec_lo, exec_lo, s2
	v_or_b32_e32 v17, 0x400, v0
	s_delay_alu instid0(VALU_DEP_1) | instskip(NEXT) | instid1(VALU_DEP_1)
	v_cmp_gt_u32_e64 s2, s8, v17
	s_and_saveexec_b32 s3, s2
	s_cbranch_execz .LBB233_88
; %bb.87:
	v_lshlrev_b32_e32 v9, 3, v17
	global_load_b64 v[9:10], v9, s[6:7]
.LBB233_88:
	;; [unrolled: 10-line block ×5, first 2 shown]
	s_or_b32 exec_lo, exec_lo, s9
	s_waitcnt vmcnt(0) lgkmcnt(0)
	v_dual_cndmask_b32 v3, 0, v3 :: v_dual_cndmask_b32 v4, 0, v4
	v_cndmask_b32_e64 v5, 0, v5, s0
	v_cndmask_b32_e64 v6, 0, v6, s0
	s_min_u32 s0, s8, 0x100
	s_delay_alu instid0(VALU_DEP_3) | instskip(SKIP_2) | instid1(VALU_DEP_3)
	v_add_co_u32 v1, vcc_lo, v3, v1
	v_add_co_ci_u32_e32 v2, vcc_lo, v4, v2, vcc_lo
	v_cndmask_b32_e64 v3, 0, v7, s1
	v_add_co_u32 v1, vcc_lo, v1, v5
	s_delay_alu instid0(VALU_DEP_3) | instskip(SKIP_2) | instid1(VALU_DEP_4)
	v_add_co_ci_u32_e32 v2, vcc_lo, v2, v6, vcc_lo
	v_cndmask_b32_e64 v4, 0, v8, s1
	v_cndmask_b32_e64 v5, 0, v9, s2
	v_add_co_u32 v1, vcc_lo, v1, v3
	v_cndmask_b32_e64 v3, 0, v10, s2
	s_delay_alu instid0(VALU_DEP_4) | instskip(SKIP_1) | instid1(VALU_DEP_4)
	v_add_co_ci_u32_e32 v2, vcc_lo, v2, v4, vcc_lo
	v_cndmask_b32_e64 v4, 0, v11, s3
	v_add_co_u32 v1, vcc_lo, v1, v5
	s_delay_alu instid0(VALU_DEP_3) | instskip(SKIP_2) | instid1(VALU_DEP_4)
	v_add_co_ci_u32_e32 v2, vcc_lo, v2, v3, vcc_lo
	v_cndmask_b32_e64 v5, 0, v12, s3
	v_mbcnt_lo_u32_b32 v3, -1, 0
	v_add_co_u32 v1, vcc_lo, v1, v4
	v_cndmask_b32_e64 v4, 0, v14, s4
	s_delay_alu instid0(VALU_DEP_4) | instskip(NEXT) | instid1(VALU_DEP_4)
	v_add_co_ci_u32_e32 v2, vcc_lo, v2, v5, vcc_lo
	v_cmp_ne_u32_e32 vcc_lo, 31, v3
	v_cndmask_b32_e64 v5, 0, v13, s4
	v_cndmask_b32_e64 v6, 0, v15, s5
	v_add_co_ci_u32_e32 v7, vcc_lo, 0, v3, vcc_lo
	s_delay_alu instid0(VALU_DEP_3) | instskip(SKIP_2) | instid1(VALU_DEP_3)
	v_add_co_u32 v1, vcc_lo, v1, v5
	v_add_co_ci_u32_e32 v2, vcc_lo, v2, v4, vcc_lo
	v_cndmask_b32_e64 v4, 0, v16, s5
	v_add_co_u32 v1, vcc_lo, v1, v6
	v_lshlrev_b32_e32 v5, 2, v7
	s_delay_alu instid0(VALU_DEP_3)
	v_add_co_ci_u32_e32 v2, vcc_lo, v2, v4, vcc_lo
	v_and_b32_e32 v4, 0xe0, v0
	ds_bpermute_b32 v7, v5, v1
	ds_bpermute_b32 v6, v5, v2
	v_add_nc_u32_e32 v5, 1, v3
	v_sub_nc_u32_e64 v4, s0, v4 clamp
	s_delay_alu instid0(VALU_DEP_1)
	v_cmp_lt_u32_e32 vcc_lo, v5, v4
	v_mov_b32_e32 v5, v1
	s_and_saveexec_b32 s1, vcc_lo
	s_cbranch_execz .LBB233_96
; %bb.95:
	s_waitcnt lgkmcnt(1)
	v_add_co_u32 v5, vcc_lo, v1, v7
	v_add_co_ci_u32_e32 v2, vcc_lo, 0, v2, vcc_lo
	s_delay_alu instid0(VALU_DEP_2) | instskip(SKIP_1) | instid1(VALU_DEP_2)
	v_add_co_u32 v1, vcc_lo, v5, 0
	s_waitcnt lgkmcnt(0)
	v_add_co_ci_u32_e32 v2, vcc_lo, v2, v6, vcc_lo
.LBB233_96:
	s_or_b32 exec_lo, exec_lo, s1
	v_cmp_gt_u32_e32 vcc_lo, 30, v3
	v_add_nc_u32_e32 v8, 2, v3
	s_mov_b32 s1, exec_lo
	s_waitcnt lgkmcnt(0)
	v_cndmask_b32_e64 v6, 0, 1, vcc_lo
	s_delay_alu instid0(VALU_DEP_1) | instskip(NEXT) | instid1(VALU_DEP_1)
	v_lshlrev_b32_e32 v6, 1, v6
	v_add_lshl_u32 v6, v6, v3, 2
	ds_bpermute_b32 v7, v6, v5
	ds_bpermute_b32 v6, v6, v2
	v_cmpx_lt_u32_e64 v8, v4
	s_cbranch_execz .LBB233_98
; %bb.97:
	s_waitcnt lgkmcnt(1)
	v_add_co_u32 v5, vcc_lo, v1, v7
	v_add_co_ci_u32_e32 v2, vcc_lo, 0, v2, vcc_lo
	s_delay_alu instid0(VALU_DEP_2) | instskip(SKIP_1) | instid1(VALU_DEP_2)
	v_add_co_u32 v1, vcc_lo, 0, v5
	s_waitcnt lgkmcnt(0)
	v_add_co_ci_u32_e32 v2, vcc_lo, v6, v2, vcc_lo
.LBB233_98:
	s_or_b32 exec_lo, exec_lo, s1
	v_cmp_gt_u32_e32 vcc_lo, 28, v3
	v_add_nc_u32_e32 v8, 4, v3
	s_mov_b32 s1, exec_lo
	s_waitcnt lgkmcnt(0)
	v_cndmask_b32_e64 v6, 0, 1, vcc_lo
	s_delay_alu instid0(VALU_DEP_1) | instskip(NEXT) | instid1(VALU_DEP_1)
	v_lshlrev_b32_e32 v6, 2, v6
	v_add_lshl_u32 v6, v6, v3, 2
	ds_bpermute_b32 v7, v6, v5
	ds_bpermute_b32 v6, v6, v2
	v_cmpx_lt_u32_e64 v8, v4
	;; [unrolled: 22-line block ×3, first 2 shown]
	s_cbranch_execz .LBB233_102
; %bb.101:
	s_waitcnt lgkmcnt(1)
	v_add_co_u32 v5, vcc_lo, v1, v7
	v_add_co_ci_u32_e32 v2, vcc_lo, 0, v2, vcc_lo
	s_delay_alu instid0(VALU_DEP_2) | instskip(SKIP_1) | instid1(VALU_DEP_2)
	v_add_co_u32 v1, vcc_lo, 0, v5
	s_waitcnt lgkmcnt(0)
	v_add_co_ci_u32_e32 v2, vcc_lo, v6, v2, vcc_lo
.LBB233_102:
	s_or_b32 exec_lo, exec_lo, s1
	v_cmp_gt_u32_e32 vcc_lo, 16, v3
	s_mov_b32 s1, exec_lo
	s_waitcnt lgkmcnt(0)
	v_cndmask_b32_e64 v6, 0, 1, vcc_lo
	s_delay_alu instid0(VALU_DEP_1) | instskip(NEXT) | instid1(VALU_DEP_1)
	v_lshlrev_b32_e32 v6, 4, v6
	v_add_lshl_u32 v7, v6, v3, 2
	ds_bpermute_b32 v6, v7, v5
	ds_bpermute_b32 v5, v7, v2
	v_add_nc_u32_e32 v7, 16, v3
	s_delay_alu instid0(VALU_DEP_1)
	v_cmpx_lt_u32_e64 v7, v4
	s_cbranch_execz .LBB233_104
; %bb.103:
	s_waitcnt lgkmcnt(1)
	v_add_co_u32 v1, vcc_lo, v1, v6
	v_add_co_ci_u32_e32 v2, vcc_lo, 0, v2, vcc_lo
	s_delay_alu instid0(VALU_DEP_2) | instskip(SKIP_1) | instid1(VALU_DEP_2)
	v_add_co_u32 v1, vcc_lo, v1, 0
	s_waitcnt lgkmcnt(0)
	v_add_co_ci_u32_e32 v2, vcc_lo, v2, v5, vcc_lo
.LBB233_104:
	s_or_b32 exec_lo, exec_lo, s1
	s_delay_alu instid0(SALU_CYCLE_1)
	s_mov_b32 s1, exec_lo
	v_cmpx_eq_u32_e32 0, v3
	s_cbranch_execz .LBB233_106
; %bb.105:
	v_lshrrev_b32_e32 v4, 2, v0
	s_delay_alu instid0(VALU_DEP_1)
	v_and_b32_e32 v4, 56, v4
	ds_store_b64 v4, v[1:2] offset:320
.LBB233_106:
	s_or_b32 exec_lo, exec_lo, s1
	s_delay_alu instid0(SALU_CYCLE_1)
	s_mov_b32 s1, exec_lo
	s_waitcnt lgkmcnt(0)
	s_barrier
	buffer_gl0_inv
	v_cmpx_gt_u32_e32 8, v0
	s_cbranch_execz .LBB233_114
; %bb.107:
	v_lshlrev_b32_e32 v1, 3, v3
	s_add_i32 s0, s0, 31
	s_delay_alu instid0(SALU_CYCLE_1) | instskip(SKIP_2) | instid1(VALU_DEP_1)
	s_lshr_b32 s0, s0, 5
	ds_load_b64 v[1:2], v1 offset:320
	v_and_b32_e32 v4, 7, v3
	v_cmp_ne_u32_e32 vcc_lo, 7, v4
	v_add_co_ci_u32_e32 v5, vcc_lo, 0, v3, vcc_lo
	s_delay_alu instid0(VALU_DEP_1) | instskip(SKIP_4) | instid1(VALU_DEP_1)
	v_lshlrev_b32_e32 v5, 2, v5
	s_waitcnt lgkmcnt(0)
	ds_bpermute_b32 v7, v5, v1
	ds_bpermute_b32 v6, v5, v2
	v_add_nc_u32_e32 v5, 1, v4
	v_cmp_gt_u32_e32 vcc_lo, s0, v5
	v_mov_b32_e32 v5, v1
	s_and_saveexec_b32 s2, vcc_lo
	s_cbranch_execz .LBB233_109
; %bb.108:
	s_waitcnt lgkmcnt(1)
	v_add_co_u32 v5, vcc_lo, v1, v7
	v_add_co_ci_u32_e32 v2, vcc_lo, 0, v2, vcc_lo
	s_delay_alu instid0(VALU_DEP_2) | instskip(SKIP_1) | instid1(VALU_DEP_2)
	v_add_co_u32 v1, vcc_lo, 0, v5
	s_waitcnt lgkmcnt(0)
	v_add_co_ci_u32_e32 v2, vcc_lo, v6, v2, vcc_lo
.LBB233_109:
	s_or_b32 exec_lo, exec_lo, s2
	v_cmp_gt_u32_e32 vcc_lo, 6, v4
	v_add_nc_u32_e32 v8, 2, v4
	s_mov_b32 s2, exec_lo
	s_waitcnt lgkmcnt(0)
	v_cndmask_b32_e64 v6, 0, 1, vcc_lo
	s_delay_alu instid0(VALU_DEP_1) | instskip(NEXT) | instid1(VALU_DEP_1)
	v_lshlrev_b32_e32 v6, 1, v6
	v_add_lshl_u32 v6, v6, v3, 2
	ds_bpermute_b32 v7, v6, v5
	ds_bpermute_b32 v6, v6, v2
	v_cmpx_gt_u32_e64 s0, v8
	s_cbranch_execz .LBB233_111
; %bb.110:
	s_waitcnt lgkmcnt(1)
	v_add_co_u32 v5, vcc_lo, v1, v7
	v_add_co_ci_u32_e32 v2, vcc_lo, 0, v2, vcc_lo
	s_delay_alu instid0(VALU_DEP_2) | instskip(SKIP_1) | instid1(VALU_DEP_2)
	v_add_co_u32 v1, vcc_lo, 0, v5
	s_waitcnt lgkmcnt(0)
	v_add_co_ci_u32_e32 v2, vcc_lo, v6, v2, vcc_lo
.LBB233_111:
	s_or_b32 exec_lo, exec_lo, s2
	v_cmp_gt_u32_e32 vcc_lo, 4, v4
	v_add_nc_u32_e32 v4, 4, v4
	s_waitcnt lgkmcnt(0)
	v_cndmask_b32_e64 v6, 0, 1, vcc_lo
	s_delay_alu instid0(VALU_DEP_2) | instskip(NEXT) | instid1(VALU_DEP_2)
	v_cmp_gt_u32_e32 vcc_lo, s0, v4
	v_lshlrev_b32_e32 v6, 2, v6
	s_delay_alu instid0(VALU_DEP_1)
	v_add_lshl_u32 v3, v6, v3, 2
	ds_bpermute_b32 v5, v3, v5
	ds_bpermute_b32 v3, v3, v2
	s_and_saveexec_b32 s0, vcc_lo
	s_cbranch_execz .LBB233_113
; %bb.112:
	s_waitcnt lgkmcnt(1)
	v_add_co_u32 v1, vcc_lo, v1, v5
	v_add_co_ci_u32_e32 v2, vcc_lo, 0, v2, vcc_lo
	s_delay_alu instid0(VALU_DEP_2) | instskip(SKIP_1) | instid1(VALU_DEP_2)
	v_add_co_u32 v1, vcc_lo, v1, 0
	s_waitcnt lgkmcnt(0)
	v_add_co_ci_u32_e32 v2, vcc_lo, v2, v3, vcc_lo
.LBB233_113:
	s_or_b32 exec_lo, exec_lo, s0
.LBB233_114:
	s_delay_alu instid0(SALU_CYCLE_1)
	s_or_b32 exec_lo, exec_lo, s1
.LBB233_115:
	v_cmp_eq_u32_e64 s0, 0, v0
.LBB233_116:
	s_branch .LBB233_155
.LBB233_117:
	s_cmp_eq_u32 s26, 4
                                        ; implicit-def: $vgpr1_vgpr2
	s_cbranch_scc0 .LBB233_155
; %bb.118:
	s_mov_b32 s15, 0
	s_lshl_b32 s0, s14, 10
	s_mov_b32 s1, s15
	s_lshr_b64 s[4:5], s[18:19], 10
	s_lshl_b64 s[2:3], s[0:1], 3
	s_delay_alu instid0(SALU_CYCLE_1)
	s_add_u32 s2, s16, s2
	s_addc_u32 s3, s17, s3
	s_cmp_lg_u64 s[4:5], s[14:15]
	s_cbranch_scc0 .LBB233_124
; %bb.119:
	s_waitcnt lgkmcnt(1)
	v_lshlrev_b32_e32 v5, 3, v0
	s_delay_alu instid0(VALU_DEP_1) | instskip(NEXT) | instid1(VALU_DEP_1)
	v_add_co_u32 v1, s1, s2, v5
	v_add_co_ci_u32_e64 v2, null, s3, 0, s1
	s_mov_b32 s1, exec_lo
	s_delay_alu instid0(VALU_DEP_2) | instskip(NEXT) | instid1(VALU_DEP_2)
	v_add_co_u32 v1, vcc_lo, 0x1000, v1
	v_add_co_ci_u32_e32 v2, vcc_lo, 0, v2, vcc_lo
	s_waitcnt lgkmcnt(0)
	s_clause 0x3
	global_load_b64 v[3:4], v5, s[2:3]
	global_load_b64 v[5:6], v5, s[2:3] offset:2048
	global_load_b64 v[7:8], v[1:2], off
	global_load_b64 v[1:2], v[1:2], off offset:2048
	s_waitcnt vmcnt(2)
	v_add_co_u32 v3, vcc_lo, v5, v3
	v_add_co_ci_u32_e32 v4, vcc_lo, v6, v4, vcc_lo
	s_waitcnt vmcnt(1)
	s_delay_alu instid0(VALU_DEP_2) | instskip(NEXT) | instid1(VALU_DEP_2)
	v_add_co_u32 v3, vcc_lo, v3, v7
	v_add_co_ci_u32_e32 v4, vcc_lo, v4, v8, vcc_lo
	s_waitcnt vmcnt(0)
	s_delay_alu instid0(VALU_DEP_2) | instskip(NEXT) | instid1(VALU_DEP_2)
	v_add_co_u32 v1, vcc_lo, v3, v1
	v_add_co_ci_u32_e32 v2, vcc_lo, v4, v2, vcc_lo
	s_delay_alu instid0(VALU_DEP_2) | instskip(NEXT) | instid1(VALU_DEP_1)
	v_mov_b32_dpp v3, v1 quad_perm:[1,0,3,2] row_mask:0xf bank_mask:0xf
	v_add_co_u32 v1, vcc_lo, v1, v3
	s_delay_alu instid0(VALU_DEP_3) | instskip(SKIP_1) | instid1(VALU_DEP_3)
	v_mov_b32_dpp v3, v2 quad_perm:[1,0,3,2] row_mask:0xf bank_mask:0xf
	v_add_co_ci_u32_e32 v2, vcc_lo, 0, v2, vcc_lo
	v_mov_b32_dpp v4, v1 quad_perm:[2,3,0,1] row_mask:0xf bank_mask:0xf
	v_add_co_u32 v1, vcc_lo, 0, v1
	s_delay_alu instid0(VALU_DEP_3) | instskip(NEXT) | instid1(VALU_DEP_2)
	v_add_co_ci_u32_e32 v2, vcc_lo, v3, v2, vcc_lo
	v_add_co_u32 v1, vcc_lo, v1, v4
	s_delay_alu instid0(VALU_DEP_2) | instskip(SKIP_1) | instid1(VALU_DEP_3)
	v_mov_b32_dpp v3, v2 quad_perm:[2,3,0,1] row_mask:0xf bank_mask:0xf
	v_add_co_ci_u32_e32 v2, vcc_lo, 0, v2, vcc_lo
	v_mov_b32_dpp v4, v1 row_ror:4 row_mask:0xf bank_mask:0xf
	v_add_co_u32 v1, vcc_lo, v1, 0
	s_delay_alu instid0(VALU_DEP_3) | instskip(NEXT) | instid1(VALU_DEP_2)
	v_add_co_ci_u32_e32 v2, vcc_lo, v2, v3, vcc_lo
	v_add_co_u32 v1, vcc_lo, v1, v4
	s_delay_alu instid0(VALU_DEP_2) | instskip(SKIP_1) | instid1(VALU_DEP_3)
	v_mov_b32_dpp v3, v2 row_ror:4 row_mask:0xf bank_mask:0xf
	v_add_co_ci_u32_e32 v2, vcc_lo, 0, v2, vcc_lo
	v_mov_b32_dpp v4, v1 row_ror:8 row_mask:0xf bank_mask:0xf
	v_add_co_u32 v1, vcc_lo, v1, 0
	s_delay_alu instid0(VALU_DEP_3) | instskip(NEXT) | instid1(VALU_DEP_2)
	v_add_co_ci_u32_e32 v2, vcc_lo, v2, v3, vcc_lo
	v_add_co_u32 v1, vcc_lo, v1, v4
	s_delay_alu instid0(VALU_DEP_2)
	v_mov_b32_dpp v3, v2 row_ror:8 row_mask:0xf bank_mask:0xf
	v_add_co_ci_u32_e32 v2, vcc_lo, 0, v2, vcc_lo
	ds_swizzle_b32 v4, v1 offset:swizzle(BROADCAST,32,15)
	v_add_co_u32 v1, vcc_lo, v1, 0
	v_add_co_ci_u32_e32 v2, vcc_lo, v2, v3, vcc_lo
	ds_swizzle_b32 v3, v2 offset:swizzle(BROADCAST,32,15)
	s_waitcnt lgkmcnt(1)
	v_add_co_u32 v1, vcc_lo, v1, v4
	v_mov_b32_e32 v4, 0
	v_add_co_ci_u32_e32 v2, vcc_lo, 0, v2, vcc_lo
	ds_bpermute_b32 v1, v4, v1 offset:124
	s_waitcnt lgkmcnt(1)
	v_add_nc_u32_e32 v2, v3, v2
	v_mbcnt_lo_u32_b32 v3, -1, 0
	ds_bpermute_b32 v2, v4, v2 offset:124
	v_cmpx_eq_u32_e32 0, v3
	s_cbranch_execz .LBB233_121
; %bb.120:
	v_lshrrev_b32_e32 v4, 2, v0
	s_delay_alu instid0(VALU_DEP_1)
	v_and_b32_e32 v4, 56, v4
	s_waitcnt lgkmcnt(0)
	ds_store_b64 v4, v[1:2] offset:192
.LBB233_121:
	s_or_b32 exec_lo, exec_lo, s1
	s_delay_alu instid0(SALU_CYCLE_1)
	s_mov_b32 s1, exec_lo
	s_waitcnt lgkmcnt(0)
	s_barrier
	buffer_gl0_inv
	v_cmpx_gt_u32_e32 32, v0
	s_cbranch_execz .LBB233_123
; %bb.122:
	v_lshl_or_b32 v1, v3, 3, 0xc0
	v_and_b32_e32 v4, 7, v3
	ds_load_b64 v[1:2], v1
	v_cmp_ne_u32_e32 vcc_lo, 7, v4
	v_add_co_ci_u32_e32 v5, vcc_lo, 0, v3, vcc_lo
	v_cmp_gt_u32_e32 vcc_lo, 6, v4
	s_delay_alu instid0(VALU_DEP_2) | instskip(SKIP_1) | instid1(VALU_DEP_1)
	v_lshlrev_b32_e32 v5, 2, v5
	v_cndmask_b32_e64 v7, 0, 1, vcc_lo
	v_lshlrev_b32_e32 v7, 1, v7
	s_waitcnt lgkmcnt(0)
	ds_bpermute_b32 v6, v5, v1
	ds_bpermute_b32 v5, v5, v2
	v_add_lshl_u32 v7, v7, v3, 2
	s_waitcnt lgkmcnt(1)
	v_add_co_u32 v1, vcc_lo, v1, v6
	v_add_co_ci_u32_e32 v2, vcc_lo, 0, v2, vcc_lo
	ds_bpermute_b32 v6, v7, v1
	v_add_co_u32 v1, vcc_lo, 0, v1
	s_waitcnt lgkmcnt(1)
	v_add_co_ci_u32_e32 v2, vcc_lo, v5, v2, vcc_lo
	v_cmp_gt_u32_e32 vcc_lo, 4, v4
	ds_bpermute_b32 v5, v7, v2
	v_cndmask_b32_e64 v4, 0, 1, vcc_lo
	s_delay_alu instid0(VALU_DEP_1) | instskip(NEXT) | instid1(VALU_DEP_1)
	v_lshlrev_b32_e32 v4, 2, v4
	v_add_lshl_u32 v3, v4, v3, 2
	s_waitcnt lgkmcnt(1)
	v_add_co_u32 v1, vcc_lo, v1, v6
	v_add_co_ci_u32_e32 v2, vcc_lo, 0, v2, vcc_lo
	ds_bpermute_b32 v4, v3, v1
	v_add_co_u32 v1, vcc_lo, v1, 0
	s_waitcnt lgkmcnt(1)
	v_add_co_ci_u32_e32 v2, vcc_lo, v2, v5, vcc_lo
	ds_bpermute_b32 v3, v3, v2
	s_waitcnt lgkmcnt(1)
	v_add_co_u32 v1, vcc_lo, v1, v4
	v_add_co_ci_u32_e32 v2, vcc_lo, 0, v2, vcc_lo
	s_delay_alu instid0(VALU_DEP_2) | instskip(SKIP_1) | instid1(VALU_DEP_2)
	v_add_co_u32 v1, vcc_lo, v1, 0
	s_waitcnt lgkmcnt(0)
	v_add_co_ci_u32_e32 v2, vcc_lo, v2, v3, vcc_lo
.LBB233_123:
	s_or_b32 exec_lo, exec_lo, s1
	s_branch .LBB233_154
.LBB233_124:
                                        ; implicit-def: $vgpr1_vgpr2
	s_cbranch_execz .LBB233_154
; %bb.125:
	s_sub_i32 s4, s18, s0
	s_mov_b32 s0, exec_lo
                                        ; implicit-def: $vgpr1_vgpr2_vgpr3_vgpr4_vgpr5_vgpr6_vgpr7_vgpr8
	v_cmpx_gt_u32_e64 s4, v0
	s_cbranch_execz .LBB233_127
; %bb.126:
	v_lshlrev_b32_e32 v1, 3, v0
	global_load_b64 v[1:2], v1, s[2:3]
.LBB233_127:
	s_or_b32 exec_lo, exec_lo, s0
	v_or_b32_e32 v9, 0x100, v0
	s_delay_alu instid0(VALU_DEP_1)
	v_cmp_gt_u32_e32 vcc_lo, s4, v9
	s_and_saveexec_b32 s0, vcc_lo
	s_cbranch_execz .LBB233_129
; %bb.128:
	s_waitcnt lgkmcnt(0)
	v_lshlrev_b32_e32 v3, 3, v0
	global_load_b64 v[3:4], v3, s[2:3] offset:2048
.LBB233_129:
	s_or_b32 exec_lo, exec_lo, s0
	v_or_b32_e32 v9, 0x200, v0
	s_delay_alu instid0(VALU_DEP_1) | instskip(NEXT) | instid1(VALU_DEP_1)
	v_cmp_gt_u32_e64 s0, s4, v9
	s_and_saveexec_b32 s1, s0
	s_cbranch_execz .LBB233_131
; %bb.130:
	s_waitcnt lgkmcnt(1)
	v_lshlrev_b32_e32 v5, 3, v9
	global_load_b64 v[5:6], v5, s[2:3]
.LBB233_131:
	s_or_b32 exec_lo, exec_lo, s1
	v_or_b32_e32 v9, 0x300, v0
	s_delay_alu instid0(VALU_DEP_1) | instskip(NEXT) | instid1(VALU_DEP_1)
	v_cmp_gt_u32_e64 s1, s4, v9
	s_and_saveexec_b32 s5, s1
	s_cbranch_execz .LBB233_133
; %bb.132:
	v_lshlrev_b32_e32 v7, 3, v9
	global_load_b64 v[7:8], v7, s[2:3]
.LBB233_133:
	s_or_b32 exec_lo, exec_lo, s5
	s_waitcnt vmcnt(0) lgkmcnt(0)
	v_dual_cndmask_b32 v9, 0, v3 :: v_dual_cndmask_b32 v4, 0, v4
	v_mbcnt_lo_u32_b32 v3, -1, 0
	v_cndmask_b32_e64 v5, 0, v5, s0
	s_delay_alu instid0(VALU_DEP_3) | instskip(NEXT) | instid1(VALU_DEP_4)
	v_add_co_u32 v1, vcc_lo, v9, v1
	v_add_co_ci_u32_e32 v2, vcc_lo, v4, v2, vcc_lo
	s_delay_alu instid0(VALU_DEP_4)
	v_cmp_ne_u32_e32 vcc_lo, 31, v3
	v_cndmask_b32_e64 v4, 0, v6, s0
	v_cndmask_b32_e64 v6, 0, v7, s1
	s_min_u32 s0, s4, 0x100
	v_add_co_ci_u32_e32 v7, vcc_lo, 0, v3, vcc_lo
	v_add_co_u32 v1, vcc_lo, v1, v5
	v_add_co_ci_u32_e32 v2, vcc_lo, v2, v4, vcc_lo
	v_cndmask_b32_e64 v4, 0, v8, s1
	s_delay_alu instid0(VALU_DEP_3) | instskip(SKIP_1) | instid1(VALU_DEP_3)
	v_add_co_u32 v1, vcc_lo, v1, v6
	v_lshlrev_b32_e32 v5, 2, v7
	v_add_co_ci_u32_e32 v2, vcc_lo, v2, v4, vcc_lo
	v_and_b32_e32 v4, 0xe0, v0
	ds_bpermute_b32 v7, v5, v1
	ds_bpermute_b32 v6, v5, v2
	v_add_nc_u32_e32 v5, 1, v3
	v_sub_nc_u32_e64 v4, s0, v4 clamp
	s_delay_alu instid0(VALU_DEP_1)
	v_cmp_lt_u32_e32 vcc_lo, v5, v4
	v_mov_b32_e32 v5, v1
	s_and_saveexec_b32 s1, vcc_lo
	s_cbranch_execz .LBB233_135
; %bb.134:
	s_waitcnt lgkmcnt(1)
	v_add_co_u32 v5, vcc_lo, v1, v7
	v_add_co_ci_u32_e32 v2, vcc_lo, 0, v2, vcc_lo
	s_delay_alu instid0(VALU_DEP_2) | instskip(SKIP_1) | instid1(VALU_DEP_2)
	v_add_co_u32 v1, vcc_lo, v5, 0
	s_waitcnt lgkmcnt(0)
	v_add_co_ci_u32_e32 v2, vcc_lo, v2, v6, vcc_lo
.LBB233_135:
	s_or_b32 exec_lo, exec_lo, s1
	v_cmp_gt_u32_e32 vcc_lo, 30, v3
	v_add_nc_u32_e32 v8, 2, v3
	s_mov_b32 s1, exec_lo
	s_waitcnt lgkmcnt(0)
	v_cndmask_b32_e64 v6, 0, 1, vcc_lo
	s_delay_alu instid0(VALU_DEP_1) | instskip(NEXT) | instid1(VALU_DEP_1)
	v_lshlrev_b32_e32 v6, 1, v6
	v_add_lshl_u32 v6, v6, v3, 2
	ds_bpermute_b32 v7, v6, v5
	ds_bpermute_b32 v6, v6, v2
	v_cmpx_lt_u32_e64 v8, v4
	s_cbranch_execz .LBB233_137
; %bb.136:
	s_waitcnt lgkmcnt(1)
	v_add_co_u32 v5, vcc_lo, v1, v7
	v_add_co_ci_u32_e32 v2, vcc_lo, 0, v2, vcc_lo
	s_delay_alu instid0(VALU_DEP_2) | instskip(SKIP_1) | instid1(VALU_DEP_2)
	v_add_co_u32 v1, vcc_lo, 0, v5
	s_waitcnt lgkmcnt(0)
	v_add_co_ci_u32_e32 v2, vcc_lo, v6, v2, vcc_lo
.LBB233_137:
	s_or_b32 exec_lo, exec_lo, s1
	v_cmp_gt_u32_e32 vcc_lo, 28, v3
	v_add_nc_u32_e32 v8, 4, v3
	s_mov_b32 s1, exec_lo
	s_waitcnt lgkmcnt(0)
	v_cndmask_b32_e64 v6, 0, 1, vcc_lo
	s_delay_alu instid0(VALU_DEP_1) | instskip(NEXT) | instid1(VALU_DEP_1)
	v_lshlrev_b32_e32 v6, 2, v6
	v_add_lshl_u32 v6, v6, v3, 2
	ds_bpermute_b32 v7, v6, v5
	ds_bpermute_b32 v6, v6, v2
	v_cmpx_lt_u32_e64 v8, v4
	;; [unrolled: 22-line block ×3, first 2 shown]
	s_cbranch_execz .LBB233_141
; %bb.140:
	s_waitcnt lgkmcnt(1)
	v_add_co_u32 v5, vcc_lo, v1, v7
	v_add_co_ci_u32_e32 v2, vcc_lo, 0, v2, vcc_lo
	s_delay_alu instid0(VALU_DEP_2) | instskip(SKIP_1) | instid1(VALU_DEP_2)
	v_add_co_u32 v1, vcc_lo, 0, v5
	s_waitcnt lgkmcnt(0)
	v_add_co_ci_u32_e32 v2, vcc_lo, v6, v2, vcc_lo
.LBB233_141:
	s_or_b32 exec_lo, exec_lo, s1
	v_cmp_gt_u32_e32 vcc_lo, 16, v3
	s_mov_b32 s1, exec_lo
	s_waitcnt lgkmcnt(0)
	v_cndmask_b32_e64 v6, 0, 1, vcc_lo
	s_delay_alu instid0(VALU_DEP_1) | instskip(NEXT) | instid1(VALU_DEP_1)
	v_lshlrev_b32_e32 v6, 4, v6
	v_add_lshl_u32 v7, v6, v3, 2
	ds_bpermute_b32 v6, v7, v5
	ds_bpermute_b32 v5, v7, v2
	v_add_nc_u32_e32 v7, 16, v3
	s_delay_alu instid0(VALU_DEP_1)
	v_cmpx_lt_u32_e64 v7, v4
	s_cbranch_execz .LBB233_143
; %bb.142:
	s_waitcnt lgkmcnt(1)
	v_add_co_u32 v1, vcc_lo, v1, v6
	v_add_co_ci_u32_e32 v2, vcc_lo, 0, v2, vcc_lo
	s_delay_alu instid0(VALU_DEP_2) | instskip(SKIP_1) | instid1(VALU_DEP_2)
	v_add_co_u32 v1, vcc_lo, v1, 0
	s_waitcnt lgkmcnt(0)
	v_add_co_ci_u32_e32 v2, vcc_lo, v2, v5, vcc_lo
.LBB233_143:
	s_or_b32 exec_lo, exec_lo, s1
	s_delay_alu instid0(SALU_CYCLE_1)
	s_mov_b32 s1, exec_lo
	v_cmpx_eq_u32_e32 0, v3
	s_cbranch_execz .LBB233_145
; %bb.144:
	v_lshrrev_b32_e32 v4, 2, v0
	s_delay_alu instid0(VALU_DEP_1)
	v_and_b32_e32 v4, 56, v4
	ds_store_b64 v4, v[1:2] offset:320
.LBB233_145:
	s_or_b32 exec_lo, exec_lo, s1
	s_delay_alu instid0(SALU_CYCLE_1)
	s_mov_b32 s1, exec_lo
	s_waitcnt lgkmcnt(0)
	s_barrier
	buffer_gl0_inv
	v_cmpx_gt_u32_e32 8, v0
	s_cbranch_execz .LBB233_153
; %bb.146:
	v_lshlrev_b32_e32 v1, 3, v3
	s_add_i32 s0, s0, 31
	s_delay_alu instid0(SALU_CYCLE_1) | instskip(SKIP_2) | instid1(VALU_DEP_1)
	s_lshr_b32 s0, s0, 5
	ds_load_b64 v[1:2], v1 offset:320
	v_and_b32_e32 v4, 7, v3
	v_cmp_ne_u32_e32 vcc_lo, 7, v4
	v_add_co_ci_u32_e32 v5, vcc_lo, 0, v3, vcc_lo
	s_delay_alu instid0(VALU_DEP_1) | instskip(SKIP_4) | instid1(VALU_DEP_1)
	v_lshlrev_b32_e32 v5, 2, v5
	s_waitcnt lgkmcnt(0)
	ds_bpermute_b32 v7, v5, v1
	ds_bpermute_b32 v6, v5, v2
	v_add_nc_u32_e32 v5, 1, v4
	v_cmp_gt_u32_e32 vcc_lo, s0, v5
	v_mov_b32_e32 v5, v1
	s_and_saveexec_b32 s2, vcc_lo
	s_cbranch_execz .LBB233_148
; %bb.147:
	s_waitcnt lgkmcnt(1)
	v_add_co_u32 v5, vcc_lo, v1, v7
	v_add_co_ci_u32_e32 v2, vcc_lo, 0, v2, vcc_lo
	s_delay_alu instid0(VALU_DEP_2) | instskip(SKIP_1) | instid1(VALU_DEP_2)
	v_add_co_u32 v1, vcc_lo, 0, v5
	s_waitcnt lgkmcnt(0)
	v_add_co_ci_u32_e32 v2, vcc_lo, v6, v2, vcc_lo
.LBB233_148:
	s_or_b32 exec_lo, exec_lo, s2
	v_cmp_gt_u32_e32 vcc_lo, 6, v4
	v_add_nc_u32_e32 v8, 2, v4
	s_mov_b32 s2, exec_lo
	s_waitcnt lgkmcnt(0)
	v_cndmask_b32_e64 v6, 0, 1, vcc_lo
	s_delay_alu instid0(VALU_DEP_1) | instskip(NEXT) | instid1(VALU_DEP_1)
	v_lshlrev_b32_e32 v6, 1, v6
	v_add_lshl_u32 v6, v6, v3, 2
	ds_bpermute_b32 v7, v6, v5
	ds_bpermute_b32 v6, v6, v2
	v_cmpx_gt_u32_e64 s0, v8
	s_cbranch_execz .LBB233_150
; %bb.149:
	s_waitcnt lgkmcnt(1)
	v_add_co_u32 v5, vcc_lo, v1, v7
	v_add_co_ci_u32_e32 v2, vcc_lo, 0, v2, vcc_lo
	s_delay_alu instid0(VALU_DEP_2) | instskip(SKIP_1) | instid1(VALU_DEP_2)
	v_add_co_u32 v1, vcc_lo, 0, v5
	s_waitcnt lgkmcnt(0)
	v_add_co_ci_u32_e32 v2, vcc_lo, v6, v2, vcc_lo
.LBB233_150:
	s_or_b32 exec_lo, exec_lo, s2
	v_cmp_gt_u32_e32 vcc_lo, 4, v4
	v_add_nc_u32_e32 v4, 4, v4
	s_waitcnt lgkmcnt(0)
	v_cndmask_b32_e64 v6, 0, 1, vcc_lo
	s_delay_alu instid0(VALU_DEP_2) | instskip(NEXT) | instid1(VALU_DEP_2)
	v_cmp_gt_u32_e32 vcc_lo, s0, v4
	v_lshlrev_b32_e32 v6, 2, v6
	s_delay_alu instid0(VALU_DEP_1)
	v_add_lshl_u32 v3, v6, v3, 2
	ds_bpermute_b32 v5, v3, v5
	ds_bpermute_b32 v3, v3, v2
	s_and_saveexec_b32 s0, vcc_lo
	s_cbranch_execz .LBB233_152
; %bb.151:
	s_waitcnt lgkmcnt(1)
	v_add_co_u32 v1, vcc_lo, v1, v5
	v_add_co_ci_u32_e32 v2, vcc_lo, 0, v2, vcc_lo
	s_delay_alu instid0(VALU_DEP_2) | instskip(SKIP_1) | instid1(VALU_DEP_2)
	v_add_co_u32 v1, vcc_lo, v1, 0
	s_waitcnt lgkmcnt(0)
	v_add_co_ci_u32_e32 v2, vcc_lo, v2, v3, vcc_lo
.LBB233_152:
	s_or_b32 exec_lo, exec_lo, s0
.LBB233_153:
	s_delay_alu instid0(SALU_CYCLE_1)
	s_or_b32 exec_lo, exec_lo, s1
.LBB233_154:
	v_cmp_eq_u32_e64 s0, 0, v0
.LBB233_155:
	s_branch .LBB233_201
.LBB233_156:
	s_cmp_gt_i32 s26, 1
	s_cbranch_scc0 .LBB233_165
; %bb.157:
	s_cmp_eq_u32 s26, 2
                                        ; implicit-def: $vgpr1_vgpr2
	s_cbranch_scc0 .LBB233_166
; %bb.158:
	s_mov_b32 s15, 0
	s_lshl_b32 s2, s14, 9
	s_mov_b32 s3, s15
	s_lshr_b64 s[4:5], s[18:19], 9
	s_lshl_b64 s[0:1], s[2:3], 3
	s_delay_alu instid0(SALU_CYCLE_1)
	s_add_u32 s0, s16, s0
	s_addc_u32 s1, s17, s1
	s_cmp_lg_u64 s[4:5], s[14:15]
	s_cbranch_scc0 .LBB233_167
; %bb.159:
	s_waitcnt lgkmcnt(0)
	v_lshlrev_b32_e32 v3, 3, v0
	s_mov_b32 s3, exec_lo
	s_clause 0x1
	global_load_b64 v[1:2], v3, s[0:1]
	global_load_b64 v[3:4], v3, s[0:1] offset:2048
	s_waitcnt vmcnt(0)
	v_add_co_u32 v1, vcc_lo, v3, v1
	v_add_co_ci_u32_e32 v2, vcc_lo, v4, v2, vcc_lo
	s_delay_alu instid0(VALU_DEP_2) | instskip(NEXT) | instid1(VALU_DEP_1)
	v_mov_b32_dpp v3, v1 quad_perm:[1,0,3,2] row_mask:0xf bank_mask:0xf
	v_add_co_u32 v1, vcc_lo, v1, v3
	s_delay_alu instid0(VALU_DEP_3) | instskip(SKIP_1) | instid1(VALU_DEP_3)
	v_mov_b32_dpp v3, v2 quad_perm:[1,0,3,2] row_mask:0xf bank_mask:0xf
	v_add_co_ci_u32_e32 v2, vcc_lo, 0, v2, vcc_lo
	v_mov_b32_dpp v4, v1 quad_perm:[2,3,0,1] row_mask:0xf bank_mask:0xf
	v_add_co_u32 v1, vcc_lo, 0, v1
	s_delay_alu instid0(VALU_DEP_3) | instskip(NEXT) | instid1(VALU_DEP_2)
	v_add_co_ci_u32_e32 v2, vcc_lo, v3, v2, vcc_lo
	v_add_co_u32 v1, vcc_lo, v1, v4
	s_delay_alu instid0(VALU_DEP_2) | instskip(SKIP_1) | instid1(VALU_DEP_3)
	v_mov_b32_dpp v3, v2 quad_perm:[2,3,0,1] row_mask:0xf bank_mask:0xf
	v_add_co_ci_u32_e32 v2, vcc_lo, 0, v2, vcc_lo
	v_mov_b32_dpp v4, v1 row_ror:4 row_mask:0xf bank_mask:0xf
	v_add_co_u32 v1, vcc_lo, v1, 0
	s_delay_alu instid0(VALU_DEP_3) | instskip(NEXT) | instid1(VALU_DEP_2)
	v_add_co_ci_u32_e32 v2, vcc_lo, v2, v3, vcc_lo
	v_add_co_u32 v1, vcc_lo, v1, v4
	s_delay_alu instid0(VALU_DEP_2) | instskip(SKIP_1) | instid1(VALU_DEP_3)
	v_mov_b32_dpp v3, v2 row_ror:4 row_mask:0xf bank_mask:0xf
	v_add_co_ci_u32_e32 v2, vcc_lo, 0, v2, vcc_lo
	v_mov_b32_dpp v4, v1 row_ror:8 row_mask:0xf bank_mask:0xf
	v_add_co_u32 v1, vcc_lo, v1, 0
	s_delay_alu instid0(VALU_DEP_3) | instskip(NEXT) | instid1(VALU_DEP_2)
	v_add_co_ci_u32_e32 v2, vcc_lo, v2, v3, vcc_lo
	v_add_co_u32 v1, vcc_lo, v1, v4
	s_delay_alu instid0(VALU_DEP_2)
	v_mov_b32_dpp v3, v2 row_ror:8 row_mask:0xf bank_mask:0xf
	v_add_co_ci_u32_e32 v2, vcc_lo, 0, v2, vcc_lo
	ds_swizzle_b32 v4, v1 offset:swizzle(BROADCAST,32,15)
	v_add_co_u32 v1, vcc_lo, v1, 0
	v_add_co_ci_u32_e32 v2, vcc_lo, v2, v3, vcc_lo
	ds_swizzle_b32 v3, v2 offset:swizzle(BROADCAST,32,15)
	s_waitcnt lgkmcnt(1)
	v_add_co_u32 v1, vcc_lo, v1, v4
	v_mov_b32_e32 v4, 0
	v_add_co_ci_u32_e32 v2, vcc_lo, 0, v2, vcc_lo
	ds_bpermute_b32 v1, v4, v1 offset:124
	s_waitcnt lgkmcnt(1)
	v_add_nc_u32_e32 v2, v3, v2
	v_mbcnt_lo_u32_b32 v3, -1, 0
	ds_bpermute_b32 v2, v4, v2 offset:124
	v_cmpx_eq_u32_e32 0, v3
	s_cbranch_execz .LBB233_161
; %bb.160:
	v_lshrrev_b32_e32 v4, 2, v0
	s_delay_alu instid0(VALU_DEP_1)
	v_and_b32_e32 v4, 56, v4
	s_waitcnt lgkmcnt(0)
	ds_store_b64 v4, v[1:2] offset:128
.LBB233_161:
	s_or_b32 exec_lo, exec_lo, s3
	s_delay_alu instid0(SALU_CYCLE_1)
	s_mov_b32 s3, exec_lo
	s_waitcnt lgkmcnt(0)
	s_barrier
	buffer_gl0_inv
	v_cmpx_gt_u32_e32 32, v0
	s_cbranch_execz .LBB233_163
; %bb.162:
	v_and_b32_e32 v4, 7, v3
	s_delay_alu instid0(VALU_DEP_1) | instskip(SKIP_4) | instid1(VALU_DEP_2)
	v_lshlrev_b32_e32 v1, 3, v4
	v_cmp_ne_u32_e32 vcc_lo, 7, v4
	ds_load_b64 v[1:2], v1 offset:128
	v_add_co_ci_u32_e32 v5, vcc_lo, 0, v3, vcc_lo
	v_cmp_gt_u32_e32 vcc_lo, 6, v4
	v_lshlrev_b32_e32 v5, 2, v5
	v_cndmask_b32_e64 v7, 0, 1, vcc_lo
	s_delay_alu instid0(VALU_DEP_1) | instskip(NEXT) | instid1(VALU_DEP_1)
	v_lshlrev_b32_e32 v7, 1, v7
	v_add_lshl_u32 v7, v7, v3, 2
	s_waitcnt lgkmcnt(0)
	ds_bpermute_b32 v6, v5, v1
	ds_bpermute_b32 v5, v5, v2
	s_waitcnt lgkmcnt(1)
	v_add_co_u32 v1, vcc_lo, v1, v6
	v_add_co_ci_u32_e32 v2, vcc_lo, 0, v2, vcc_lo
	ds_bpermute_b32 v6, v7, v1
	v_add_co_u32 v1, vcc_lo, 0, v1
	s_waitcnt lgkmcnt(1)
	v_add_co_ci_u32_e32 v2, vcc_lo, v5, v2, vcc_lo
	v_cmp_gt_u32_e32 vcc_lo, 4, v4
	ds_bpermute_b32 v5, v7, v2
	v_cndmask_b32_e64 v4, 0, 1, vcc_lo
	s_delay_alu instid0(VALU_DEP_1) | instskip(NEXT) | instid1(VALU_DEP_1)
	v_lshlrev_b32_e32 v4, 2, v4
	v_add_lshl_u32 v3, v4, v3, 2
	s_waitcnt lgkmcnt(1)
	v_add_co_u32 v1, vcc_lo, v1, v6
	v_add_co_ci_u32_e32 v2, vcc_lo, 0, v2, vcc_lo
	ds_bpermute_b32 v4, v3, v1
	v_add_co_u32 v1, vcc_lo, v1, 0
	s_waitcnt lgkmcnt(1)
	v_add_co_ci_u32_e32 v2, vcc_lo, v2, v5, vcc_lo
	ds_bpermute_b32 v3, v3, v2
	s_waitcnt lgkmcnt(1)
	v_add_co_u32 v1, vcc_lo, v1, v4
	v_add_co_ci_u32_e32 v2, vcc_lo, 0, v2, vcc_lo
	s_delay_alu instid0(VALU_DEP_2) | instskip(SKIP_1) | instid1(VALU_DEP_2)
	v_add_co_u32 v1, vcc_lo, v1, 0
	s_waitcnt lgkmcnt(0)
	v_add_co_ci_u32_e32 v2, vcc_lo, v2, v3, vcc_lo
.LBB233_163:
	s_or_b32 exec_lo, exec_lo, s3
.LBB233_164:
	v_cmp_eq_u32_e64 s0, 0, v0
	s_branch .LBB233_201
.LBB233_165:
                                        ; implicit-def: $vgpr1_vgpr2
	s_cbranch_execnz .LBB233_193
	s_branch .LBB233_201
.LBB233_166:
	s_branch .LBB233_201
.LBB233_167:
                                        ; implicit-def: $vgpr1_vgpr2
	s_cbranch_execz .LBB233_164
; %bb.168:
	s_sub_i32 s2, s18, s2
	s_mov_b32 s3, exec_lo
                                        ; implicit-def: $vgpr1_vgpr2_vgpr3_vgpr4
	v_cmpx_gt_u32_e64 s2, v0
	s_cbranch_execz .LBB233_170
; %bb.169:
	v_lshlrev_b32_e32 v1, 3, v0
	global_load_b64 v[1:2], v1, s[0:1]
.LBB233_170:
	s_or_b32 exec_lo, exec_lo, s3
	s_waitcnt lgkmcnt(1)
	v_or_b32_e32 v5, 0x100, v0
	s_delay_alu instid0(VALU_DEP_1)
	v_cmp_gt_u32_e32 vcc_lo, s2, v5
	s_and_saveexec_b32 s3, vcc_lo
	s_cbranch_execz .LBB233_172
; %bb.171:
	s_waitcnt lgkmcnt(0)
	v_lshlrev_b32_e32 v3, 3, v0
	global_load_b64 v[3:4], v3, s[0:1] offset:2048
.LBB233_172:
	s_or_b32 exec_lo, exec_lo, s3
	v_mbcnt_lo_u32_b32 v5, -1, 0
	s_waitcnt vmcnt(0) lgkmcnt(0)
	v_dual_cndmask_b32 v3, 0, v3 :: v_dual_cndmask_b32 v4, 0, v4
	s_delay_alu instid0(VALU_DEP_2) | instskip(NEXT) | instid1(VALU_DEP_2)
	v_cmp_ne_u32_e64 s0, 31, v5
	v_add_co_u32 v1, vcc_lo, v3, v1
	s_delay_alu instid0(VALU_DEP_3) | instskip(NEXT) | instid1(VALU_DEP_3)
	v_add_co_ci_u32_e32 v2, vcc_lo, v4, v2, vcc_lo
	v_add_co_ci_u32_e64 v6, s0, 0, v5, s0
	v_and_b32_e32 v3, 0xe0, v0
	s_min_u32 s0, s2, 0x100
	v_add_nc_u32_e32 v4, 1, v5
	s_delay_alu instid0(VALU_DEP_3) | instskip(NEXT) | instid1(VALU_DEP_3)
	v_lshlrev_b32_e32 v6, 2, v6
	v_sub_nc_u32_e64 v3, s0, v3 clamp
	ds_bpermute_b32 v7, v6, v1
	ds_bpermute_b32 v6, v6, v2
	v_cmp_lt_u32_e32 vcc_lo, v4, v3
	v_mov_b32_e32 v4, v1
	s_and_saveexec_b32 s1, vcc_lo
	s_cbranch_execz .LBB233_174
; %bb.173:
	s_waitcnt lgkmcnt(1)
	v_add_co_u32 v4, vcc_lo, v1, v7
	v_add_co_ci_u32_e32 v2, vcc_lo, 0, v2, vcc_lo
	s_delay_alu instid0(VALU_DEP_2) | instskip(SKIP_1) | instid1(VALU_DEP_2)
	v_add_co_u32 v1, vcc_lo, 0, v4
	s_waitcnt lgkmcnt(0)
	v_add_co_ci_u32_e32 v2, vcc_lo, v6, v2, vcc_lo
.LBB233_174:
	s_or_b32 exec_lo, exec_lo, s1
	v_cmp_gt_u32_e32 vcc_lo, 30, v5
	v_add_nc_u32_e32 v8, 2, v5
	s_mov_b32 s1, exec_lo
	s_waitcnt lgkmcnt(0)
	v_cndmask_b32_e64 v6, 0, 1, vcc_lo
	s_delay_alu instid0(VALU_DEP_1) | instskip(NEXT) | instid1(VALU_DEP_1)
	v_lshlrev_b32_e32 v6, 1, v6
	v_add_lshl_u32 v6, v6, v5, 2
	ds_bpermute_b32 v7, v6, v4
	ds_bpermute_b32 v6, v6, v2
	v_cmpx_lt_u32_e64 v8, v3
	s_cbranch_execz .LBB233_176
; %bb.175:
	s_waitcnt lgkmcnt(1)
	v_add_co_u32 v4, vcc_lo, v1, v7
	v_add_co_ci_u32_e32 v2, vcc_lo, 0, v2, vcc_lo
	s_delay_alu instid0(VALU_DEP_2) | instskip(SKIP_1) | instid1(VALU_DEP_2)
	v_add_co_u32 v1, vcc_lo, 0, v4
	s_waitcnt lgkmcnt(0)
	v_add_co_ci_u32_e32 v2, vcc_lo, v6, v2, vcc_lo
.LBB233_176:
	s_or_b32 exec_lo, exec_lo, s1
	v_cmp_gt_u32_e32 vcc_lo, 28, v5
	v_add_nc_u32_e32 v8, 4, v5
	s_mov_b32 s1, exec_lo
	s_waitcnt lgkmcnt(0)
	v_cndmask_b32_e64 v6, 0, 1, vcc_lo
	s_delay_alu instid0(VALU_DEP_1) | instskip(NEXT) | instid1(VALU_DEP_1)
	v_lshlrev_b32_e32 v6, 2, v6
	v_add_lshl_u32 v6, v6, v5, 2
	ds_bpermute_b32 v7, v6, v4
	ds_bpermute_b32 v6, v6, v2
	v_cmpx_lt_u32_e64 v8, v3
	;; [unrolled: 22-line block ×3, first 2 shown]
	s_cbranch_execz .LBB233_180
; %bb.179:
	s_waitcnt lgkmcnt(1)
	v_add_co_u32 v4, vcc_lo, v1, v7
	v_add_co_ci_u32_e32 v2, vcc_lo, 0, v2, vcc_lo
	s_delay_alu instid0(VALU_DEP_2) | instskip(SKIP_1) | instid1(VALU_DEP_2)
	v_add_co_u32 v1, vcc_lo, 0, v4
	s_waitcnt lgkmcnt(0)
	v_add_co_ci_u32_e32 v2, vcc_lo, v6, v2, vcc_lo
.LBB233_180:
	s_or_b32 exec_lo, exec_lo, s1
	v_cmp_gt_u32_e32 vcc_lo, 16, v5
	s_mov_b32 s1, exec_lo
	s_waitcnt lgkmcnt(0)
	v_cndmask_b32_e64 v6, 0, 1, vcc_lo
	s_delay_alu instid0(VALU_DEP_1) | instskip(NEXT) | instid1(VALU_DEP_1)
	v_lshlrev_b32_e32 v6, 4, v6
	v_add_lshl_u32 v7, v6, v5, 2
	ds_bpermute_b32 v6, v7, v4
	ds_bpermute_b32 v4, v7, v2
	v_add_nc_u32_e32 v7, 16, v5
	s_delay_alu instid0(VALU_DEP_1)
	v_cmpx_lt_u32_e64 v7, v3
	s_cbranch_execz .LBB233_182
; %bb.181:
	s_waitcnt lgkmcnt(1)
	v_add_co_u32 v1, vcc_lo, v1, v6
	v_add_co_ci_u32_e32 v2, vcc_lo, 0, v2, vcc_lo
	s_delay_alu instid0(VALU_DEP_2) | instskip(SKIP_1) | instid1(VALU_DEP_2)
	v_add_co_u32 v1, vcc_lo, v1, 0
	s_waitcnt lgkmcnt(0)
	v_add_co_ci_u32_e32 v2, vcc_lo, v2, v4, vcc_lo
.LBB233_182:
	s_or_b32 exec_lo, exec_lo, s1
	s_delay_alu instid0(SALU_CYCLE_1)
	s_mov_b32 s1, exec_lo
	v_cmpx_eq_u32_e32 0, v5
	s_cbranch_execz .LBB233_184
; %bb.183:
	v_lshrrev_b32_e32 v3, 2, v0
	s_delay_alu instid0(VALU_DEP_1)
	v_and_b32_e32 v3, 56, v3
	ds_store_b64 v3, v[1:2] offset:320
.LBB233_184:
	s_or_b32 exec_lo, exec_lo, s1
	s_delay_alu instid0(SALU_CYCLE_1)
	s_mov_b32 s1, exec_lo
	s_waitcnt lgkmcnt(0)
	s_barrier
	buffer_gl0_inv
	v_cmpx_gt_u32_e32 8, v0
	s_cbranch_execz .LBB233_192
; %bb.185:
	v_lshlrev_b32_e32 v1, 3, v5
	s_add_i32 s0, s0, 31
	s_delay_alu instid0(SALU_CYCLE_1) | instskip(SKIP_2) | instid1(VALU_DEP_1)
	s_lshr_b32 s0, s0, 5
	ds_load_b64 v[1:2], v1 offset:320
	v_and_b32_e32 v3, 7, v5
	v_cmp_ne_u32_e32 vcc_lo, 7, v3
	v_add_co_ci_u32_e32 v4, vcc_lo, 0, v5, vcc_lo
	s_delay_alu instid0(VALU_DEP_1) | instskip(SKIP_4) | instid1(VALU_DEP_1)
	v_lshlrev_b32_e32 v4, 2, v4
	s_waitcnt lgkmcnt(0)
	ds_bpermute_b32 v7, v4, v1
	ds_bpermute_b32 v6, v4, v2
	v_add_nc_u32_e32 v4, 1, v3
	v_cmp_gt_u32_e32 vcc_lo, s0, v4
	v_mov_b32_e32 v4, v1
	s_and_saveexec_b32 s2, vcc_lo
	s_cbranch_execz .LBB233_187
; %bb.186:
	s_waitcnt lgkmcnt(1)
	v_add_co_u32 v4, vcc_lo, v1, v7
	v_add_co_ci_u32_e32 v2, vcc_lo, 0, v2, vcc_lo
	s_delay_alu instid0(VALU_DEP_2) | instskip(SKIP_1) | instid1(VALU_DEP_2)
	v_add_co_u32 v1, vcc_lo, 0, v4
	s_waitcnt lgkmcnt(0)
	v_add_co_ci_u32_e32 v2, vcc_lo, v6, v2, vcc_lo
.LBB233_187:
	s_or_b32 exec_lo, exec_lo, s2
	v_cmp_gt_u32_e32 vcc_lo, 6, v3
	v_add_nc_u32_e32 v8, 2, v3
	s_mov_b32 s2, exec_lo
	s_waitcnt lgkmcnt(0)
	v_cndmask_b32_e64 v6, 0, 1, vcc_lo
	s_delay_alu instid0(VALU_DEP_1) | instskip(NEXT) | instid1(VALU_DEP_1)
	v_lshlrev_b32_e32 v6, 1, v6
	v_add_lshl_u32 v6, v6, v5, 2
	ds_bpermute_b32 v7, v6, v4
	ds_bpermute_b32 v6, v6, v2
	v_cmpx_gt_u32_e64 s0, v8
	s_cbranch_execz .LBB233_189
; %bb.188:
	s_waitcnt lgkmcnt(1)
	v_add_co_u32 v4, vcc_lo, v1, v7
	v_add_co_ci_u32_e32 v2, vcc_lo, 0, v2, vcc_lo
	s_delay_alu instid0(VALU_DEP_2) | instskip(SKIP_1) | instid1(VALU_DEP_2)
	v_add_co_u32 v1, vcc_lo, 0, v4
	s_waitcnt lgkmcnt(0)
	v_add_co_ci_u32_e32 v2, vcc_lo, v6, v2, vcc_lo
.LBB233_189:
	s_or_b32 exec_lo, exec_lo, s2
	v_cmp_gt_u32_e32 vcc_lo, 4, v3
	v_add_nc_u32_e32 v3, 4, v3
	s_waitcnt lgkmcnt(0)
	v_cndmask_b32_e64 v6, 0, 1, vcc_lo
	s_delay_alu instid0(VALU_DEP_2) | instskip(NEXT) | instid1(VALU_DEP_2)
	v_cmp_gt_u32_e32 vcc_lo, s0, v3
	v_lshlrev_b32_e32 v6, 2, v6
	s_delay_alu instid0(VALU_DEP_1)
	v_add_lshl_u32 v6, v6, v5, 2
	ds_bpermute_b32 v5, v6, v4
	ds_bpermute_b32 v4, v6, v2
	s_and_saveexec_b32 s0, vcc_lo
	s_cbranch_execz .LBB233_191
; %bb.190:
	s_waitcnt lgkmcnt(1)
	v_add_co_u32 v1, vcc_lo, v1, v5
	v_add_co_ci_u32_e32 v2, vcc_lo, 0, v2, vcc_lo
	s_delay_alu instid0(VALU_DEP_2) | instskip(SKIP_1) | instid1(VALU_DEP_2)
	v_add_co_u32 v1, vcc_lo, v1, 0
	s_waitcnt lgkmcnt(0)
	v_add_co_ci_u32_e32 v2, vcc_lo, v2, v4, vcc_lo
.LBB233_191:
	s_or_b32 exec_lo, exec_lo, s0
.LBB233_192:
	s_delay_alu instid0(SALU_CYCLE_1)
	s_or_b32 exec_lo, exec_lo, s1
	v_cmp_eq_u32_e64 s0, 0, v0
	s_branch .LBB233_201
.LBB233_193:
	s_cmp_eq_u32 s26, 1
                                        ; implicit-def: $vgpr1_vgpr2
	s_cbranch_scc0 .LBB233_201
; %bb.194:
	s_mov_b32 s1, 0
	s_waitcnt lgkmcnt(0)
	v_mbcnt_lo_u32_b32 v3, -1, 0
	s_lshr_b64 s[2:3], s[18:19], 8
	s_mov_b32 s15, s1
	s_lshl_b32 s0, s14, 8
	s_cmp_lg_u64 s[2:3], s[14:15]
	s_cbranch_scc0 .LBB233_204
; %bb.195:
	s_lshl_b64 s[2:3], s[0:1], 3
	v_lshlrev_b32_e32 v1, 3, v0
	s_add_u32 s2, s16, s2
	s_addc_u32 s3, s17, s3
	global_load_b64 v[1:2], v1, s[2:3]
	s_mov_b32 s2, exec_lo
	s_waitcnt vmcnt(0)
	v_mov_b32_dpp v4, v1 quad_perm:[1,0,3,2] row_mask:0xf bank_mask:0xf
	s_delay_alu instid0(VALU_DEP_1) | instskip(SKIP_2) | instid1(VALU_DEP_3)
	v_add_co_u32 v1, vcc_lo, v1, v4
	v_mov_b32_dpp v4, v2 quad_perm:[1,0,3,2] row_mask:0xf bank_mask:0xf
	v_add_co_ci_u32_e32 v2, vcc_lo, 0, v2, vcc_lo
	v_mov_b32_dpp v5, v1 quad_perm:[2,3,0,1] row_mask:0xf bank_mask:0xf
	v_add_co_u32 v1, vcc_lo, 0, v1
	s_delay_alu instid0(VALU_DEP_3) | instskip(NEXT) | instid1(VALU_DEP_2)
	v_add_co_ci_u32_e32 v2, vcc_lo, v4, v2, vcc_lo
	v_add_co_u32 v1, vcc_lo, v1, v5
	s_delay_alu instid0(VALU_DEP_2) | instskip(SKIP_1) | instid1(VALU_DEP_3)
	v_mov_b32_dpp v4, v2 quad_perm:[2,3,0,1] row_mask:0xf bank_mask:0xf
	v_add_co_ci_u32_e32 v2, vcc_lo, 0, v2, vcc_lo
	v_mov_b32_dpp v5, v1 row_ror:4 row_mask:0xf bank_mask:0xf
	v_add_co_u32 v1, vcc_lo, v1, 0
	s_delay_alu instid0(VALU_DEP_3) | instskip(NEXT) | instid1(VALU_DEP_2)
	v_add_co_ci_u32_e32 v2, vcc_lo, v2, v4, vcc_lo
	v_add_co_u32 v1, vcc_lo, v1, v5
	s_delay_alu instid0(VALU_DEP_2) | instskip(SKIP_1) | instid1(VALU_DEP_3)
	v_mov_b32_dpp v4, v2 row_ror:4 row_mask:0xf bank_mask:0xf
	v_add_co_ci_u32_e32 v2, vcc_lo, 0, v2, vcc_lo
	v_mov_b32_dpp v5, v1 row_ror:8 row_mask:0xf bank_mask:0xf
	v_add_co_u32 v1, vcc_lo, v1, 0
	s_delay_alu instid0(VALU_DEP_3) | instskip(NEXT) | instid1(VALU_DEP_2)
	v_add_co_ci_u32_e32 v2, vcc_lo, v2, v4, vcc_lo
	v_add_co_u32 v1, vcc_lo, v1, v5
	s_delay_alu instid0(VALU_DEP_2)
	v_mov_b32_dpp v4, v2 row_ror:8 row_mask:0xf bank_mask:0xf
	v_add_co_ci_u32_e32 v2, vcc_lo, 0, v2, vcc_lo
	ds_swizzle_b32 v5, v1 offset:swizzle(BROADCAST,32,15)
	v_add_co_u32 v1, vcc_lo, v1, 0
	v_add_co_ci_u32_e32 v2, vcc_lo, v2, v4, vcc_lo
	ds_swizzle_b32 v4, v2 offset:swizzle(BROADCAST,32,15)
	s_waitcnt lgkmcnt(1)
	v_add_co_u32 v1, vcc_lo, v1, v5
	v_add_co_ci_u32_e32 v2, vcc_lo, 0, v2, vcc_lo
	s_waitcnt lgkmcnt(0)
	s_delay_alu instid0(VALU_DEP_1)
	v_dual_mov_b32 v5, 0 :: v_dual_add_nc_u32 v2, v4, v2
	ds_bpermute_b32 v1, v5, v1 offset:124
	ds_bpermute_b32 v2, v5, v2 offset:124
	v_cmpx_eq_u32_e32 0, v3
	s_cbranch_execz .LBB233_197
; %bb.196:
	v_lshrrev_b32_e32 v4, 2, v0
	s_delay_alu instid0(VALU_DEP_1)
	v_and_b32_e32 v4, 56, v4
	s_waitcnt lgkmcnt(0)
	ds_store_b64 v4, v[1:2] offset:64
.LBB233_197:
	s_or_b32 exec_lo, exec_lo, s2
	s_delay_alu instid0(SALU_CYCLE_1)
	s_mov_b32 s2, exec_lo
	s_waitcnt lgkmcnt(0)
	s_barrier
	buffer_gl0_inv
	v_cmpx_gt_u32_e32 32, v0
	s_cbranch_execz .LBB233_199
; %bb.198:
	v_and_b32_e32 v4, 7, v3
	s_delay_alu instid0(VALU_DEP_1) | instskip(SKIP_4) | instid1(VALU_DEP_2)
	v_lshlrev_b32_e32 v1, 3, v4
	v_cmp_ne_u32_e32 vcc_lo, 7, v4
	ds_load_b64 v[1:2], v1 offset:64
	v_add_co_ci_u32_e32 v5, vcc_lo, 0, v3, vcc_lo
	v_cmp_gt_u32_e32 vcc_lo, 6, v4
	v_lshlrev_b32_e32 v5, 2, v5
	v_cndmask_b32_e64 v7, 0, 1, vcc_lo
	s_delay_alu instid0(VALU_DEP_1) | instskip(NEXT) | instid1(VALU_DEP_1)
	v_lshlrev_b32_e32 v7, 1, v7
	v_add_lshl_u32 v7, v7, v3, 2
	s_waitcnt lgkmcnt(0)
	ds_bpermute_b32 v6, v5, v1
	ds_bpermute_b32 v5, v5, v2
	s_waitcnt lgkmcnt(1)
	v_add_co_u32 v1, vcc_lo, v1, v6
	v_add_co_ci_u32_e32 v2, vcc_lo, 0, v2, vcc_lo
	ds_bpermute_b32 v6, v7, v1
	v_add_co_u32 v1, vcc_lo, 0, v1
	s_waitcnt lgkmcnt(1)
	v_add_co_ci_u32_e32 v2, vcc_lo, v5, v2, vcc_lo
	v_cmp_gt_u32_e32 vcc_lo, 4, v4
	ds_bpermute_b32 v5, v7, v2
	v_cndmask_b32_e64 v4, 0, 1, vcc_lo
	s_delay_alu instid0(VALU_DEP_1) | instskip(NEXT) | instid1(VALU_DEP_1)
	v_lshlrev_b32_e32 v4, 2, v4
	v_add_lshl_u32 v4, v4, v3, 2
	s_waitcnt lgkmcnt(1)
	v_add_co_u32 v1, vcc_lo, v1, v6
	v_add_co_ci_u32_e32 v2, vcc_lo, 0, v2, vcc_lo
	ds_bpermute_b32 v6, v4, v1
	v_add_co_u32 v1, vcc_lo, v1, 0
	s_waitcnt lgkmcnt(1)
	v_add_co_ci_u32_e32 v2, vcc_lo, v2, v5, vcc_lo
	ds_bpermute_b32 v4, v4, v2
	s_waitcnt lgkmcnt(1)
	v_add_co_u32 v1, vcc_lo, v1, v6
	v_add_co_ci_u32_e32 v2, vcc_lo, 0, v2, vcc_lo
	s_delay_alu instid0(VALU_DEP_2) | instskip(SKIP_1) | instid1(VALU_DEP_2)
	v_add_co_u32 v1, vcc_lo, v1, 0
	s_waitcnt lgkmcnt(0)
	v_add_co_ci_u32_e32 v2, vcc_lo, v2, v4, vcc_lo
.LBB233_199:
	s_or_b32 exec_lo, exec_lo, s2
.LBB233_200:
	v_cmp_eq_u32_e64 s0, 0, v0
.LBB233_201:
	s_delay_alu instid0(VALU_DEP_1)
	s_and_saveexec_b32 s1, s0
	s_cbranch_execz .LBB233_203
.LBB233_202:
	s_lshl_b64 s[0:1], s[14:15], 3
	s_waitcnt lgkmcnt(0)
	v_mov_b32_e32 v3, 0
	s_add_u32 s0, s20, s0
	s_addc_u32 s1, s21, s1
	s_cmp_lg_u64 s[18:19], 0
	s_cselect_b32 vcc_lo, -1, 0
	v_cndmask_b32_e32 v0, 0, v1, vcc_lo
	v_cndmask_b32_e32 v2, 0, v2, vcc_lo
	s_delay_alu instid0(VALU_DEP_2) | instskip(NEXT) | instid1(VALU_DEP_2)
	v_add_co_u32 v0, vcc_lo, v0, s22
	v_add_co_ci_u32_e32 v1, vcc_lo, s23, v2, vcc_lo
	global_store_b64 v3, v[0:1], s[0:1]
.LBB233_203:
	s_nop 0
	s_sendmsg sendmsg(MSG_DEALLOC_VGPRS)
	s_endpgm
.LBB233_204:
                                        ; implicit-def: $vgpr1_vgpr2
	s_cbranch_execz .LBB233_200
; %bb.205:
	s_sub_i32 s2, s18, s0
	s_mov_b32 s3, exec_lo
                                        ; implicit-def: $vgpr1_vgpr2
	v_cmpx_gt_u32_e64 s2, v0
	s_cbranch_execz .LBB233_207
; %bb.206:
	s_lshl_b64 s[0:1], s[0:1], 3
	v_lshlrev_b32_e32 v1, 3, v0
	s_add_u32 s0, s16, s0
	s_addc_u32 s1, s17, s1
	global_load_b64 v[1:2], v1, s[0:1]
.LBB233_207:
	s_or_b32 exec_lo, exec_lo, s3
	v_cmp_ne_u32_e32 vcc_lo, 31, v3
	s_min_u32 s0, s2, 0x100
	v_add_nc_u32_e32 v5, 1, v3
	v_add_co_ci_u32_e32 v4, vcc_lo, 0, v3, vcc_lo
	s_delay_alu instid0(VALU_DEP_1) | instskip(SKIP_4) | instid1(VALU_DEP_1)
	v_lshlrev_b32_e32 v4, 2, v4
	s_waitcnt vmcnt(0)
	ds_bpermute_b32 v7, v4, v1
	ds_bpermute_b32 v6, v4, v2
	v_and_b32_e32 v4, 0xe0, v0
	v_sub_nc_u32_e64 v4, s0, v4 clamp
	s_delay_alu instid0(VALU_DEP_1)
	v_cmp_lt_u32_e32 vcc_lo, v5, v4
	v_mov_b32_e32 v5, v1
	s_and_saveexec_b32 s1, vcc_lo
	s_cbranch_execz .LBB233_209
; %bb.208:
	s_waitcnt lgkmcnt(1)
	v_add_co_u32 v5, vcc_lo, v1, v7
	v_add_co_ci_u32_e32 v2, vcc_lo, 0, v2, vcc_lo
	s_delay_alu instid0(VALU_DEP_2) | instskip(SKIP_1) | instid1(VALU_DEP_2)
	v_add_co_u32 v1, vcc_lo, 0, v5
	s_waitcnt lgkmcnt(0)
	v_add_co_ci_u32_e32 v2, vcc_lo, v6, v2, vcc_lo
.LBB233_209:
	s_or_b32 exec_lo, exec_lo, s1
	v_cmp_gt_u32_e32 vcc_lo, 30, v3
	v_add_nc_u32_e32 v8, 2, v3
	s_mov_b32 s1, exec_lo
	s_waitcnt lgkmcnt(0)
	v_cndmask_b32_e64 v6, 0, 1, vcc_lo
	s_delay_alu instid0(VALU_DEP_1) | instskip(NEXT) | instid1(VALU_DEP_1)
	v_lshlrev_b32_e32 v6, 1, v6
	v_add_lshl_u32 v6, v6, v3, 2
	ds_bpermute_b32 v7, v6, v5
	ds_bpermute_b32 v6, v6, v2
	v_cmpx_lt_u32_e64 v8, v4
	s_cbranch_execz .LBB233_211
; %bb.210:
	s_waitcnt lgkmcnt(1)
	v_add_co_u32 v5, vcc_lo, v1, v7
	v_add_co_ci_u32_e32 v2, vcc_lo, 0, v2, vcc_lo
	s_delay_alu instid0(VALU_DEP_2) | instskip(SKIP_1) | instid1(VALU_DEP_2)
	v_add_co_u32 v1, vcc_lo, 0, v5
	s_waitcnt lgkmcnt(0)
	v_add_co_ci_u32_e32 v2, vcc_lo, v6, v2, vcc_lo
.LBB233_211:
	s_or_b32 exec_lo, exec_lo, s1
	v_cmp_gt_u32_e32 vcc_lo, 28, v3
	v_add_nc_u32_e32 v8, 4, v3
	s_mov_b32 s1, exec_lo
	s_waitcnt lgkmcnt(0)
	v_cndmask_b32_e64 v6, 0, 1, vcc_lo
	s_delay_alu instid0(VALU_DEP_1) | instskip(NEXT) | instid1(VALU_DEP_1)
	v_lshlrev_b32_e32 v6, 2, v6
	v_add_lshl_u32 v6, v6, v3, 2
	ds_bpermute_b32 v7, v6, v5
	ds_bpermute_b32 v6, v6, v2
	v_cmpx_lt_u32_e64 v8, v4
	;; [unrolled: 22-line block ×3, first 2 shown]
	s_cbranch_execz .LBB233_215
; %bb.214:
	s_waitcnt lgkmcnt(1)
	v_add_co_u32 v5, vcc_lo, v1, v7
	v_add_co_ci_u32_e32 v2, vcc_lo, 0, v2, vcc_lo
	s_delay_alu instid0(VALU_DEP_2) | instskip(SKIP_1) | instid1(VALU_DEP_2)
	v_add_co_u32 v1, vcc_lo, 0, v5
	s_waitcnt lgkmcnt(0)
	v_add_co_ci_u32_e32 v2, vcc_lo, v6, v2, vcc_lo
.LBB233_215:
	s_or_b32 exec_lo, exec_lo, s1
	v_cmp_gt_u32_e32 vcc_lo, 16, v3
	s_mov_b32 s1, exec_lo
	s_waitcnt lgkmcnt(0)
	v_cndmask_b32_e64 v6, 0, 1, vcc_lo
	s_delay_alu instid0(VALU_DEP_1) | instskip(NEXT) | instid1(VALU_DEP_1)
	v_lshlrev_b32_e32 v6, 4, v6
	v_add_lshl_u32 v7, v6, v3, 2
	ds_bpermute_b32 v6, v7, v5
	ds_bpermute_b32 v5, v7, v2
	v_add_nc_u32_e32 v7, 16, v3
	s_delay_alu instid0(VALU_DEP_1)
	v_cmpx_lt_u32_e64 v7, v4
	s_cbranch_execz .LBB233_217
; %bb.216:
	s_waitcnt lgkmcnt(1)
	v_add_co_u32 v1, vcc_lo, v1, v6
	v_add_co_ci_u32_e32 v2, vcc_lo, 0, v2, vcc_lo
	s_delay_alu instid0(VALU_DEP_2) | instskip(SKIP_1) | instid1(VALU_DEP_2)
	v_add_co_u32 v1, vcc_lo, v1, 0
	s_waitcnt lgkmcnt(0)
	v_add_co_ci_u32_e32 v2, vcc_lo, v2, v5, vcc_lo
.LBB233_217:
	s_or_b32 exec_lo, exec_lo, s1
	s_delay_alu instid0(SALU_CYCLE_1)
	s_mov_b32 s1, exec_lo
	v_cmpx_eq_u32_e32 0, v3
	s_cbranch_execz .LBB233_219
; %bb.218:
	v_lshrrev_b32_e32 v4, 2, v0
	s_delay_alu instid0(VALU_DEP_1)
	v_and_b32_e32 v4, 56, v4
	ds_store_b64 v4, v[1:2] offset:320
.LBB233_219:
	s_or_b32 exec_lo, exec_lo, s1
	s_delay_alu instid0(SALU_CYCLE_1)
	s_mov_b32 s1, exec_lo
	s_waitcnt lgkmcnt(0)
	s_barrier
	buffer_gl0_inv
	v_cmpx_gt_u32_e32 8, v0
	s_cbranch_execz .LBB233_227
; %bb.220:
	v_lshlrev_b32_e32 v1, 3, v3
	s_add_i32 s0, s0, 31
	s_delay_alu instid0(SALU_CYCLE_1) | instskip(SKIP_2) | instid1(VALU_DEP_1)
	s_lshr_b32 s0, s0, 5
	ds_load_b64 v[1:2], v1 offset:320
	v_and_b32_e32 v4, 7, v3
	v_cmp_ne_u32_e32 vcc_lo, 7, v4
	v_add_co_ci_u32_e32 v5, vcc_lo, 0, v3, vcc_lo
	s_delay_alu instid0(VALU_DEP_1) | instskip(SKIP_4) | instid1(VALU_DEP_1)
	v_lshlrev_b32_e32 v5, 2, v5
	s_waitcnt lgkmcnt(0)
	ds_bpermute_b32 v7, v5, v1
	ds_bpermute_b32 v6, v5, v2
	v_add_nc_u32_e32 v5, 1, v4
	v_cmp_gt_u32_e32 vcc_lo, s0, v5
	v_mov_b32_e32 v5, v1
	s_and_saveexec_b32 s2, vcc_lo
	s_cbranch_execz .LBB233_222
; %bb.221:
	s_waitcnt lgkmcnt(1)
	v_add_co_u32 v5, vcc_lo, v1, v7
	v_add_co_ci_u32_e32 v2, vcc_lo, 0, v2, vcc_lo
	s_delay_alu instid0(VALU_DEP_2) | instskip(SKIP_1) | instid1(VALU_DEP_2)
	v_add_co_u32 v1, vcc_lo, 0, v5
	s_waitcnt lgkmcnt(0)
	v_add_co_ci_u32_e32 v2, vcc_lo, v6, v2, vcc_lo
.LBB233_222:
	s_or_b32 exec_lo, exec_lo, s2
	v_cmp_gt_u32_e32 vcc_lo, 6, v4
	v_add_nc_u32_e32 v8, 2, v4
	s_mov_b32 s2, exec_lo
	s_waitcnt lgkmcnt(0)
	v_cndmask_b32_e64 v6, 0, 1, vcc_lo
	s_delay_alu instid0(VALU_DEP_1) | instskip(NEXT) | instid1(VALU_DEP_1)
	v_lshlrev_b32_e32 v6, 1, v6
	v_add_lshl_u32 v6, v6, v3, 2
	ds_bpermute_b32 v7, v6, v5
	ds_bpermute_b32 v6, v6, v2
	v_cmpx_gt_u32_e64 s0, v8
	s_cbranch_execz .LBB233_224
; %bb.223:
	s_waitcnt lgkmcnt(1)
	v_add_co_u32 v5, vcc_lo, v1, v7
	v_add_co_ci_u32_e32 v2, vcc_lo, 0, v2, vcc_lo
	s_delay_alu instid0(VALU_DEP_2) | instskip(SKIP_1) | instid1(VALU_DEP_2)
	v_add_co_u32 v1, vcc_lo, 0, v5
	s_waitcnt lgkmcnt(0)
	v_add_co_ci_u32_e32 v2, vcc_lo, v6, v2, vcc_lo
.LBB233_224:
	s_or_b32 exec_lo, exec_lo, s2
	v_cmp_gt_u32_e32 vcc_lo, 4, v4
	v_add_nc_u32_e32 v4, 4, v4
	s_waitcnt lgkmcnt(0)
	v_cndmask_b32_e64 v6, 0, 1, vcc_lo
	s_delay_alu instid0(VALU_DEP_2) | instskip(NEXT) | instid1(VALU_DEP_2)
	v_cmp_gt_u32_e32 vcc_lo, s0, v4
	v_lshlrev_b32_e32 v6, 2, v6
	s_delay_alu instid0(VALU_DEP_1)
	v_add_lshl_u32 v3, v6, v3, 2
	ds_bpermute_b32 v5, v3, v5
	ds_bpermute_b32 v3, v3, v2
	s_and_saveexec_b32 s0, vcc_lo
	s_cbranch_execz .LBB233_226
; %bb.225:
	s_waitcnt lgkmcnt(1)
	v_add_co_u32 v1, vcc_lo, v1, v5
	v_add_co_ci_u32_e32 v2, vcc_lo, 0, v2, vcc_lo
	s_delay_alu instid0(VALU_DEP_2) | instskip(SKIP_1) | instid1(VALU_DEP_2)
	v_add_co_u32 v1, vcc_lo, v1, 0
	s_waitcnt lgkmcnt(0)
	v_add_co_ci_u32_e32 v2, vcc_lo, v2, v3, vcc_lo
.LBB233_226:
	s_or_b32 exec_lo, exec_lo, s0
.LBB233_227:
	s_delay_alu instid0(SALU_CYCLE_1) | instskip(SKIP_1) | instid1(VALU_DEP_1)
	s_or_b32 exec_lo, exec_lo, s1
	v_cmp_eq_u32_e64 s0, 0, v0
	s_and_saveexec_b32 s1, s0
	s_cbranch_execnz .LBB233_202
	s_branch .LBB233_203
	.section	.rodata,"a",@progbits
	.p2align	6, 0x0
	.amdhsa_kernel _ZN7rocprim17ROCPRIM_400000_NS6detail17trampoline_kernelINS0_14default_configENS1_22reduce_config_selectorIlEEZNS1_11reduce_implILb1ES3_PlS7_lN6hipcub16HIPCUB_304000_NS6detail34convert_binary_result_type_wrapperINS9_3SumENS9_22TransformInputIteratorIb7NonZeroIfEPflEElEEEE10hipError_tPvRmT1_T2_T3_mT4_P12ihipStream_tbEUlT_E1_NS1_11comp_targetILNS1_3genE9ELNS1_11target_archE1100ELNS1_3gpuE3ELNS1_3repE0EEENS1_30default_config_static_selectorELNS0_4arch9wavefront6targetE0EEEvSM_
		.amdhsa_group_segment_fixed_size 384
		.amdhsa_private_segment_fixed_size 0
		.amdhsa_kernarg_size 48
		.amdhsa_user_sgpr_count 15
		.amdhsa_user_sgpr_dispatch_ptr 0
		.amdhsa_user_sgpr_queue_ptr 0
		.amdhsa_user_sgpr_kernarg_segment_ptr 1
		.amdhsa_user_sgpr_dispatch_id 0
		.amdhsa_user_sgpr_private_segment_size 0
		.amdhsa_wavefront_size32 1
		.amdhsa_uses_dynamic_stack 0
		.amdhsa_enable_private_segment 0
		.amdhsa_system_sgpr_workgroup_id_x 1
		.amdhsa_system_sgpr_workgroup_id_y 0
		.amdhsa_system_sgpr_workgroup_id_z 0
		.amdhsa_system_sgpr_workgroup_info 0
		.amdhsa_system_vgpr_workitem_id 0
		.amdhsa_next_free_vgpr 34
		.amdhsa_next_free_sgpr 30
		.amdhsa_reserve_vcc 1
		.amdhsa_float_round_mode_32 0
		.amdhsa_float_round_mode_16_64 0
		.amdhsa_float_denorm_mode_32 3
		.amdhsa_float_denorm_mode_16_64 3
		.amdhsa_dx10_clamp 1
		.amdhsa_ieee_mode 1
		.amdhsa_fp16_overflow 0
		.amdhsa_workgroup_processor_mode 1
		.amdhsa_memory_ordered 1
		.amdhsa_forward_progress 0
		.amdhsa_shared_vgpr_count 0
		.amdhsa_exception_fp_ieee_invalid_op 0
		.amdhsa_exception_fp_denorm_src 0
		.amdhsa_exception_fp_ieee_div_zero 0
		.amdhsa_exception_fp_ieee_overflow 0
		.amdhsa_exception_fp_ieee_underflow 0
		.amdhsa_exception_fp_ieee_inexact 0
		.amdhsa_exception_int_div_zero 0
	.end_amdhsa_kernel
	.section	.text._ZN7rocprim17ROCPRIM_400000_NS6detail17trampoline_kernelINS0_14default_configENS1_22reduce_config_selectorIlEEZNS1_11reduce_implILb1ES3_PlS7_lN6hipcub16HIPCUB_304000_NS6detail34convert_binary_result_type_wrapperINS9_3SumENS9_22TransformInputIteratorIb7NonZeroIfEPflEElEEEE10hipError_tPvRmT1_T2_T3_mT4_P12ihipStream_tbEUlT_E1_NS1_11comp_targetILNS1_3genE9ELNS1_11target_archE1100ELNS1_3gpuE3ELNS1_3repE0EEENS1_30default_config_static_selectorELNS0_4arch9wavefront6targetE0EEEvSM_,"axG",@progbits,_ZN7rocprim17ROCPRIM_400000_NS6detail17trampoline_kernelINS0_14default_configENS1_22reduce_config_selectorIlEEZNS1_11reduce_implILb1ES3_PlS7_lN6hipcub16HIPCUB_304000_NS6detail34convert_binary_result_type_wrapperINS9_3SumENS9_22TransformInputIteratorIb7NonZeroIfEPflEElEEEE10hipError_tPvRmT1_T2_T3_mT4_P12ihipStream_tbEUlT_E1_NS1_11comp_targetILNS1_3genE9ELNS1_11target_archE1100ELNS1_3gpuE3ELNS1_3repE0EEENS1_30default_config_static_selectorELNS0_4arch9wavefront6targetE0EEEvSM_,comdat
.Lfunc_end233:
	.size	_ZN7rocprim17ROCPRIM_400000_NS6detail17trampoline_kernelINS0_14default_configENS1_22reduce_config_selectorIlEEZNS1_11reduce_implILb1ES3_PlS7_lN6hipcub16HIPCUB_304000_NS6detail34convert_binary_result_type_wrapperINS9_3SumENS9_22TransformInputIteratorIb7NonZeroIfEPflEElEEEE10hipError_tPvRmT1_T2_T3_mT4_P12ihipStream_tbEUlT_E1_NS1_11comp_targetILNS1_3genE9ELNS1_11target_archE1100ELNS1_3gpuE3ELNS1_3repE0EEENS1_30default_config_static_selectorELNS0_4arch9wavefront6targetE0EEEvSM_, .Lfunc_end233-_ZN7rocprim17ROCPRIM_400000_NS6detail17trampoline_kernelINS0_14default_configENS1_22reduce_config_selectorIlEEZNS1_11reduce_implILb1ES3_PlS7_lN6hipcub16HIPCUB_304000_NS6detail34convert_binary_result_type_wrapperINS9_3SumENS9_22TransformInputIteratorIb7NonZeroIfEPflEElEEEE10hipError_tPvRmT1_T2_T3_mT4_P12ihipStream_tbEUlT_E1_NS1_11comp_targetILNS1_3genE9ELNS1_11target_archE1100ELNS1_3gpuE3ELNS1_3repE0EEENS1_30default_config_static_selectorELNS0_4arch9wavefront6targetE0EEEvSM_
                                        ; -- End function
	.section	.AMDGPU.csdata,"",@progbits
; Kernel info:
; codeLenInByte = 11700
; NumSgprs: 32
; NumVgprs: 34
; ScratchSize: 0
; MemoryBound: 0
; FloatMode: 240
; IeeeMode: 1
; LDSByteSize: 384 bytes/workgroup (compile time only)
; SGPRBlocks: 3
; VGPRBlocks: 4
; NumSGPRsForWavesPerEU: 32
; NumVGPRsForWavesPerEU: 34
; Occupancy: 16
; WaveLimiterHint : 1
; COMPUTE_PGM_RSRC2:SCRATCH_EN: 0
; COMPUTE_PGM_RSRC2:USER_SGPR: 15
; COMPUTE_PGM_RSRC2:TRAP_HANDLER: 0
; COMPUTE_PGM_RSRC2:TGID_X_EN: 1
; COMPUTE_PGM_RSRC2:TGID_Y_EN: 0
; COMPUTE_PGM_RSRC2:TGID_Z_EN: 0
; COMPUTE_PGM_RSRC2:TIDIG_COMP_CNT: 0
	.section	.text._ZN7rocprim17ROCPRIM_400000_NS6detail17trampoline_kernelINS0_14default_configENS1_22reduce_config_selectorIlEEZNS1_11reduce_implILb1ES3_PlS7_lN6hipcub16HIPCUB_304000_NS6detail34convert_binary_result_type_wrapperINS9_3SumENS9_22TransformInputIteratorIb7NonZeroIfEPflEElEEEE10hipError_tPvRmT1_T2_T3_mT4_P12ihipStream_tbEUlT_E1_NS1_11comp_targetILNS1_3genE8ELNS1_11target_archE1030ELNS1_3gpuE2ELNS1_3repE0EEENS1_30default_config_static_selectorELNS0_4arch9wavefront6targetE0EEEvSM_,"axG",@progbits,_ZN7rocprim17ROCPRIM_400000_NS6detail17trampoline_kernelINS0_14default_configENS1_22reduce_config_selectorIlEEZNS1_11reduce_implILb1ES3_PlS7_lN6hipcub16HIPCUB_304000_NS6detail34convert_binary_result_type_wrapperINS9_3SumENS9_22TransformInputIteratorIb7NonZeroIfEPflEElEEEE10hipError_tPvRmT1_T2_T3_mT4_P12ihipStream_tbEUlT_E1_NS1_11comp_targetILNS1_3genE8ELNS1_11target_archE1030ELNS1_3gpuE2ELNS1_3repE0EEENS1_30default_config_static_selectorELNS0_4arch9wavefront6targetE0EEEvSM_,comdat
	.protected	_ZN7rocprim17ROCPRIM_400000_NS6detail17trampoline_kernelINS0_14default_configENS1_22reduce_config_selectorIlEEZNS1_11reduce_implILb1ES3_PlS7_lN6hipcub16HIPCUB_304000_NS6detail34convert_binary_result_type_wrapperINS9_3SumENS9_22TransformInputIteratorIb7NonZeroIfEPflEElEEEE10hipError_tPvRmT1_T2_T3_mT4_P12ihipStream_tbEUlT_E1_NS1_11comp_targetILNS1_3genE8ELNS1_11target_archE1030ELNS1_3gpuE2ELNS1_3repE0EEENS1_30default_config_static_selectorELNS0_4arch9wavefront6targetE0EEEvSM_ ; -- Begin function _ZN7rocprim17ROCPRIM_400000_NS6detail17trampoline_kernelINS0_14default_configENS1_22reduce_config_selectorIlEEZNS1_11reduce_implILb1ES3_PlS7_lN6hipcub16HIPCUB_304000_NS6detail34convert_binary_result_type_wrapperINS9_3SumENS9_22TransformInputIteratorIb7NonZeroIfEPflEElEEEE10hipError_tPvRmT1_T2_T3_mT4_P12ihipStream_tbEUlT_E1_NS1_11comp_targetILNS1_3genE8ELNS1_11target_archE1030ELNS1_3gpuE2ELNS1_3repE0EEENS1_30default_config_static_selectorELNS0_4arch9wavefront6targetE0EEEvSM_
	.globl	_ZN7rocprim17ROCPRIM_400000_NS6detail17trampoline_kernelINS0_14default_configENS1_22reduce_config_selectorIlEEZNS1_11reduce_implILb1ES3_PlS7_lN6hipcub16HIPCUB_304000_NS6detail34convert_binary_result_type_wrapperINS9_3SumENS9_22TransformInputIteratorIb7NonZeroIfEPflEElEEEE10hipError_tPvRmT1_T2_T3_mT4_P12ihipStream_tbEUlT_E1_NS1_11comp_targetILNS1_3genE8ELNS1_11target_archE1030ELNS1_3gpuE2ELNS1_3repE0EEENS1_30default_config_static_selectorELNS0_4arch9wavefront6targetE0EEEvSM_
	.p2align	8
	.type	_ZN7rocprim17ROCPRIM_400000_NS6detail17trampoline_kernelINS0_14default_configENS1_22reduce_config_selectorIlEEZNS1_11reduce_implILb1ES3_PlS7_lN6hipcub16HIPCUB_304000_NS6detail34convert_binary_result_type_wrapperINS9_3SumENS9_22TransformInputIteratorIb7NonZeroIfEPflEElEEEE10hipError_tPvRmT1_T2_T3_mT4_P12ihipStream_tbEUlT_E1_NS1_11comp_targetILNS1_3genE8ELNS1_11target_archE1030ELNS1_3gpuE2ELNS1_3repE0EEENS1_30default_config_static_selectorELNS0_4arch9wavefront6targetE0EEEvSM_,@function
_ZN7rocprim17ROCPRIM_400000_NS6detail17trampoline_kernelINS0_14default_configENS1_22reduce_config_selectorIlEEZNS1_11reduce_implILb1ES3_PlS7_lN6hipcub16HIPCUB_304000_NS6detail34convert_binary_result_type_wrapperINS9_3SumENS9_22TransformInputIteratorIb7NonZeroIfEPflEElEEEE10hipError_tPvRmT1_T2_T3_mT4_P12ihipStream_tbEUlT_E1_NS1_11comp_targetILNS1_3genE8ELNS1_11target_archE1030ELNS1_3gpuE2ELNS1_3repE0EEENS1_30default_config_static_selectorELNS0_4arch9wavefront6targetE0EEEvSM_: ; @_ZN7rocprim17ROCPRIM_400000_NS6detail17trampoline_kernelINS0_14default_configENS1_22reduce_config_selectorIlEEZNS1_11reduce_implILb1ES3_PlS7_lN6hipcub16HIPCUB_304000_NS6detail34convert_binary_result_type_wrapperINS9_3SumENS9_22TransformInputIteratorIb7NonZeroIfEPflEElEEEE10hipError_tPvRmT1_T2_T3_mT4_P12ihipStream_tbEUlT_E1_NS1_11comp_targetILNS1_3genE8ELNS1_11target_archE1030ELNS1_3gpuE2ELNS1_3repE0EEENS1_30default_config_static_selectorELNS0_4arch9wavefront6targetE0EEEvSM_
; %bb.0:
	.section	.rodata,"a",@progbits
	.p2align	6, 0x0
	.amdhsa_kernel _ZN7rocprim17ROCPRIM_400000_NS6detail17trampoline_kernelINS0_14default_configENS1_22reduce_config_selectorIlEEZNS1_11reduce_implILb1ES3_PlS7_lN6hipcub16HIPCUB_304000_NS6detail34convert_binary_result_type_wrapperINS9_3SumENS9_22TransformInputIteratorIb7NonZeroIfEPflEElEEEE10hipError_tPvRmT1_T2_T3_mT4_P12ihipStream_tbEUlT_E1_NS1_11comp_targetILNS1_3genE8ELNS1_11target_archE1030ELNS1_3gpuE2ELNS1_3repE0EEENS1_30default_config_static_selectorELNS0_4arch9wavefront6targetE0EEEvSM_
		.amdhsa_group_segment_fixed_size 0
		.amdhsa_private_segment_fixed_size 0
		.amdhsa_kernarg_size 48
		.amdhsa_user_sgpr_count 15
		.amdhsa_user_sgpr_dispatch_ptr 0
		.amdhsa_user_sgpr_queue_ptr 0
		.amdhsa_user_sgpr_kernarg_segment_ptr 1
		.amdhsa_user_sgpr_dispatch_id 0
		.amdhsa_user_sgpr_private_segment_size 0
		.amdhsa_wavefront_size32 1
		.amdhsa_uses_dynamic_stack 0
		.amdhsa_enable_private_segment 0
		.amdhsa_system_sgpr_workgroup_id_x 1
		.amdhsa_system_sgpr_workgroup_id_y 0
		.amdhsa_system_sgpr_workgroup_id_z 0
		.amdhsa_system_sgpr_workgroup_info 0
		.amdhsa_system_vgpr_workitem_id 0
		.amdhsa_next_free_vgpr 1
		.amdhsa_next_free_sgpr 1
		.amdhsa_reserve_vcc 0
		.amdhsa_float_round_mode_32 0
		.amdhsa_float_round_mode_16_64 0
		.amdhsa_float_denorm_mode_32 3
		.amdhsa_float_denorm_mode_16_64 3
		.amdhsa_dx10_clamp 1
		.amdhsa_ieee_mode 1
		.amdhsa_fp16_overflow 0
		.amdhsa_workgroup_processor_mode 1
		.amdhsa_memory_ordered 1
		.amdhsa_forward_progress 0
		.amdhsa_shared_vgpr_count 0
		.amdhsa_exception_fp_ieee_invalid_op 0
		.amdhsa_exception_fp_denorm_src 0
		.amdhsa_exception_fp_ieee_div_zero 0
		.amdhsa_exception_fp_ieee_overflow 0
		.amdhsa_exception_fp_ieee_underflow 0
		.amdhsa_exception_fp_ieee_inexact 0
		.amdhsa_exception_int_div_zero 0
	.end_amdhsa_kernel
	.section	.text._ZN7rocprim17ROCPRIM_400000_NS6detail17trampoline_kernelINS0_14default_configENS1_22reduce_config_selectorIlEEZNS1_11reduce_implILb1ES3_PlS7_lN6hipcub16HIPCUB_304000_NS6detail34convert_binary_result_type_wrapperINS9_3SumENS9_22TransformInputIteratorIb7NonZeroIfEPflEElEEEE10hipError_tPvRmT1_T2_T3_mT4_P12ihipStream_tbEUlT_E1_NS1_11comp_targetILNS1_3genE8ELNS1_11target_archE1030ELNS1_3gpuE2ELNS1_3repE0EEENS1_30default_config_static_selectorELNS0_4arch9wavefront6targetE0EEEvSM_,"axG",@progbits,_ZN7rocprim17ROCPRIM_400000_NS6detail17trampoline_kernelINS0_14default_configENS1_22reduce_config_selectorIlEEZNS1_11reduce_implILb1ES3_PlS7_lN6hipcub16HIPCUB_304000_NS6detail34convert_binary_result_type_wrapperINS9_3SumENS9_22TransformInputIteratorIb7NonZeroIfEPflEElEEEE10hipError_tPvRmT1_T2_T3_mT4_P12ihipStream_tbEUlT_E1_NS1_11comp_targetILNS1_3genE8ELNS1_11target_archE1030ELNS1_3gpuE2ELNS1_3repE0EEENS1_30default_config_static_selectorELNS0_4arch9wavefront6targetE0EEEvSM_,comdat
.Lfunc_end234:
	.size	_ZN7rocprim17ROCPRIM_400000_NS6detail17trampoline_kernelINS0_14default_configENS1_22reduce_config_selectorIlEEZNS1_11reduce_implILb1ES3_PlS7_lN6hipcub16HIPCUB_304000_NS6detail34convert_binary_result_type_wrapperINS9_3SumENS9_22TransformInputIteratorIb7NonZeroIfEPflEElEEEE10hipError_tPvRmT1_T2_T3_mT4_P12ihipStream_tbEUlT_E1_NS1_11comp_targetILNS1_3genE8ELNS1_11target_archE1030ELNS1_3gpuE2ELNS1_3repE0EEENS1_30default_config_static_selectorELNS0_4arch9wavefront6targetE0EEEvSM_, .Lfunc_end234-_ZN7rocprim17ROCPRIM_400000_NS6detail17trampoline_kernelINS0_14default_configENS1_22reduce_config_selectorIlEEZNS1_11reduce_implILb1ES3_PlS7_lN6hipcub16HIPCUB_304000_NS6detail34convert_binary_result_type_wrapperINS9_3SumENS9_22TransformInputIteratorIb7NonZeroIfEPflEElEEEE10hipError_tPvRmT1_T2_T3_mT4_P12ihipStream_tbEUlT_E1_NS1_11comp_targetILNS1_3genE8ELNS1_11target_archE1030ELNS1_3gpuE2ELNS1_3repE0EEENS1_30default_config_static_selectorELNS0_4arch9wavefront6targetE0EEEvSM_
                                        ; -- End function
	.section	.AMDGPU.csdata,"",@progbits
; Kernel info:
; codeLenInByte = 0
; NumSgprs: 0
; NumVgprs: 0
; ScratchSize: 0
; MemoryBound: 0
; FloatMode: 240
; IeeeMode: 1
; LDSByteSize: 0 bytes/workgroup (compile time only)
; SGPRBlocks: 0
; VGPRBlocks: 0
; NumSGPRsForWavesPerEU: 1
; NumVGPRsForWavesPerEU: 1
; Occupancy: 16
; WaveLimiterHint : 0
; COMPUTE_PGM_RSRC2:SCRATCH_EN: 0
; COMPUTE_PGM_RSRC2:USER_SGPR: 15
; COMPUTE_PGM_RSRC2:TRAP_HANDLER: 0
; COMPUTE_PGM_RSRC2:TGID_X_EN: 1
; COMPUTE_PGM_RSRC2:TGID_Y_EN: 0
; COMPUTE_PGM_RSRC2:TGID_Z_EN: 0
; COMPUTE_PGM_RSRC2:TIDIG_COMP_CNT: 0
	.section	.text._ZN7rocprim17ROCPRIM_400000_NS6detail17trampoline_kernelINS0_14default_configENS1_22reduce_config_selectorIbEEZNS1_11reduce_implILb1ES3_N6hipcub16HIPCUB_304000_NS22TransformInputIteratorIb7NonZeroIfEPflEEPllNS8_6detail34convert_binary_result_type_wrapperINS8_3SumESD_lEEEE10hipError_tPvRmT1_T2_T3_mT4_P12ihipStream_tbEUlT_E0_NS1_11comp_targetILNS1_3genE0ELNS1_11target_archE4294967295ELNS1_3gpuE0ELNS1_3repE0EEENS1_30default_config_static_selectorELNS0_4arch9wavefront6targetE0EEEvSM_,"axG",@progbits,_ZN7rocprim17ROCPRIM_400000_NS6detail17trampoline_kernelINS0_14default_configENS1_22reduce_config_selectorIbEEZNS1_11reduce_implILb1ES3_N6hipcub16HIPCUB_304000_NS22TransformInputIteratorIb7NonZeroIfEPflEEPllNS8_6detail34convert_binary_result_type_wrapperINS8_3SumESD_lEEEE10hipError_tPvRmT1_T2_T3_mT4_P12ihipStream_tbEUlT_E0_NS1_11comp_targetILNS1_3genE0ELNS1_11target_archE4294967295ELNS1_3gpuE0ELNS1_3repE0EEENS1_30default_config_static_selectorELNS0_4arch9wavefront6targetE0EEEvSM_,comdat
	.protected	_ZN7rocprim17ROCPRIM_400000_NS6detail17trampoline_kernelINS0_14default_configENS1_22reduce_config_selectorIbEEZNS1_11reduce_implILb1ES3_N6hipcub16HIPCUB_304000_NS22TransformInputIteratorIb7NonZeroIfEPflEEPllNS8_6detail34convert_binary_result_type_wrapperINS8_3SumESD_lEEEE10hipError_tPvRmT1_T2_T3_mT4_P12ihipStream_tbEUlT_E0_NS1_11comp_targetILNS1_3genE0ELNS1_11target_archE4294967295ELNS1_3gpuE0ELNS1_3repE0EEENS1_30default_config_static_selectorELNS0_4arch9wavefront6targetE0EEEvSM_ ; -- Begin function _ZN7rocprim17ROCPRIM_400000_NS6detail17trampoline_kernelINS0_14default_configENS1_22reduce_config_selectorIbEEZNS1_11reduce_implILb1ES3_N6hipcub16HIPCUB_304000_NS22TransformInputIteratorIb7NonZeroIfEPflEEPllNS8_6detail34convert_binary_result_type_wrapperINS8_3SumESD_lEEEE10hipError_tPvRmT1_T2_T3_mT4_P12ihipStream_tbEUlT_E0_NS1_11comp_targetILNS1_3genE0ELNS1_11target_archE4294967295ELNS1_3gpuE0ELNS1_3repE0EEENS1_30default_config_static_selectorELNS0_4arch9wavefront6targetE0EEEvSM_
	.globl	_ZN7rocprim17ROCPRIM_400000_NS6detail17trampoline_kernelINS0_14default_configENS1_22reduce_config_selectorIbEEZNS1_11reduce_implILb1ES3_N6hipcub16HIPCUB_304000_NS22TransformInputIteratorIb7NonZeroIfEPflEEPllNS8_6detail34convert_binary_result_type_wrapperINS8_3SumESD_lEEEE10hipError_tPvRmT1_T2_T3_mT4_P12ihipStream_tbEUlT_E0_NS1_11comp_targetILNS1_3genE0ELNS1_11target_archE4294967295ELNS1_3gpuE0ELNS1_3repE0EEENS1_30default_config_static_selectorELNS0_4arch9wavefront6targetE0EEEvSM_
	.p2align	8
	.type	_ZN7rocprim17ROCPRIM_400000_NS6detail17trampoline_kernelINS0_14default_configENS1_22reduce_config_selectorIbEEZNS1_11reduce_implILb1ES3_N6hipcub16HIPCUB_304000_NS22TransformInputIteratorIb7NonZeroIfEPflEEPllNS8_6detail34convert_binary_result_type_wrapperINS8_3SumESD_lEEEE10hipError_tPvRmT1_T2_T3_mT4_P12ihipStream_tbEUlT_E0_NS1_11comp_targetILNS1_3genE0ELNS1_11target_archE4294967295ELNS1_3gpuE0ELNS1_3repE0EEENS1_30default_config_static_selectorELNS0_4arch9wavefront6targetE0EEEvSM_,@function
_ZN7rocprim17ROCPRIM_400000_NS6detail17trampoline_kernelINS0_14default_configENS1_22reduce_config_selectorIbEEZNS1_11reduce_implILb1ES3_N6hipcub16HIPCUB_304000_NS22TransformInputIteratorIb7NonZeroIfEPflEEPllNS8_6detail34convert_binary_result_type_wrapperINS8_3SumESD_lEEEE10hipError_tPvRmT1_T2_T3_mT4_P12ihipStream_tbEUlT_E0_NS1_11comp_targetILNS1_3genE0ELNS1_11target_archE4294967295ELNS1_3gpuE0ELNS1_3repE0EEENS1_30default_config_static_selectorELNS0_4arch9wavefront6targetE0EEEvSM_: ; @_ZN7rocprim17ROCPRIM_400000_NS6detail17trampoline_kernelINS0_14default_configENS1_22reduce_config_selectorIbEEZNS1_11reduce_implILb1ES3_N6hipcub16HIPCUB_304000_NS22TransformInputIteratorIb7NonZeroIfEPflEEPllNS8_6detail34convert_binary_result_type_wrapperINS8_3SumESD_lEEEE10hipError_tPvRmT1_T2_T3_mT4_P12ihipStream_tbEUlT_E0_NS1_11comp_targetILNS1_3genE0ELNS1_11target_archE4294967295ELNS1_3gpuE0ELNS1_3repE0EEENS1_30default_config_static_selectorELNS0_4arch9wavefront6targetE0EEEvSM_
; %bb.0:
	.section	.rodata,"a",@progbits
	.p2align	6, 0x0
	.amdhsa_kernel _ZN7rocprim17ROCPRIM_400000_NS6detail17trampoline_kernelINS0_14default_configENS1_22reduce_config_selectorIbEEZNS1_11reduce_implILb1ES3_N6hipcub16HIPCUB_304000_NS22TransformInputIteratorIb7NonZeroIfEPflEEPllNS8_6detail34convert_binary_result_type_wrapperINS8_3SumESD_lEEEE10hipError_tPvRmT1_T2_T3_mT4_P12ihipStream_tbEUlT_E0_NS1_11comp_targetILNS1_3genE0ELNS1_11target_archE4294967295ELNS1_3gpuE0ELNS1_3repE0EEENS1_30default_config_static_selectorELNS0_4arch9wavefront6targetE0EEEvSM_
		.amdhsa_group_segment_fixed_size 0
		.amdhsa_private_segment_fixed_size 0
		.amdhsa_kernarg_size 72
		.amdhsa_user_sgpr_count 15
		.amdhsa_user_sgpr_dispatch_ptr 0
		.amdhsa_user_sgpr_queue_ptr 0
		.amdhsa_user_sgpr_kernarg_segment_ptr 1
		.amdhsa_user_sgpr_dispatch_id 0
		.amdhsa_user_sgpr_private_segment_size 0
		.amdhsa_wavefront_size32 1
		.amdhsa_uses_dynamic_stack 0
		.amdhsa_enable_private_segment 0
		.amdhsa_system_sgpr_workgroup_id_x 1
		.amdhsa_system_sgpr_workgroup_id_y 0
		.amdhsa_system_sgpr_workgroup_id_z 0
		.amdhsa_system_sgpr_workgroup_info 0
		.amdhsa_system_vgpr_workitem_id 0
		.amdhsa_next_free_vgpr 1
		.amdhsa_next_free_sgpr 1
		.amdhsa_reserve_vcc 0
		.amdhsa_float_round_mode_32 0
		.amdhsa_float_round_mode_16_64 0
		.amdhsa_float_denorm_mode_32 3
		.amdhsa_float_denorm_mode_16_64 3
		.amdhsa_dx10_clamp 1
		.amdhsa_ieee_mode 1
		.amdhsa_fp16_overflow 0
		.amdhsa_workgroup_processor_mode 1
		.amdhsa_memory_ordered 1
		.amdhsa_forward_progress 0
		.amdhsa_shared_vgpr_count 0
		.amdhsa_exception_fp_ieee_invalid_op 0
		.amdhsa_exception_fp_denorm_src 0
		.amdhsa_exception_fp_ieee_div_zero 0
		.amdhsa_exception_fp_ieee_overflow 0
		.amdhsa_exception_fp_ieee_underflow 0
		.amdhsa_exception_fp_ieee_inexact 0
		.amdhsa_exception_int_div_zero 0
	.end_amdhsa_kernel
	.section	.text._ZN7rocprim17ROCPRIM_400000_NS6detail17trampoline_kernelINS0_14default_configENS1_22reduce_config_selectorIbEEZNS1_11reduce_implILb1ES3_N6hipcub16HIPCUB_304000_NS22TransformInputIteratorIb7NonZeroIfEPflEEPllNS8_6detail34convert_binary_result_type_wrapperINS8_3SumESD_lEEEE10hipError_tPvRmT1_T2_T3_mT4_P12ihipStream_tbEUlT_E0_NS1_11comp_targetILNS1_3genE0ELNS1_11target_archE4294967295ELNS1_3gpuE0ELNS1_3repE0EEENS1_30default_config_static_selectorELNS0_4arch9wavefront6targetE0EEEvSM_,"axG",@progbits,_ZN7rocprim17ROCPRIM_400000_NS6detail17trampoline_kernelINS0_14default_configENS1_22reduce_config_selectorIbEEZNS1_11reduce_implILb1ES3_N6hipcub16HIPCUB_304000_NS22TransformInputIteratorIb7NonZeroIfEPflEEPllNS8_6detail34convert_binary_result_type_wrapperINS8_3SumESD_lEEEE10hipError_tPvRmT1_T2_T3_mT4_P12ihipStream_tbEUlT_E0_NS1_11comp_targetILNS1_3genE0ELNS1_11target_archE4294967295ELNS1_3gpuE0ELNS1_3repE0EEENS1_30default_config_static_selectorELNS0_4arch9wavefront6targetE0EEEvSM_,comdat
.Lfunc_end235:
	.size	_ZN7rocprim17ROCPRIM_400000_NS6detail17trampoline_kernelINS0_14default_configENS1_22reduce_config_selectorIbEEZNS1_11reduce_implILb1ES3_N6hipcub16HIPCUB_304000_NS22TransformInputIteratorIb7NonZeroIfEPflEEPllNS8_6detail34convert_binary_result_type_wrapperINS8_3SumESD_lEEEE10hipError_tPvRmT1_T2_T3_mT4_P12ihipStream_tbEUlT_E0_NS1_11comp_targetILNS1_3genE0ELNS1_11target_archE4294967295ELNS1_3gpuE0ELNS1_3repE0EEENS1_30default_config_static_selectorELNS0_4arch9wavefront6targetE0EEEvSM_, .Lfunc_end235-_ZN7rocprim17ROCPRIM_400000_NS6detail17trampoline_kernelINS0_14default_configENS1_22reduce_config_selectorIbEEZNS1_11reduce_implILb1ES3_N6hipcub16HIPCUB_304000_NS22TransformInputIteratorIb7NonZeroIfEPflEEPllNS8_6detail34convert_binary_result_type_wrapperINS8_3SumESD_lEEEE10hipError_tPvRmT1_T2_T3_mT4_P12ihipStream_tbEUlT_E0_NS1_11comp_targetILNS1_3genE0ELNS1_11target_archE4294967295ELNS1_3gpuE0ELNS1_3repE0EEENS1_30default_config_static_selectorELNS0_4arch9wavefront6targetE0EEEvSM_
                                        ; -- End function
	.section	.AMDGPU.csdata,"",@progbits
; Kernel info:
; codeLenInByte = 0
; NumSgprs: 0
; NumVgprs: 0
; ScratchSize: 0
; MemoryBound: 0
; FloatMode: 240
; IeeeMode: 1
; LDSByteSize: 0 bytes/workgroup (compile time only)
; SGPRBlocks: 0
; VGPRBlocks: 0
; NumSGPRsForWavesPerEU: 1
; NumVGPRsForWavesPerEU: 1
; Occupancy: 16
; WaveLimiterHint : 0
; COMPUTE_PGM_RSRC2:SCRATCH_EN: 0
; COMPUTE_PGM_RSRC2:USER_SGPR: 15
; COMPUTE_PGM_RSRC2:TRAP_HANDLER: 0
; COMPUTE_PGM_RSRC2:TGID_X_EN: 1
; COMPUTE_PGM_RSRC2:TGID_Y_EN: 0
; COMPUTE_PGM_RSRC2:TGID_Z_EN: 0
; COMPUTE_PGM_RSRC2:TIDIG_COMP_CNT: 0
	.section	.text._ZN7rocprim17ROCPRIM_400000_NS6detail17trampoline_kernelINS0_14default_configENS1_22reduce_config_selectorIbEEZNS1_11reduce_implILb1ES3_N6hipcub16HIPCUB_304000_NS22TransformInputIteratorIb7NonZeroIfEPflEEPllNS8_6detail34convert_binary_result_type_wrapperINS8_3SumESD_lEEEE10hipError_tPvRmT1_T2_T3_mT4_P12ihipStream_tbEUlT_E0_NS1_11comp_targetILNS1_3genE5ELNS1_11target_archE942ELNS1_3gpuE9ELNS1_3repE0EEENS1_30default_config_static_selectorELNS0_4arch9wavefront6targetE0EEEvSM_,"axG",@progbits,_ZN7rocprim17ROCPRIM_400000_NS6detail17trampoline_kernelINS0_14default_configENS1_22reduce_config_selectorIbEEZNS1_11reduce_implILb1ES3_N6hipcub16HIPCUB_304000_NS22TransformInputIteratorIb7NonZeroIfEPflEEPllNS8_6detail34convert_binary_result_type_wrapperINS8_3SumESD_lEEEE10hipError_tPvRmT1_T2_T3_mT4_P12ihipStream_tbEUlT_E0_NS1_11comp_targetILNS1_3genE5ELNS1_11target_archE942ELNS1_3gpuE9ELNS1_3repE0EEENS1_30default_config_static_selectorELNS0_4arch9wavefront6targetE0EEEvSM_,comdat
	.protected	_ZN7rocprim17ROCPRIM_400000_NS6detail17trampoline_kernelINS0_14default_configENS1_22reduce_config_selectorIbEEZNS1_11reduce_implILb1ES3_N6hipcub16HIPCUB_304000_NS22TransformInputIteratorIb7NonZeroIfEPflEEPllNS8_6detail34convert_binary_result_type_wrapperINS8_3SumESD_lEEEE10hipError_tPvRmT1_T2_T3_mT4_P12ihipStream_tbEUlT_E0_NS1_11comp_targetILNS1_3genE5ELNS1_11target_archE942ELNS1_3gpuE9ELNS1_3repE0EEENS1_30default_config_static_selectorELNS0_4arch9wavefront6targetE0EEEvSM_ ; -- Begin function _ZN7rocprim17ROCPRIM_400000_NS6detail17trampoline_kernelINS0_14default_configENS1_22reduce_config_selectorIbEEZNS1_11reduce_implILb1ES3_N6hipcub16HIPCUB_304000_NS22TransformInputIteratorIb7NonZeroIfEPflEEPllNS8_6detail34convert_binary_result_type_wrapperINS8_3SumESD_lEEEE10hipError_tPvRmT1_T2_T3_mT4_P12ihipStream_tbEUlT_E0_NS1_11comp_targetILNS1_3genE5ELNS1_11target_archE942ELNS1_3gpuE9ELNS1_3repE0EEENS1_30default_config_static_selectorELNS0_4arch9wavefront6targetE0EEEvSM_
	.globl	_ZN7rocprim17ROCPRIM_400000_NS6detail17trampoline_kernelINS0_14default_configENS1_22reduce_config_selectorIbEEZNS1_11reduce_implILb1ES3_N6hipcub16HIPCUB_304000_NS22TransformInputIteratorIb7NonZeroIfEPflEEPllNS8_6detail34convert_binary_result_type_wrapperINS8_3SumESD_lEEEE10hipError_tPvRmT1_T2_T3_mT4_P12ihipStream_tbEUlT_E0_NS1_11comp_targetILNS1_3genE5ELNS1_11target_archE942ELNS1_3gpuE9ELNS1_3repE0EEENS1_30default_config_static_selectorELNS0_4arch9wavefront6targetE0EEEvSM_
	.p2align	8
	.type	_ZN7rocprim17ROCPRIM_400000_NS6detail17trampoline_kernelINS0_14default_configENS1_22reduce_config_selectorIbEEZNS1_11reduce_implILb1ES3_N6hipcub16HIPCUB_304000_NS22TransformInputIteratorIb7NonZeroIfEPflEEPllNS8_6detail34convert_binary_result_type_wrapperINS8_3SumESD_lEEEE10hipError_tPvRmT1_T2_T3_mT4_P12ihipStream_tbEUlT_E0_NS1_11comp_targetILNS1_3genE5ELNS1_11target_archE942ELNS1_3gpuE9ELNS1_3repE0EEENS1_30default_config_static_selectorELNS0_4arch9wavefront6targetE0EEEvSM_,@function
_ZN7rocprim17ROCPRIM_400000_NS6detail17trampoline_kernelINS0_14default_configENS1_22reduce_config_selectorIbEEZNS1_11reduce_implILb1ES3_N6hipcub16HIPCUB_304000_NS22TransformInputIteratorIb7NonZeroIfEPflEEPllNS8_6detail34convert_binary_result_type_wrapperINS8_3SumESD_lEEEE10hipError_tPvRmT1_T2_T3_mT4_P12ihipStream_tbEUlT_E0_NS1_11comp_targetILNS1_3genE5ELNS1_11target_archE942ELNS1_3gpuE9ELNS1_3repE0EEENS1_30default_config_static_selectorELNS0_4arch9wavefront6targetE0EEEvSM_: ; @_ZN7rocprim17ROCPRIM_400000_NS6detail17trampoline_kernelINS0_14default_configENS1_22reduce_config_selectorIbEEZNS1_11reduce_implILb1ES3_N6hipcub16HIPCUB_304000_NS22TransformInputIteratorIb7NonZeroIfEPflEEPllNS8_6detail34convert_binary_result_type_wrapperINS8_3SumESD_lEEEE10hipError_tPvRmT1_T2_T3_mT4_P12ihipStream_tbEUlT_E0_NS1_11comp_targetILNS1_3genE5ELNS1_11target_archE942ELNS1_3gpuE9ELNS1_3repE0EEENS1_30default_config_static_selectorELNS0_4arch9wavefront6targetE0EEEvSM_
; %bb.0:
	.section	.rodata,"a",@progbits
	.p2align	6, 0x0
	.amdhsa_kernel _ZN7rocprim17ROCPRIM_400000_NS6detail17trampoline_kernelINS0_14default_configENS1_22reduce_config_selectorIbEEZNS1_11reduce_implILb1ES3_N6hipcub16HIPCUB_304000_NS22TransformInputIteratorIb7NonZeroIfEPflEEPllNS8_6detail34convert_binary_result_type_wrapperINS8_3SumESD_lEEEE10hipError_tPvRmT1_T2_T3_mT4_P12ihipStream_tbEUlT_E0_NS1_11comp_targetILNS1_3genE5ELNS1_11target_archE942ELNS1_3gpuE9ELNS1_3repE0EEENS1_30default_config_static_selectorELNS0_4arch9wavefront6targetE0EEEvSM_
		.amdhsa_group_segment_fixed_size 0
		.amdhsa_private_segment_fixed_size 0
		.amdhsa_kernarg_size 72
		.amdhsa_user_sgpr_count 15
		.amdhsa_user_sgpr_dispatch_ptr 0
		.amdhsa_user_sgpr_queue_ptr 0
		.amdhsa_user_sgpr_kernarg_segment_ptr 1
		.amdhsa_user_sgpr_dispatch_id 0
		.amdhsa_user_sgpr_private_segment_size 0
		.amdhsa_wavefront_size32 1
		.amdhsa_uses_dynamic_stack 0
		.amdhsa_enable_private_segment 0
		.amdhsa_system_sgpr_workgroup_id_x 1
		.amdhsa_system_sgpr_workgroup_id_y 0
		.amdhsa_system_sgpr_workgroup_id_z 0
		.amdhsa_system_sgpr_workgroup_info 0
		.amdhsa_system_vgpr_workitem_id 0
		.amdhsa_next_free_vgpr 1
		.amdhsa_next_free_sgpr 1
		.amdhsa_reserve_vcc 0
		.amdhsa_float_round_mode_32 0
		.amdhsa_float_round_mode_16_64 0
		.amdhsa_float_denorm_mode_32 3
		.amdhsa_float_denorm_mode_16_64 3
		.amdhsa_dx10_clamp 1
		.amdhsa_ieee_mode 1
		.amdhsa_fp16_overflow 0
		.amdhsa_workgroup_processor_mode 1
		.amdhsa_memory_ordered 1
		.amdhsa_forward_progress 0
		.amdhsa_shared_vgpr_count 0
		.amdhsa_exception_fp_ieee_invalid_op 0
		.amdhsa_exception_fp_denorm_src 0
		.amdhsa_exception_fp_ieee_div_zero 0
		.amdhsa_exception_fp_ieee_overflow 0
		.amdhsa_exception_fp_ieee_underflow 0
		.amdhsa_exception_fp_ieee_inexact 0
		.amdhsa_exception_int_div_zero 0
	.end_amdhsa_kernel
	.section	.text._ZN7rocprim17ROCPRIM_400000_NS6detail17trampoline_kernelINS0_14default_configENS1_22reduce_config_selectorIbEEZNS1_11reduce_implILb1ES3_N6hipcub16HIPCUB_304000_NS22TransformInputIteratorIb7NonZeroIfEPflEEPllNS8_6detail34convert_binary_result_type_wrapperINS8_3SumESD_lEEEE10hipError_tPvRmT1_T2_T3_mT4_P12ihipStream_tbEUlT_E0_NS1_11comp_targetILNS1_3genE5ELNS1_11target_archE942ELNS1_3gpuE9ELNS1_3repE0EEENS1_30default_config_static_selectorELNS0_4arch9wavefront6targetE0EEEvSM_,"axG",@progbits,_ZN7rocprim17ROCPRIM_400000_NS6detail17trampoline_kernelINS0_14default_configENS1_22reduce_config_selectorIbEEZNS1_11reduce_implILb1ES3_N6hipcub16HIPCUB_304000_NS22TransformInputIteratorIb7NonZeroIfEPflEEPllNS8_6detail34convert_binary_result_type_wrapperINS8_3SumESD_lEEEE10hipError_tPvRmT1_T2_T3_mT4_P12ihipStream_tbEUlT_E0_NS1_11comp_targetILNS1_3genE5ELNS1_11target_archE942ELNS1_3gpuE9ELNS1_3repE0EEENS1_30default_config_static_selectorELNS0_4arch9wavefront6targetE0EEEvSM_,comdat
.Lfunc_end236:
	.size	_ZN7rocprim17ROCPRIM_400000_NS6detail17trampoline_kernelINS0_14default_configENS1_22reduce_config_selectorIbEEZNS1_11reduce_implILb1ES3_N6hipcub16HIPCUB_304000_NS22TransformInputIteratorIb7NonZeroIfEPflEEPllNS8_6detail34convert_binary_result_type_wrapperINS8_3SumESD_lEEEE10hipError_tPvRmT1_T2_T3_mT4_P12ihipStream_tbEUlT_E0_NS1_11comp_targetILNS1_3genE5ELNS1_11target_archE942ELNS1_3gpuE9ELNS1_3repE0EEENS1_30default_config_static_selectorELNS0_4arch9wavefront6targetE0EEEvSM_, .Lfunc_end236-_ZN7rocprim17ROCPRIM_400000_NS6detail17trampoline_kernelINS0_14default_configENS1_22reduce_config_selectorIbEEZNS1_11reduce_implILb1ES3_N6hipcub16HIPCUB_304000_NS22TransformInputIteratorIb7NonZeroIfEPflEEPllNS8_6detail34convert_binary_result_type_wrapperINS8_3SumESD_lEEEE10hipError_tPvRmT1_T2_T3_mT4_P12ihipStream_tbEUlT_E0_NS1_11comp_targetILNS1_3genE5ELNS1_11target_archE942ELNS1_3gpuE9ELNS1_3repE0EEENS1_30default_config_static_selectorELNS0_4arch9wavefront6targetE0EEEvSM_
                                        ; -- End function
	.section	.AMDGPU.csdata,"",@progbits
; Kernel info:
; codeLenInByte = 0
; NumSgprs: 0
; NumVgprs: 0
; ScratchSize: 0
; MemoryBound: 0
; FloatMode: 240
; IeeeMode: 1
; LDSByteSize: 0 bytes/workgroup (compile time only)
; SGPRBlocks: 0
; VGPRBlocks: 0
; NumSGPRsForWavesPerEU: 1
; NumVGPRsForWavesPerEU: 1
; Occupancy: 16
; WaveLimiterHint : 0
; COMPUTE_PGM_RSRC2:SCRATCH_EN: 0
; COMPUTE_PGM_RSRC2:USER_SGPR: 15
; COMPUTE_PGM_RSRC2:TRAP_HANDLER: 0
; COMPUTE_PGM_RSRC2:TGID_X_EN: 1
; COMPUTE_PGM_RSRC2:TGID_Y_EN: 0
; COMPUTE_PGM_RSRC2:TGID_Z_EN: 0
; COMPUTE_PGM_RSRC2:TIDIG_COMP_CNT: 0
	.section	.text._ZN7rocprim17ROCPRIM_400000_NS6detail17trampoline_kernelINS0_14default_configENS1_22reduce_config_selectorIbEEZNS1_11reduce_implILb1ES3_N6hipcub16HIPCUB_304000_NS22TransformInputIteratorIb7NonZeroIfEPflEEPllNS8_6detail34convert_binary_result_type_wrapperINS8_3SumESD_lEEEE10hipError_tPvRmT1_T2_T3_mT4_P12ihipStream_tbEUlT_E0_NS1_11comp_targetILNS1_3genE4ELNS1_11target_archE910ELNS1_3gpuE8ELNS1_3repE0EEENS1_30default_config_static_selectorELNS0_4arch9wavefront6targetE0EEEvSM_,"axG",@progbits,_ZN7rocprim17ROCPRIM_400000_NS6detail17trampoline_kernelINS0_14default_configENS1_22reduce_config_selectorIbEEZNS1_11reduce_implILb1ES3_N6hipcub16HIPCUB_304000_NS22TransformInputIteratorIb7NonZeroIfEPflEEPllNS8_6detail34convert_binary_result_type_wrapperINS8_3SumESD_lEEEE10hipError_tPvRmT1_T2_T3_mT4_P12ihipStream_tbEUlT_E0_NS1_11comp_targetILNS1_3genE4ELNS1_11target_archE910ELNS1_3gpuE8ELNS1_3repE0EEENS1_30default_config_static_selectorELNS0_4arch9wavefront6targetE0EEEvSM_,comdat
	.protected	_ZN7rocprim17ROCPRIM_400000_NS6detail17trampoline_kernelINS0_14default_configENS1_22reduce_config_selectorIbEEZNS1_11reduce_implILb1ES3_N6hipcub16HIPCUB_304000_NS22TransformInputIteratorIb7NonZeroIfEPflEEPllNS8_6detail34convert_binary_result_type_wrapperINS8_3SumESD_lEEEE10hipError_tPvRmT1_T2_T3_mT4_P12ihipStream_tbEUlT_E0_NS1_11comp_targetILNS1_3genE4ELNS1_11target_archE910ELNS1_3gpuE8ELNS1_3repE0EEENS1_30default_config_static_selectorELNS0_4arch9wavefront6targetE0EEEvSM_ ; -- Begin function _ZN7rocprim17ROCPRIM_400000_NS6detail17trampoline_kernelINS0_14default_configENS1_22reduce_config_selectorIbEEZNS1_11reduce_implILb1ES3_N6hipcub16HIPCUB_304000_NS22TransformInputIteratorIb7NonZeroIfEPflEEPllNS8_6detail34convert_binary_result_type_wrapperINS8_3SumESD_lEEEE10hipError_tPvRmT1_T2_T3_mT4_P12ihipStream_tbEUlT_E0_NS1_11comp_targetILNS1_3genE4ELNS1_11target_archE910ELNS1_3gpuE8ELNS1_3repE0EEENS1_30default_config_static_selectorELNS0_4arch9wavefront6targetE0EEEvSM_
	.globl	_ZN7rocprim17ROCPRIM_400000_NS6detail17trampoline_kernelINS0_14default_configENS1_22reduce_config_selectorIbEEZNS1_11reduce_implILb1ES3_N6hipcub16HIPCUB_304000_NS22TransformInputIteratorIb7NonZeroIfEPflEEPllNS8_6detail34convert_binary_result_type_wrapperINS8_3SumESD_lEEEE10hipError_tPvRmT1_T2_T3_mT4_P12ihipStream_tbEUlT_E0_NS1_11comp_targetILNS1_3genE4ELNS1_11target_archE910ELNS1_3gpuE8ELNS1_3repE0EEENS1_30default_config_static_selectorELNS0_4arch9wavefront6targetE0EEEvSM_
	.p2align	8
	.type	_ZN7rocprim17ROCPRIM_400000_NS6detail17trampoline_kernelINS0_14default_configENS1_22reduce_config_selectorIbEEZNS1_11reduce_implILb1ES3_N6hipcub16HIPCUB_304000_NS22TransformInputIteratorIb7NonZeroIfEPflEEPllNS8_6detail34convert_binary_result_type_wrapperINS8_3SumESD_lEEEE10hipError_tPvRmT1_T2_T3_mT4_P12ihipStream_tbEUlT_E0_NS1_11comp_targetILNS1_3genE4ELNS1_11target_archE910ELNS1_3gpuE8ELNS1_3repE0EEENS1_30default_config_static_selectorELNS0_4arch9wavefront6targetE0EEEvSM_,@function
_ZN7rocprim17ROCPRIM_400000_NS6detail17trampoline_kernelINS0_14default_configENS1_22reduce_config_selectorIbEEZNS1_11reduce_implILb1ES3_N6hipcub16HIPCUB_304000_NS22TransformInputIteratorIb7NonZeroIfEPflEEPllNS8_6detail34convert_binary_result_type_wrapperINS8_3SumESD_lEEEE10hipError_tPvRmT1_T2_T3_mT4_P12ihipStream_tbEUlT_E0_NS1_11comp_targetILNS1_3genE4ELNS1_11target_archE910ELNS1_3gpuE8ELNS1_3repE0EEENS1_30default_config_static_selectorELNS0_4arch9wavefront6targetE0EEEvSM_: ; @_ZN7rocprim17ROCPRIM_400000_NS6detail17trampoline_kernelINS0_14default_configENS1_22reduce_config_selectorIbEEZNS1_11reduce_implILb1ES3_N6hipcub16HIPCUB_304000_NS22TransformInputIteratorIb7NonZeroIfEPflEEPllNS8_6detail34convert_binary_result_type_wrapperINS8_3SumESD_lEEEE10hipError_tPvRmT1_T2_T3_mT4_P12ihipStream_tbEUlT_E0_NS1_11comp_targetILNS1_3genE4ELNS1_11target_archE910ELNS1_3gpuE8ELNS1_3repE0EEENS1_30default_config_static_selectorELNS0_4arch9wavefront6targetE0EEEvSM_
; %bb.0:
	.section	.rodata,"a",@progbits
	.p2align	6, 0x0
	.amdhsa_kernel _ZN7rocprim17ROCPRIM_400000_NS6detail17trampoline_kernelINS0_14default_configENS1_22reduce_config_selectorIbEEZNS1_11reduce_implILb1ES3_N6hipcub16HIPCUB_304000_NS22TransformInputIteratorIb7NonZeroIfEPflEEPllNS8_6detail34convert_binary_result_type_wrapperINS8_3SumESD_lEEEE10hipError_tPvRmT1_T2_T3_mT4_P12ihipStream_tbEUlT_E0_NS1_11comp_targetILNS1_3genE4ELNS1_11target_archE910ELNS1_3gpuE8ELNS1_3repE0EEENS1_30default_config_static_selectorELNS0_4arch9wavefront6targetE0EEEvSM_
		.amdhsa_group_segment_fixed_size 0
		.amdhsa_private_segment_fixed_size 0
		.amdhsa_kernarg_size 72
		.amdhsa_user_sgpr_count 15
		.amdhsa_user_sgpr_dispatch_ptr 0
		.amdhsa_user_sgpr_queue_ptr 0
		.amdhsa_user_sgpr_kernarg_segment_ptr 1
		.amdhsa_user_sgpr_dispatch_id 0
		.amdhsa_user_sgpr_private_segment_size 0
		.amdhsa_wavefront_size32 1
		.amdhsa_uses_dynamic_stack 0
		.amdhsa_enable_private_segment 0
		.amdhsa_system_sgpr_workgroup_id_x 1
		.amdhsa_system_sgpr_workgroup_id_y 0
		.amdhsa_system_sgpr_workgroup_id_z 0
		.amdhsa_system_sgpr_workgroup_info 0
		.amdhsa_system_vgpr_workitem_id 0
		.amdhsa_next_free_vgpr 1
		.amdhsa_next_free_sgpr 1
		.amdhsa_reserve_vcc 0
		.amdhsa_float_round_mode_32 0
		.amdhsa_float_round_mode_16_64 0
		.amdhsa_float_denorm_mode_32 3
		.amdhsa_float_denorm_mode_16_64 3
		.amdhsa_dx10_clamp 1
		.amdhsa_ieee_mode 1
		.amdhsa_fp16_overflow 0
		.amdhsa_workgroup_processor_mode 1
		.amdhsa_memory_ordered 1
		.amdhsa_forward_progress 0
		.amdhsa_shared_vgpr_count 0
		.amdhsa_exception_fp_ieee_invalid_op 0
		.amdhsa_exception_fp_denorm_src 0
		.amdhsa_exception_fp_ieee_div_zero 0
		.amdhsa_exception_fp_ieee_overflow 0
		.amdhsa_exception_fp_ieee_underflow 0
		.amdhsa_exception_fp_ieee_inexact 0
		.amdhsa_exception_int_div_zero 0
	.end_amdhsa_kernel
	.section	.text._ZN7rocprim17ROCPRIM_400000_NS6detail17trampoline_kernelINS0_14default_configENS1_22reduce_config_selectorIbEEZNS1_11reduce_implILb1ES3_N6hipcub16HIPCUB_304000_NS22TransformInputIteratorIb7NonZeroIfEPflEEPllNS8_6detail34convert_binary_result_type_wrapperINS8_3SumESD_lEEEE10hipError_tPvRmT1_T2_T3_mT4_P12ihipStream_tbEUlT_E0_NS1_11comp_targetILNS1_3genE4ELNS1_11target_archE910ELNS1_3gpuE8ELNS1_3repE0EEENS1_30default_config_static_selectorELNS0_4arch9wavefront6targetE0EEEvSM_,"axG",@progbits,_ZN7rocprim17ROCPRIM_400000_NS6detail17trampoline_kernelINS0_14default_configENS1_22reduce_config_selectorIbEEZNS1_11reduce_implILb1ES3_N6hipcub16HIPCUB_304000_NS22TransformInputIteratorIb7NonZeroIfEPflEEPllNS8_6detail34convert_binary_result_type_wrapperINS8_3SumESD_lEEEE10hipError_tPvRmT1_T2_T3_mT4_P12ihipStream_tbEUlT_E0_NS1_11comp_targetILNS1_3genE4ELNS1_11target_archE910ELNS1_3gpuE8ELNS1_3repE0EEENS1_30default_config_static_selectorELNS0_4arch9wavefront6targetE0EEEvSM_,comdat
.Lfunc_end237:
	.size	_ZN7rocprim17ROCPRIM_400000_NS6detail17trampoline_kernelINS0_14default_configENS1_22reduce_config_selectorIbEEZNS1_11reduce_implILb1ES3_N6hipcub16HIPCUB_304000_NS22TransformInputIteratorIb7NonZeroIfEPflEEPllNS8_6detail34convert_binary_result_type_wrapperINS8_3SumESD_lEEEE10hipError_tPvRmT1_T2_T3_mT4_P12ihipStream_tbEUlT_E0_NS1_11comp_targetILNS1_3genE4ELNS1_11target_archE910ELNS1_3gpuE8ELNS1_3repE0EEENS1_30default_config_static_selectorELNS0_4arch9wavefront6targetE0EEEvSM_, .Lfunc_end237-_ZN7rocprim17ROCPRIM_400000_NS6detail17trampoline_kernelINS0_14default_configENS1_22reduce_config_selectorIbEEZNS1_11reduce_implILb1ES3_N6hipcub16HIPCUB_304000_NS22TransformInputIteratorIb7NonZeroIfEPflEEPllNS8_6detail34convert_binary_result_type_wrapperINS8_3SumESD_lEEEE10hipError_tPvRmT1_T2_T3_mT4_P12ihipStream_tbEUlT_E0_NS1_11comp_targetILNS1_3genE4ELNS1_11target_archE910ELNS1_3gpuE8ELNS1_3repE0EEENS1_30default_config_static_selectorELNS0_4arch9wavefront6targetE0EEEvSM_
                                        ; -- End function
	.section	.AMDGPU.csdata,"",@progbits
; Kernel info:
; codeLenInByte = 0
; NumSgprs: 0
; NumVgprs: 0
; ScratchSize: 0
; MemoryBound: 0
; FloatMode: 240
; IeeeMode: 1
; LDSByteSize: 0 bytes/workgroup (compile time only)
; SGPRBlocks: 0
; VGPRBlocks: 0
; NumSGPRsForWavesPerEU: 1
; NumVGPRsForWavesPerEU: 1
; Occupancy: 16
; WaveLimiterHint : 0
; COMPUTE_PGM_RSRC2:SCRATCH_EN: 0
; COMPUTE_PGM_RSRC2:USER_SGPR: 15
; COMPUTE_PGM_RSRC2:TRAP_HANDLER: 0
; COMPUTE_PGM_RSRC2:TGID_X_EN: 1
; COMPUTE_PGM_RSRC2:TGID_Y_EN: 0
; COMPUTE_PGM_RSRC2:TGID_Z_EN: 0
; COMPUTE_PGM_RSRC2:TIDIG_COMP_CNT: 0
	.section	.text._ZN7rocprim17ROCPRIM_400000_NS6detail17trampoline_kernelINS0_14default_configENS1_22reduce_config_selectorIbEEZNS1_11reduce_implILb1ES3_N6hipcub16HIPCUB_304000_NS22TransformInputIteratorIb7NonZeroIfEPflEEPllNS8_6detail34convert_binary_result_type_wrapperINS8_3SumESD_lEEEE10hipError_tPvRmT1_T2_T3_mT4_P12ihipStream_tbEUlT_E0_NS1_11comp_targetILNS1_3genE3ELNS1_11target_archE908ELNS1_3gpuE7ELNS1_3repE0EEENS1_30default_config_static_selectorELNS0_4arch9wavefront6targetE0EEEvSM_,"axG",@progbits,_ZN7rocprim17ROCPRIM_400000_NS6detail17trampoline_kernelINS0_14default_configENS1_22reduce_config_selectorIbEEZNS1_11reduce_implILb1ES3_N6hipcub16HIPCUB_304000_NS22TransformInputIteratorIb7NonZeroIfEPflEEPllNS8_6detail34convert_binary_result_type_wrapperINS8_3SumESD_lEEEE10hipError_tPvRmT1_T2_T3_mT4_P12ihipStream_tbEUlT_E0_NS1_11comp_targetILNS1_3genE3ELNS1_11target_archE908ELNS1_3gpuE7ELNS1_3repE0EEENS1_30default_config_static_selectorELNS0_4arch9wavefront6targetE0EEEvSM_,comdat
	.protected	_ZN7rocprim17ROCPRIM_400000_NS6detail17trampoline_kernelINS0_14default_configENS1_22reduce_config_selectorIbEEZNS1_11reduce_implILb1ES3_N6hipcub16HIPCUB_304000_NS22TransformInputIteratorIb7NonZeroIfEPflEEPllNS8_6detail34convert_binary_result_type_wrapperINS8_3SumESD_lEEEE10hipError_tPvRmT1_T2_T3_mT4_P12ihipStream_tbEUlT_E0_NS1_11comp_targetILNS1_3genE3ELNS1_11target_archE908ELNS1_3gpuE7ELNS1_3repE0EEENS1_30default_config_static_selectorELNS0_4arch9wavefront6targetE0EEEvSM_ ; -- Begin function _ZN7rocprim17ROCPRIM_400000_NS6detail17trampoline_kernelINS0_14default_configENS1_22reduce_config_selectorIbEEZNS1_11reduce_implILb1ES3_N6hipcub16HIPCUB_304000_NS22TransformInputIteratorIb7NonZeroIfEPflEEPllNS8_6detail34convert_binary_result_type_wrapperINS8_3SumESD_lEEEE10hipError_tPvRmT1_T2_T3_mT4_P12ihipStream_tbEUlT_E0_NS1_11comp_targetILNS1_3genE3ELNS1_11target_archE908ELNS1_3gpuE7ELNS1_3repE0EEENS1_30default_config_static_selectorELNS0_4arch9wavefront6targetE0EEEvSM_
	.globl	_ZN7rocprim17ROCPRIM_400000_NS6detail17trampoline_kernelINS0_14default_configENS1_22reduce_config_selectorIbEEZNS1_11reduce_implILb1ES3_N6hipcub16HIPCUB_304000_NS22TransformInputIteratorIb7NonZeroIfEPflEEPllNS8_6detail34convert_binary_result_type_wrapperINS8_3SumESD_lEEEE10hipError_tPvRmT1_T2_T3_mT4_P12ihipStream_tbEUlT_E0_NS1_11comp_targetILNS1_3genE3ELNS1_11target_archE908ELNS1_3gpuE7ELNS1_3repE0EEENS1_30default_config_static_selectorELNS0_4arch9wavefront6targetE0EEEvSM_
	.p2align	8
	.type	_ZN7rocprim17ROCPRIM_400000_NS6detail17trampoline_kernelINS0_14default_configENS1_22reduce_config_selectorIbEEZNS1_11reduce_implILb1ES3_N6hipcub16HIPCUB_304000_NS22TransformInputIteratorIb7NonZeroIfEPflEEPllNS8_6detail34convert_binary_result_type_wrapperINS8_3SumESD_lEEEE10hipError_tPvRmT1_T2_T3_mT4_P12ihipStream_tbEUlT_E0_NS1_11comp_targetILNS1_3genE3ELNS1_11target_archE908ELNS1_3gpuE7ELNS1_3repE0EEENS1_30default_config_static_selectorELNS0_4arch9wavefront6targetE0EEEvSM_,@function
_ZN7rocprim17ROCPRIM_400000_NS6detail17trampoline_kernelINS0_14default_configENS1_22reduce_config_selectorIbEEZNS1_11reduce_implILb1ES3_N6hipcub16HIPCUB_304000_NS22TransformInputIteratorIb7NonZeroIfEPflEEPllNS8_6detail34convert_binary_result_type_wrapperINS8_3SumESD_lEEEE10hipError_tPvRmT1_T2_T3_mT4_P12ihipStream_tbEUlT_E0_NS1_11comp_targetILNS1_3genE3ELNS1_11target_archE908ELNS1_3gpuE7ELNS1_3repE0EEENS1_30default_config_static_selectorELNS0_4arch9wavefront6targetE0EEEvSM_: ; @_ZN7rocprim17ROCPRIM_400000_NS6detail17trampoline_kernelINS0_14default_configENS1_22reduce_config_selectorIbEEZNS1_11reduce_implILb1ES3_N6hipcub16HIPCUB_304000_NS22TransformInputIteratorIb7NonZeroIfEPflEEPllNS8_6detail34convert_binary_result_type_wrapperINS8_3SumESD_lEEEE10hipError_tPvRmT1_T2_T3_mT4_P12ihipStream_tbEUlT_E0_NS1_11comp_targetILNS1_3genE3ELNS1_11target_archE908ELNS1_3gpuE7ELNS1_3repE0EEENS1_30default_config_static_selectorELNS0_4arch9wavefront6targetE0EEEvSM_
; %bb.0:
	.section	.rodata,"a",@progbits
	.p2align	6, 0x0
	.amdhsa_kernel _ZN7rocprim17ROCPRIM_400000_NS6detail17trampoline_kernelINS0_14default_configENS1_22reduce_config_selectorIbEEZNS1_11reduce_implILb1ES3_N6hipcub16HIPCUB_304000_NS22TransformInputIteratorIb7NonZeroIfEPflEEPllNS8_6detail34convert_binary_result_type_wrapperINS8_3SumESD_lEEEE10hipError_tPvRmT1_T2_T3_mT4_P12ihipStream_tbEUlT_E0_NS1_11comp_targetILNS1_3genE3ELNS1_11target_archE908ELNS1_3gpuE7ELNS1_3repE0EEENS1_30default_config_static_selectorELNS0_4arch9wavefront6targetE0EEEvSM_
		.amdhsa_group_segment_fixed_size 0
		.amdhsa_private_segment_fixed_size 0
		.amdhsa_kernarg_size 72
		.amdhsa_user_sgpr_count 15
		.amdhsa_user_sgpr_dispatch_ptr 0
		.amdhsa_user_sgpr_queue_ptr 0
		.amdhsa_user_sgpr_kernarg_segment_ptr 1
		.amdhsa_user_sgpr_dispatch_id 0
		.amdhsa_user_sgpr_private_segment_size 0
		.amdhsa_wavefront_size32 1
		.amdhsa_uses_dynamic_stack 0
		.amdhsa_enable_private_segment 0
		.amdhsa_system_sgpr_workgroup_id_x 1
		.amdhsa_system_sgpr_workgroup_id_y 0
		.amdhsa_system_sgpr_workgroup_id_z 0
		.amdhsa_system_sgpr_workgroup_info 0
		.amdhsa_system_vgpr_workitem_id 0
		.amdhsa_next_free_vgpr 1
		.amdhsa_next_free_sgpr 1
		.amdhsa_reserve_vcc 0
		.amdhsa_float_round_mode_32 0
		.amdhsa_float_round_mode_16_64 0
		.amdhsa_float_denorm_mode_32 3
		.amdhsa_float_denorm_mode_16_64 3
		.amdhsa_dx10_clamp 1
		.amdhsa_ieee_mode 1
		.amdhsa_fp16_overflow 0
		.amdhsa_workgroup_processor_mode 1
		.amdhsa_memory_ordered 1
		.amdhsa_forward_progress 0
		.amdhsa_shared_vgpr_count 0
		.amdhsa_exception_fp_ieee_invalid_op 0
		.amdhsa_exception_fp_denorm_src 0
		.amdhsa_exception_fp_ieee_div_zero 0
		.amdhsa_exception_fp_ieee_overflow 0
		.amdhsa_exception_fp_ieee_underflow 0
		.amdhsa_exception_fp_ieee_inexact 0
		.amdhsa_exception_int_div_zero 0
	.end_amdhsa_kernel
	.section	.text._ZN7rocprim17ROCPRIM_400000_NS6detail17trampoline_kernelINS0_14default_configENS1_22reduce_config_selectorIbEEZNS1_11reduce_implILb1ES3_N6hipcub16HIPCUB_304000_NS22TransformInputIteratorIb7NonZeroIfEPflEEPllNS8_6detail34convert_binary_result_type_wrapperINS8_3SumESD_lEEEE10hipError_tPvRmT1_T2_T3_mT4_P12ihipStream_tbEUlT_E0_NS1_11comp_targetILNS1_3genE3ELNS1_11target_archE908ELNS1_3gpuE7ELNS1_3repE0EEENS1_30default_config_static_selectorELNS0_4arch9wavefront6targetE0EEEvSM_,"axG",@progbits,_ZN7rocprim17ROCPRIM_400000_NS6detail17trampoline_kernelINS0_14default_configENS1_22reduce_config_selectorIbEEZNS1_11reduce_implILb1ES3_N6hipcub16HIPCUB_304000_NS22TransformInputIteratorIb7NonZeroIfEPflEEPllNS8_6detail34convert_binary_result_type_wrapperINS8_3SumESD_lEEEE10hipError_tPvRmT1_T2_T3_mT4_P12ihipStream_tbEUlT_E0_NS1_11comp_targetILNS1_3genE3ELNS1_11target_archE908ELNS1_3gpuE7ELNS1_3repE0EEENS1_30default_config_static_selectorELNS0_4arch9wavefront6targetE0EEEvSM_,comdat
.Lfunc_end238:
	.size	_ZN7rocprim17ROCPRIM_400000_NS6detail17trampoline_kernelINS0_14default_configENS1_22reduce_config_selectorIbEEZNS1_11reduce_implILb1ES3_N6hipcub16HIPCUB_304000_NS22TransformInputIteratorIb7NonZeroIfEPflEEPllNS8_6detail34convert_binary_result_type_wrapperINS8_3SumESD_lEEEE10hipError_tPvRmT1_T2_T3_mT4_P12ihipStream_tbEUlT_E0_NS1_11comp_targetILNS1_3genE3ELNS1_11target_archE908ELNS1_3gpuE7ELNS1_3repE0EEENS1_30default_config_static_selectorELNS0_4arch9wavefront6targetE0EEEvSM_, .Lfunc_end238-_ZN7rocprim17ROCPRIM_400000_NS6detail17trampoline_kernelINS0_14default_configENS1_22reduce_config_selectorIbEEZNS1_11reduce_implILb1ES3_N6hipcub16HIPCUB_304000_NS22TransformInputIteratorIb7NonZeroIfEPflEEPllNS8_6detail34convert_binary_result_type_wrapperINS8_3SumESD_lEEEE10hipError_tPvRmT1_T2_T3_mT4_P12ihipStream_tbEUlT_E0_NS1_11comp_targetILNS1_3genE3ELNS1_11target_archE908ELNS1_3gpuE7ELNS1_3repE0EEENS1_30default_config_static_selectorELNS0_4arch9wavefront6targetE0EEEvSM_
                                        ; -- End function
	.section	.AMDGPU.csdata,"",@progbits
; Kernel info:
; codeLenInByte = 0
; NumSgprs: 0
; NumVgprs: 0
; ScratchSize: 0
; MemoryBound: 0
; FloatMode: 240
; IeeeMode: 1
; LDSByteSize: 0 bytes/workgroup (compile time only)
; SGPRBlocks: 0
; VGPRBlocks: 0
; NumSGPRsForWavesPerEU: 1
; NumVGPRsForWavesPerEU: 1
; Occupancy: 16
; WaveLimiterHint : 0
; COMPUTE_PGM_RSRC2:SCRATCH_EN: 0
; COMPUTE_PGM_RSRC2:USER_SGPR: 15
; COMPUTE_PGM_RSRC2:TRAP_HANDLER: 0
; COMPUTE_PGM_RSRC2:TGID_X_EN: 1
; COMPUTE_PGM_RSRC2:TGID_Y_EN: 0
; COMPUTE_PGM_RSRC2:TGID_Z_EN: 0
; COMPUTE_PGM_RSRC2:TIDIG_COMP_CNT: 0
	.section	.text._ZN7rocprim17ROCPRIM_400000_NS6detail17trampoline_kernelINS0_14default_configENS1_22reduce_config_selectorIbEEZNS1_11reduce_implILb1ES3_N6hipcub16HIPCUB_304000_NS22TransformInputIteratorIb7NonZeroIfEPflEEPllNS8_6detail34convert_binary_result_type_wrapperINS8_3SumESD_lEEEE10hipError_tPvRmT1_T2_T3_mT4_P12ihipStream_tbEUlT_E0_NS1_11comp_targetILNS1_3genE2ELNS1_11target_archE906ELNS1_3gpuE6ELNS1_3repE0EEENS1_30default_config_static_selectorELNS0_4arch9wavefront6targetE0EEEvSM_,"axG",@progbits,_ZN7rocprim17ROCPRIM_400000_NS6detail17trampoline_kernelINS0_14default_configENS1_22reduce_config_selectorIbEEZNS1_11reduce_implILb1ES3_N6hipcub16HIPCUB_304000_NS22TransformInputIteratorIb7NonZeroIfEPflEEPllNS8_6detail34convert_binary_result_type_wrapperINS8_3SumESD_lEEEE10hipError_tPvRmT1_T2_T3_mT4_P12ihipStream_tbEUlT_E0_NS1_11comp_targetILNS1_3genE2ELNS1_11target_archE906ELNS1_3gpuE6ELNS1_3repE0EEENS1_30default_config_static_selectorELNS0_4arch9wavefront6targetE0EEEvSM_,comdat
	.protected	_ZN7rocprim17ROCPRIM_400000_NS6detail17trampoline_kernelINS0_14default_configENS1_22reduce_config_selectorIbEEZNS1_11reduce_implILb1ES3_N6hipcub16HIPCUB_304000_NS22TransformInputIteratorIb7NonZeroIfEPflEEPllNS8_6detail34convert_binary_result_type_wrapperINS8_3SumESD_lEEEE10hipError_tPvRmT1_T2_T3_mT4_P12ihipStream_tbEUlT_E0_NS1_11comp_targetILNS1_3genE2ELNS1_11target_archE906ELNS1_3gpuE6ELNS1_3repE0EEENS1_30default_config_static_selectorELNS0_4arch9wavefront6targetE0EEEvSM_ ; -- Begin function _ZN7rocprim17ROCPRIM_400000_NS6detail17trampoline_kernelINS0_14default_configENS1_22reduce_config_selectorIbEEZNS1_11reduce_implILb1ES3_N6hipcub16HIPCUB_304000_NS22TransformInputIteratorIb7NonZeroIfEPflEEPllNS8_6detail34convert_binary_result_type_wrapperINS8_3SumESD_lEEEE10hipError_tPvRmT1_T2_T3_mT4_P12ihipStream_tbEUlT_E0_NS1_11comp_targetILNS1_3genE2ELNS1_11target_archE906ELNS1_3gpuE6ELNS1_3repE0EEENS1_30default_config_static_selectorELNS0_4arch9wavefront6targetE0EEEvSM_
	.globl	_ZN7rocprim17ROCPRIM_400000_NS6detail17trampoline_kernelINS0_14default_configENS1_22reduce_config_selectorIbEEZNS1_11reduce_implILb1ES3_N6hipcub16HIPCUB_304000_NS22TransformInputIteratorIb7NonZeroIfEPflEEPllNS8_6detail34convert_binary_result_type_wrapperINS8_3SumESD_lEEEE10hipError_tPvRmT1_T2_T3_mT4_P12ihipStream_tbEUlT_E0_NS1_11comp_targetILNS1_3genE2ELNS1_11target_archE906ELNS1_3gpuE6ELNS1_3repE0EEENS1_30default_config_static_selectorELNS0_4arch9wavefront6targetE0EEEvSM_
	.p2align	8
	.type	_ZN7rocprim17ROCPRIM_400000_NS6detail17trampoline_kernelINS0_14default_configENS1_22reduce_config_selectorIbEEZNS1_11reduce_implILb1ES3_N6hipcub16HIPCUB_304000_NS22TransformInputIteratorIb7NonZeroIfEPflEEPllNS8_6detail34convert_binary_result_type_wrapperINS8_3SumESD_lEEEE10hipError_tPvRmT1_T2_T3_mT4_P12ihipStream_tbEUlT_E0_NS1_11comp_targetILNS1_3genE2ELNS1_11target_archE906ELNS1_3gpuE6ELNS1_3repE0EEENS1_30default_config_static_selectorELNS0_4arch9wavefront6targetE0EEEvSM_,@function
_ZN7rocprim17ROCPRIM_400000_NS6detail17trampoline_kernelINS0_14default_configENS1_22reduce_config_selectorIbEEZNS1_11reduce_implILb1ES3_N6hipcub16HIPCUB_304000_NS22TransformInputIteratorIb7NonZeroIfEPflEEPllNS8_6detail34convert_binary_result_type_wrapperINS8_3SumESD_lEEEE10hipError_tPvRmT1_T2_T3_mT4_P12ihipStream_tbEUlT_E0_NS1_11comp_targetILNS1_3genE2ELNS1_11target_archE906ELNS1_3gpuE6ELNS1_3repE0EEENS1_30default_config_static_selectorELNS0_4arch9wavefront6targetE0EEEvSM_: ; @_ZN7rocprim17ROCPRIM_400000_NS6detail17trampoline_kernelINS0_14default_configENS1_22reduce_config_selectorIbEEZNS1_11reduce_implILb1ES3_N6hipcub16HIPCUB_304000_NS22TransformInputIteratorIb7NonZeroIfEPflEEPllNS8_6detail34convert_binary_result_type_wrapperINS8_3SumESD_lEEEE10hipError_tPvRmT1_T2_T3_mT4_P12ihipStream_tbEUlT_E0_NS1_11comp_targetILNS1_3genE2ELNS1_11target_archE906ELNS1_3gpuE6ELNS1_3repE0EEENS1_30default_config_static_selectorELNS0_4arch9wavefront6targetE0EEEvSM_
; %bb.0:
	.section	.rodata,"a",@progbits
	.p2align	6, 0x0
	.amdhsa_kernel _ZN7rocprim17ROCPRIM_400000_NS6detail17trampoline_kernelINS0_14default_configENS1_22reduce_config_selectorIbEEZNS1_11reduce_implILb1ES3_N6hipcub16HIPCUB_304000_NS22TransformInputIteratorIb7NonZeroIfEPflEEPllNS8_6detail34convert_binary_result_type_wrapperINS8_3SumESD_lEEEE10hipError_tPvRmT1_T2_T3_mT4_P12ihipStream_tbEUlT_E0_NS1_11comp_targetILNS1_3genE2ELNS1_11target_archE906ELNS1_3gpuE6ELNS1_3repE0EEENS1_30default_config_static_selectorELNS0_4arch9wavefront6targetE0EEEvSM_
		.amdhsa_group_segment_fixed_size 0
		.amdhsa_private_segment_fixed_size 0
		.amdhsa_kernarg_size 72
		.amdhsa_user_sgpr_count 15
		.amdhsa_user_sgpr_dispatch_ptr 0
		.amdhsa_user_sgpr_queue_ptr 0
		.amdhsa_user_sgpr_kernarg_segment_ptr 1
		.amdhsa_user_sgpr_dispatch_id 0
		.amdhsa_user_sgpr_private_segment_size 0
		.amdhsa_wavefront_size32 1
		.amdhsa_uses_dynamic_stack 0
		.amdhsa_enable_private_segment 0
		.amdhsa_system_sgpr_workgroup_id_x 1
		.amdhsa_system_sgpr_workgroup_id_y 0
		.amdhsa_system_sgpr_workgroup_id_z 0
		.amdhsa_system_sgpr_workgroup_info 0
		.amdhsa_system_vgpr_workitem_id 0
		.amdhsa_next_free_vgpr 1
		.amdhsa_next_free_sgpr 1
		.amdhsa_reserve_vcc 0
		.amdhsa_float_round_mode_32 0
		.amdhsa_float_round_mode_16_64 0
		.amdhsa_float_denorm_mode_32 3
		.amdhsa_float_denorm_mode_16_64 3
		.amdhsa_dx10_clamp 1
		.amdhsa_ieee_mode 1
		.amdhsa_fp16_overflow 0
		.amdhsa_workgroup_processor_mode 1
		.amdhsa_memory_ordered 1
		.amdhsa_forward_progress 0
		.amdhsa_shared_vgpr_count 0
		.amdhsa_exception_fp_ieee_invalid_op 0
		.amdhsa_exception_fp_denorm_src 0
		.amdhsa_exception_fp_ieee_div_zero 0
		.amdhsa_exception_fp_ieee_overflow 0
		.amdhsa_exception_fp_ieee_underflow 0
		.amdhsa_exception_fp_ieee_inexact 0
		.amdhsa_exception_int_div_zero 0
	.end_amdhsa_kernel
	.section	.text._ZN7rocprim17ROCPRIM_400000_NS6detail17trampoline_kernelINS0_14default_configENS1_22reduce_config_selectorIbEEZNS1_11reduce_implILb1ES3_N6hipcub16HIPCUB_304000_NS22TransformInputIteratorIb7NonZeroIfEPflEEPllNS8_6detail34convert_binary_result_type_wrapperINS8_3SumESD_lEEEE10hipError_tPvRmT1_T2_T3_mT4_P12ihipStream_tbEUlT_E0_NS1_11comp_targetILNS1_3genE2ELNS1_11target_archE906ELNS1_3gpuE6ELNS1_3repE0EEENS1_30default_config_static_selectorELNS0_4arch9wavefront6targetE0EEEvSM_,"axG",@progbits,_ZN7rocprim17ROCPRIM_400000_NS6detail17trampoline_kernelINS0_14default_configENS1_22reduce_config_selectorIbEEZNS1_11reduce_implILb1ES3_N6hipcub16HIPCUB_304000_NS22TransformInputIteratorIb7NonZeroIfEPflEEPllNS8_6detail34convert_binary_result_type_wrapperINS8_3SumESD_lEEEE10hipError_tPvRmT1_T2_T3_mT4_P12ihipStream_tbEUlT_E0_NS1_11comp_targetILNS1_3genE2ELNS1_11target_archE906ELNS1_3gpuE6ELNS1_3repE0EEENS1_30default_config_static_selectorELNS0_4arch9wavefront6targetE0EEEvSM_,comdat
.Lfunc_end239:
	.size	_ZN7rocprim17ROCPRIM_400000_NS6detail17trampoline_kernelINS0_14default_configENS1_22reduce_config_selectorIbEEZNS1_11reduce_implILb1ES3_N6hipcub16HIPCUB_304000_NS22TransformInputIteratorIb7NonZeroIfEPflEEPllNS8_6detail34convert_binary_result_type_wrapperINS8_3SumESD_lEEEE10hipError_tPvRmT1_T2_T3_mT4_P12ihipStream_tbEUlT_E0_NS1_11comp_targetILNS1_3genE2ELNS1_11target_archE906ELNS1_3gpuE6ELNS1_3repE0EEENS1_30default_config_static_selectorELNS0_4arch9wavefront6targetE0EEEvSM_, .Lfunc_end239-_ZN7rocprim17ROCPRIM_400000_NS6detail17trampoline_kernelINS0_14default_configENS1_22reduce_config_selectorIbEEZNS1_11reduce_implILb1ES3_N6hipcub16HIPCUB_304000_NS22TransformInputIteratorIb7NonZeroIfEPflEEPllNS8_6detail34convert_binary_result_type_wrapperINS8_3SumESD_lEEEE10hipError_tPvRmT1_T2_T3_mT4_P12ihipStream_tbEUlT_E0_NS1_11comp_targetILNS1_3genE2ELNS1_11target_archE906ELNS1_3gpuE6ELNS1_3repE0EEENS1_30default_config_static_selectorELNS0_4arch9wavefront6targetE0EEEvSM_
                                        ; -- End function
	.section	.AMDGPU.csdata,"",@progbits
; Kernel info:
; codeLenInByte = 0
; NumSgprs: 0
; NumVgprs: 0
; ScratchSize: 0
; MemoryBound: 0
; FloatMode: 240
; IeeeMode: 1
; LDSByteSize: 0 bytes/workgroup (compile time only)
; SGPRBlocks: 0
; VGPRBlocks: 0
; NumSGPRsForWavesPerEU: 1
; NumVGPRsForWavesPerEU: 1
; Occupancy: 16
; WaveLimiterHint : 0
; COMPUTE_PGM_RSRC2:SCRATCH_EN: 0
; COMPUTE_PGM_RSRC2:USER_SGPR: 15
; COMPUTE_PGM_RSRC2:TRAP_HANDLER: 0
; COMPUTE_PGM_RSRC2:TGID_X_EN: 1
; COMPUTE_PGM_RSRC2:TGID_Y_EN: 0
; COMPUTE_PGM_RSRC2:TGID_Z_EN: 0
; COMPUTE_PGM_RSRC2:TIDIG_COMP_CNT: 0
	.section	.text._ZN7rocprim17ROCPRIM_400000_NS6detail17trampoline_kernelINS0_14default_configENS1_22reduce_config_selectorIbEEZNS1_11reduce_implILb1ES3_N6hipcub16HIPCUB_304000_NS22TransformInputIteratorIb7NonZeroIfEPflEEPllNS8_6detail34convert_binary_result_type_wrapperINS8_3SumESD_lEEEE10hipError_tPvRmT1_T2_T3_mT4_P12ihipStream_tbEUlT_E0_NS1_11comp_targetILNS1_3genE10ELNS1_11target_archE1201ELNS1_3gpuE5ELNS1_3repE0EEENS1_30default_config_static_selectorELNS0_4arch9wavefront6targetE0EEEvSM_,"axG",@progbits,_ZN7rocprim17ROCPRIM_400000_NS6detail17trampoline_kernelINS0_14default_configENS1_22reduce_config_selectorIbEEZNS1_11reduce_implILb1ES3_N6hipcub16HIPCUB_304000_NS22TransformInputIteratorIb7NonZeroIfEPflEEPllNS8_6detail34convert_binary_result_type_wrapperINS8_3SumESD_lEEEE10hipError_tPvRmT1_T2_T3_mT4_P12ihipStream_tbEUlT_E0_NS1_11comp_targetILNS1_3genE10ELNS1_11target_archE1201ELNS1_3gpuE5ELNS1_3repE0EEENS1_30default_config_static_selectorELNS0_4arch9wavefront6targetE0EEEvSM_,comdat
	.protected	_ZN7rocprim17ROCPRIM_400000_NS6detail17trampoline_kernelINS0_14default_configENS1_22reduce_config_selectorIbEEZNS1_11reduce_implILb1ES3_N6hipcub16HIPCUB_304000_NS22TransformInputIteratorIb7NonZeroIfEPflEEPllNS8_6detail34convert_binary_result_type_wrapperINS8_3SumESD_lEEEE10hipError_tPvRmT1_T2_T3_mT4_P12ihipStream_tbEUlT_E0_NS1_11comp_targetILNS1_3genE10ELNS1_11target_archE1201ELNS1_3gpuE5ELNS1_3repE0EEENS1_30default_config_static_selectorELNS0_4arch9wavefront6targetE0EEEvSM_ ; -- Begin function _ZN7rocprim17ROCPRIM_400000_NS6detail17trampoline_kernelINS0_14default_configENS1_22reduce_config_selectorIbEEZNS1_11reduce_implILb1ES3_N6hipcub16HIPCUB_304000_NS22TransformInputIteratorIb7NonZeroIfEPflEEPllNS8_6detail34convert_binary_result_type_wrapperINS8_3SumESD_lEEEE10hipError_tPvRmT1_T2_T3_mT4_P12ihipStream_tbEUlT_E0_NS1_11comp_targetILNS1_3genE10ELNS1_11target_archE1201ELNS1_3gpuE5ELNS1_3repE0EEENS1_30default_config_static_selectorELNS0_4arch9wavefront6targetE0EEEvSM_
	.globl	_ZN7rocprim17ROCPRIM_400000_NS6detail17trampoline_kernelINS0_14default_configENS1_22reduce_config_selectorIbEEZNS1_11reduce_implILb1ES3_N6hipcub16HIPCUB_304000_NS22TransformInputIteratorIb7NonZeroIfEPflEEPllNS8_6detail34convert_binary_result_type_wrapperINS8_3SumESD_lEEEE10hipError_tPvRmT1_T2_T3_mT4_P12ihipStream_tbEUlT_E0_NS1_11comp_targetILNS1_3genE10ELNS1_11target_archE1201ELNS1_3gpuE5ELNS1_3repE0EEENS1_30default_config_static_selectorELNS0_4arch9wavefront6targetE0EEEvSM_
	.p2align	8
	.type	_ZN7rocprim17ROCPRIM_400000_NS6detail17trampoline_kernelINS0_14default_configENS1_22reduce_config_selectorIbEEZNS1_11reduce_implILb1ES3_N6hipcub16HIPCUB_304000_NS22TransformInputIteratorIb7NonZeroIfEPflEEPllNS8_6detail34convert_binary_result_type_wrapperINS8_3SumESD_lEEEE10hipError_tPvRmT1_T2_T3_mT4_P12ihipStream_tbEUlT_E0_NS1_11comp_targetILNS1_3genE10ELNS1_11target_archE1201ELNS1_3gpuE5ELNS1_3repE0EEENS1_30default_config_static_selectorELNS0_4arch9wavefront6targetE0EEEvSM_,@function
_ZN7rocprim17ROCPRIM_400000_NS6detail17trampoline_kernelINS0_14default_configENS1_22reduce_config_selectorIbEEZNS1_11reduce_implILb1ES3_N6hipcub16HIPCUB_304000_NS22TransformInputIteratorIb7NonZeroIfEPflEEPllNS8_6detail34convert_binary_result_type_wrapperINS8_3SumESD_lEEEE10hipError_tPvRmT1_T2_T3_mT4_P12ihipStream_tbEUlT_E0_NS1_11comp_targetILNS1_3genE10ELNS1_11target_archE1201ELNS1_3gpuE5ELNS1_3repE0EEENS1_30default_config_static_selectorELNS0_4arch9wavefront6targetE0EEEvSM_: ; @_ZN7rocprim17ROCPRIM_400000_NS6detail17trampoline_kernelINS0_14default_configENS1_22reduce_config_selectorIbEEZNS1_11reduce_implILb1ES3_N6hipcub16HIPCUB_304000_NS22TransformInputIteratorIb7NonZeroIfEPflEEPllNS8_6detail34convert_binary_result_type_wrapperINS8_3SumESD_lEEEE10hipError_tPvRmT1_T2_T3_mT4_P12ihipStream_tbEUlT_E0_NS1_11comp_targetILNS1_3genE10ELNS1_11target_archE1201ELNS1_3gpuE5ELNS1_3repE0EEENS1_30default_config_static_selectorELNS0_4arch9wavefront6targetE0EEEvSM_
; %bb.0:
	.section	.rodata,"a",@progbits
	.p2align	6, 0x0
	.amdhsa_kernel _ZN7rocprim17ROCPRIM_400000_NS6detail17trampoline_kernelINS0_14default_configENS1_22reduce_config_selectorIbEEZNS1_11reduce_implILb1ES3_N6hipcub16HIPCUB_304000_NS22TransformInputIteratorIb7NonZeroIfEPflEEPllNS8_6detail34convert_binary_result_type_wrapperINS8_3SumESD_lEEEE10hipError_tPvRmT1_T2_T3_mT4_P12ihipStream_tbEUlT_E0_NS1_11comp_targetILNS1_3genE10ELNS1_11target_archE1201ELNS1_3gpuE5ELNS1_3repE0EEENS1_30default_config_static_selectorELNS0_4arch9wavefront6targetE0EEEvSM_
		.amdhsa_group_segment_fixed_size 0
		.amdhsa_private_segment_fixed_size 0
		.amdhsa_kernarg_size 72
		.amdhsa_user_sgpr_count 15
		.amdhsa_user_sgpr_dispatch_ptr 0
		.amdhsa_user_sgpr_queue_ptr 0
		.amdhsa_user_sgpr_kernarg_segment_ptr 1
		.amdhsa_user_sgpr_dispatch_id 0
		.amdhsa_user_sgpr_private_segment_size 0
		.amdhsa_wavefront_size32 1
		.amdhsa_uses_dynamic_stack 0
		.amdhsa_enable_private_segment 0
		.amdhsa_system_sgpr_workgroup_id_x 1
		.amdhsa_system_sgpr_workgroup_id_y 0
		.amdhsa_system_sgpr_workgroup_id_z 0
		.amdhsa_system_sgpr_workgroup_info 0
		.amdhsa_system_vgpr_workitem_id 0
		.amdhsa_next_free_vgpr 1
		.amdhsa_next_free_sgpr 1
		.amdhsa_reserve_vcc 0
		.amdhsa_float_round_mode_32 0
		.amdhsa_float_round_mode_16_64 0
		.amdhsa_float_denorm_mode_32 3
		.amdhsa_float_denorm_mode_16_64 3
		.amdhsa_dx10_clamp 1
		.amdhsa_ieee_mode 1
		.amdhsa_fp16_overflow 0
		.amdhsa_workgroup_processor_mode 1
		.amdhsa_memory_ordered 1
		.amdhsa_forward_progress 0
		.amdhsa_shared_vgpr_count 0
		.amdhsa_exception_fp_ieee_invalid_op 0
		.amdhsa_exception_fp_denorm_src 0
		.amdhsa_exception_fp_ieee_div_zero 0
		.amdhsa_exception_fp_ieee_overflow 0
		.amdhsa_exception_fp_ieee_underflow 0
		.amdhsa_exception_fp_ieee_inexact 0
		.amdhsa_exception_int_div_zero 0
	.end_amdhsa_kernel
	.section	.text._ZN7rocprim17ROCPRIM_400000_NS6detail17trampoline_kernelINS0_14default_configENS1_22reduce_config_selectorIbEEZNS1_11reduce_implILb1ES3_N6hipcub16HIPCUB_304000_NS22TransformInputIteratorIb7NonZeroIfEPflEEPllNS8_6detail34convert_binary_result_type_wrapperINS8_3SumESD_lEEEE10hipError_tPvRmT1_T2_T3_mT4_P12ihipStream_tbEUlT_E0_NS1_11comp_targetILNS1_3genE10ELNS1_11target_archE1201ELNS1_3gpuE5ELNS1_3repE0EEENS1_30default_config_static_selectorELNS0_4arch9wavefront6targetE0EEEvSM_,"axG",@progbits,_ZN7rocprim17ROCPRIM_400000_NS6detail17trampoline_kernelINS0_14default_configENS1_22reduce_config_selectorIbEEZNS1_11reduce_implILb1ES3_N6hipcub16HIPCUB_304000_NS22TransformInputIteratorIb7NonZeroIfEPflEEPllNS8_6detail34convert_binary_result_type_wrapperINS8_3SumESD_lEEEE10hipError_tPvRmT1_T2_T3_mT4_P12ihipStream_tbEUlT_E0_NS1_11comp_targetILNS1_3genE10ELNS1_11target_archE1201ELNS1_3gpuE5ELNS1_3repE0EEENS1_30default_config_static_selectorELNS0_4arch9wavefront6targetE0EEEvSM_,comdat
.Lfunc_end240:
	.size	_ZN7rocprim17ROCPRIM_400000_NS6detail17trampoline_kernelINS0_14default_configENS1_22reduce_config_selectorIbEEZNS1_11reduce_implILb1ES3_N6hipcub16HIPCUB_304000_NS22TransformInputIteratorIb7NonZeroIfEPflEEPllNS8_6detail34convert_binary_result_type_wrapperINS8_3SumESD_lEEEE10hipError_tPvRmT1_T2_T3_mT4_P12ihipStream_tbEUlT_E0_NS1_11comp_targetILNS1_3genE10ELNS1_11target_archE1201ELNS1_3gpuE5ELNS1_3repE0EEENS1_30default_config_static_selectorELNS0_4arch9wavefront6targetE0EEEvSM_, .Lfunc_end240-_ZN7rocprim17ROCPRIM_400000_NS6detail17trampoline_kernelINS0_14default_configENS1_22reduce_config_selectorIbEEZNS1_11reduce_implILb1ES3_N6hipcub16HIPCUB_304000_NS22TransformInputIteratorIb7NonZeroIfEPflEEPllNS8_6detail34convert_binary_result_type_wrapperINS8_3SumESD_lEEEE10hipError_tPvRmT1_T2_T3_mT4_P12ihipStream_tbEUlT_E0_NS1_11comp_targetILNS1_3genE10ELNS1_11target_archE1201ELNS1_3gpuE5ELNS1_3repE0EEENS1_30default_config_static_selectorELNS0_4arch9wavefront6targetE0EEEvSM_
                                        ; -- End function
	.section	.AMDGPU.csdata,"",@progbits
; Kernel info:
; codeLenInByte = 0
; NumSgprs: 0
; NumVgprs: 0
; ScratchSize: 0
; MemoryBound: 0
; FloatMode: 240
; IeeeMode: 1
; LDSByteSize: 0 bytes/workgroup (compile time only)
; SGPRBlocks: 0
; VGPRBlocks: 0
; NumSGPRsForWavesPerEU: 1
; NumVGPRsForWavesPerEU: 1
; Occupancy: 16
; WaveLimiterHint : 0
; COMPUTE_PGM_RSRC2:SCRATCH_EN: 0
; COMPUTE_PGM_RSRC2:USER_SGPR: 15
; COMPUTE_PGM_RSRC2:TRAP_HANDLER: 0
; COMPUTE_PGM_RSRC2:TGID_X_EN: 1
; COMPUTE_PGM_RSRC2:TGID_Y_EN: 0
; COMPUTE_PGM_RSRC2:TGID_Z_EN: 0
; COMPUTE_PGM_RSRC2:TIDIG_COMP_CNT: 0
	.section	.text._ZN7rocprim17ROCPRIM_400000_NS6detail17trampoline_kernelINS0_14default_configENS1_22reduce_config_selectorIbEEZNS1_11reduce_implILb1ES3_N6hipcub16HIPCUB_304000_NS22TransformInputIteratorIb7NonZeroIfEPflEEPllNS8_6detail34convert_binary_result_type_wrapperINS8_3SumESD_lEEEE10hipError_tPvRmT1_T2_T3_mT4_P12ihipStream_tbEUlT_E0_NS1_11comp_targetILNS1_3genE10ELNS1_11target_archE1200ELNS1_3gpuE4ELNS1_3repE0EEENS1_30default_config_static_selectorELNS0_4arch9wavefront6targetE0EEEvSM_,"axG",@progbits,_ZN7rocprim17ROCPRIM_400000_NS6detail17trampoline_kernelINS0_14default_configENS1_22reduce_config_selectorIbEEZNS1_11reduce_implILb1ES3_N6hipcub16HIPCUB_304000_NS22TransformInputIteratorIb7NonZeroIfEPflEEPllNS8_6detail34convert_binary_result_type_wrapperINS8_3SumESD_lEEEE10hipError_tPvRmT1_T2_T3_mT4_P12ihipStream_tbEUlT_E0_NS1_11comp_targetILNS1_3genE10ELNS1_11target_archE1200ELNS1_3gpuE4ELNS1_3repE0EEENS1_30default_config_static_selectorELNS0_4arch9wavefront6targetE0EEEvSM_,comdat
	.protected	_ZN7rocprim17ROCPRIM_400000_NS6detail17trampoline_kernelINS0_14default_configENS1_22reduce_config_selectorIbEEZNS1_11reduce_implILb1ES3_N6hipcub16HIPCUB_304000_NS22TransformInputIteratorIb7NonZeroIfEPflEEPllNS8_6detail34convert_binary_result_type_wrapperINS8_3SumESD_lEEEE10hipError_tPvRmT1_T2_T3_mT4_P12ihipStream_tbEUlT_E0_NS1_11comp_targetILNS1_3genE10ELNS1_11target_archE1200ELNS1_3gpuE4ELNS1_3repE0EEENS1_30default_config_static_selectorELNS0_4arch9wavefront6targetE0EEEvSM_ ; -- Begin function _ZN7rocprim17ROCPRIM_400000_NS6detail17trampoline_kernelINS0_14default_configENS1_22reduce_config_selectorIbEEZNS1_11reduce_implILb1ES3_N6hipcub16HIPCUB_304000_NS22TransformInputIteratorIb7NonZeroIfEPflEEPllNS8_6detail34convert_binary_result_type_wrapperINS8_3SumESD_lEEEE10hipError_tPvRmT1_T2_T3_mT4_P12ihipStream_tbEUlT_E0_NS1_11comp_targetILNS1_3genE10ELNS1_11target_archE1200ELNS1_3gpuE4ELNS1_3repE0EEENS1_30default_config_static_selectorELNS0_4arch9wavefront6targetE0EEEvSM_
	.globl	_ZN7rocprim17ROCPRIM_400000_NS6detail17trampoline_kernelINS0_14default_configENS1_22reduce_config_selectorIbEEZNS1_11reduce_implILb1ES3_N6hipcub16HIPCUB_304000_NS22TransformInputIteratorIb7NonZeroIfEPflEEPllNS8_6detail34convert_binary_result_type_wrapperINS8_3SumESD_lEEEE10hipError_tPvRmT1_T2_T3_mT4_P12ihipStream_tbEUlT_E0_NS1_11comp_targetILNS1_3genE10ELNS1_11target_archE1200ELNS1_3gpuE4ELNS1_3repE0EEENS1_30default_config_static_selectorELNS0_4arch9wavefront6targetE0EEEvSM_
	.p2align	8
	.type	_ZN7rocprim17ROCPRIM_400000_NS6detail17trampoline_kernelINS0_14default_configENS1_22reduce_config_selectorIbEEZNS1_11reduce_implILb1ES3_N6hipcub16HIPCUB_304000_NS22TransformInputIteratorIb7NonZeroIfEPflEEPllNS8_6detail34convert_binary_result_type_wrapperINS8_3SumESD_lEEEE10hipError_tPvRmT1_T2_T3_mT4_P12ihipStream_tbEUlT_E0_NS1_11comp_targetILNS1_3genE10ELNS1_11target_archE1200ELNS1_3gpuE4ELNS1_3repE0EEENS1_30default_config_static_selectorELNS0_4arch9wavefront6targetE0EEEvSM_,@function
_ZN7rocprim17ROCPRIM_400000_NS6detail17trampoline_kernelINS0_14default_configENS1_22reduce_config_selectorIbEEZNS1_11reduce_implILb1ES3_N6hipcub16HIPCUB_304000_NS22TransformInputIteratorIb7NonZeroIfEPflEEPllNS8_6detail34convert_binary_result_type_wrapperINS8_3SumESD_lEEEE10hipError_tPvRmT1_T2_T3_mT4_P12ihipStream_tbEUlT_E0_NS1_11comp_targetILNS1_3genE10ELNS1_11target_archE1200ELNS1_3gpuE4ELNS1_3repE0EEENS1_30default_config_static_selectorELNS0_4arch9wavefront6targetE0EEEvSM_: ; @_ZN7rocprim17ROCPRIM_400000_NS6detail17trampoline_kernelINS0_14default_configENS1_22reduce_config_selectorIbEEZNS1_11reduce_implILb1ES3_N6hipcub16HIPCUB_304000_NS22TransformInputIteratorIb7NonZeroIfEPflEEPllNS8_6detail34convert_binary_result_type_wrapperINS8_3SumESD_lEEEE10hipError_tPvRmT1_T2_T3_mT4_P12ihipStream_tbEUlT_E0_NS1_11comp_targetILNS1_3genE10ELNS1_11target_archE1200ELNS1_3gpuE4ELNS1_3repE0EEENS1_30default_config_static_selectorELNS0_4arch9wavefront6targetE0EEEvSM_
; %bb.0:
	.section	.rodata,"a",@progbits
	.p2align	6, 0x0
	.amdhsa_kernel _ZN7rocprim17ROCPRIM_400000_NS6detail17trampoline_kernelINS0_14default_configENS1_22reduce_config_selectorIbEEZNS1_11reduce_implILb1ES3_N6hipcub16HIPCUB_304000_NS22TransformInputIteratorIb7NonZeroIfEPflEEPllNS8_6detail34convert_binary_result_type_wrapperINS8_3SumESD_lEEEE10hipError_tPvRmT1_T2_T3_mT4_P12ihipStream_tbEUlT_E0_NS1_11comp_targetILNS1_3genE10ELNS1_11target_archE1200ELNS1_3gpuE4ELNS1_3repE0EEENS1_30default_config_static_selectorELNS0_4arch9wavefront6targetE0EEEvSM_
		.amdhsa_group_segment_fixed_size 0
		.amdhsa_private_segment_fixed_size 0
		.amdhsa_kernarg_size 72
		.amdhsa_user_sgpr_count 15
		.amdhsa_user_sgpr_dispatch_ptr 0
		.amdhsa_user_sgpr_queue_ptr 0
		.amdhsa_user_sgpr_kernarg_segment_ptr 1
		.amdhsa_user_sgpr_dispatch_id 0
		.amdhsa_user_sgpr_private_segment_size 0
		.amdhsa_wavefront_size32 1
		.amdhsa_uses_dynamic_stack 0
		.amdhsa_enable_private_segment 0
		.amdhsa_system_sgpr_workgroup_id_x 1
		.amdhsa_system_sgpr_workgroup_id_y 0
		.amdhsa_system_sgpr_workgroup_id_z 0
		.amdhsa_system_sgpr_workgroup_info 0
		.amdhsa_system_vgpr_workitem_id 0
		.amdhsa_next_free_vgpr 1
		.amdhsa_next_free_sgpr 1
		.amdhsa_reserve_vcc 0
		.amdhsa_float_round_mode_32 0
		.amdhsa_float_round_mode_16_64 0
		.amdhsa_float_denorm_mode_32 3
		.amdhsa_float_denorm_mode_16_64 3
		.amdhsa_dx10_clamp 1
		.amdhsa_ieee_mode 1
		.amdhsa_fp16_overflow 0
		.amdhsa_workgroup_processor_mode 1
		.amdhsa_memory_ordered 1
		.amdhsa_forward_progress 0
		.amdhsa_shared_vgpr_count 0
		.amdhsa_exception_fp_ieee_invalid_op 0
		.amdhsa_exception_fp_denorm_src 0
		.amdhsa_exception_fp_ieee_div_zero 0
		.amdhsa_exception_fp_ieee_overflow 0
		.amdhsa_exception_fp_ieee_underflow 0
		.amdhsa_exception_fp_ieee_inexact 0
		.amdhsa_exception_int_div_zero 0
	.end_amdhsa_kernel
	.section	.text._ZN7rocprim17ROCPRIM_400000_NS6detail17trampoline_kernelINS0_14default_configENS1_22reduce_config_selectorIbEEZNS1_11reduce_implILb1ES3_N6hipcub16HIPCUB_304000_NS22TransformInputIteratorIb7NonZeroIfEPflEEPllNS8_6detail34convert_binary_result_type_wrapperINS8_3SumESD_lEEEE10hipError_tPvRmT1_T2_T3_mT4_P12ihipStream_tbEUlT_E0_NS1_11comp_targetILNS1_3genE10ELNS1_11target_archE1200ELNS1_3gpuE4ELNS1_3repE0EEENS1_30default_config_static_selectorELNS0_4arch9wavefront6targetE0EEEvSM_,"axG",@progbits,_ZN7rocprim17ROCPRIM_400000_NS6detail17trampoline_kernelINS0_14default_configENS1_22reduce_config_selectorIbEEZNS1_11reduce_implILb1ES3_N6hipcub16HIPCUB_304000_NS22TransformInputIteratorIb7NonZeroIfEPflEEPllNS8_6detail34convert_binary_result_type_wrapperINS8_3SumESD_lEEEE10hipError_tPvRmT1_T2_T3_mT4_P12ihipStream_tbEUlT_E0_NS1_11comp_targetILNS1_3genE10ELNS1_11target_archE1200ELNS1_3gpuE4ELNS1_3repE0EEENS1_30default_config_static_selectorELNS0_4arch9wavefront6targetE0EEEvSM_,comdat
.Lfunc_end241:
	.size	_ZN7rocprim17ROCPRIM_400000_NS6detail17trampoline_kernelINS0_14default_configENS1_22reduce_config_selectorIbEEZNS1_11reduce_implILb1ES3_N6hipcub16HIPCUB_304000_NS22TransformInputIteratorIb7NonZeroIfEPflEEPllNS8_6detail34convert_binary_result_type_wrapperINS8_3SumESD_lEEEE10hipError_tPvRmT1_T2_T3_mT4_P12ihipStream_tbEUlT_E0_NS1_11comp_targetILNS1_3genE10ELNS1_11target_archE1200ELNS1_3gpuE4ELNS1_3repE0EEENS1_30default_config_static_selectorELNS0_4arch9wavefront6targetE0EEEvSM_, .Lfunc_end241-_ZN7rocprim17ROCPRIM_400000_NS6detail17trampoline_kernelINS0_14default_configENS1_22reduce_config_selectorIbEEZNS1_11reduce_implILb1ES3_N6hipcub16HIPCUB_304000_NS22TransformInputIteratorIb7NonZeroIfEPflEEPllNS8_6detail34convert_binary_result_type_wrapperINS8_3SumESD_lEEEE10hipError_tPvRmT1_T2_T3_mT4_P12ihipStream_tbEUlT_E0_NS1_11comp_targetILNS1_3genE10ELNS1_11target_archE1200ELNS1_3gpuE4ELNS1_3repE0EEENS1_30default_config_static_selectorELNS0_4arch9wavefront6targetE0EEEvSM_
                                        ; -- End function
	.section	.AMDGPU.csdata,"",@progbits
; Kernel info:
; codeLenInByte = 0
; NumSgprs: 0
; NumVgprs: 0
; ScratchSize: 0
; MemoryBound: 0
; FloatMode: 240
; IeeeMode: 1
; LDSByteSize: 0 bytes/workgroup (compile time only)
; SGPRBlocks: 0
; VGPRBlocks: 0
; NumSGPRsForWavesPerEU: 1
; NumVGPRsForWavesPerEU: 1
; Occupancy: 16
; WaveLimiterHint : 0
; COMPUTE_PGM_RSRC2:SCRATCH_EN: 0
; COMPUTE_PGM_RSRC2:USER_SGPR: 15
; COMPUTE_PGM_RSRC2:TRAP_HANDLER: 0
; COMPUTE_PGM_RSRC2:TGID_X_EN: 1
; COMPUTE_PGM_RSRC2:TGID_Y_EN: 0
; COMPUTE_PGM_RSRC2:TGID_Z_EN: 0
; COMPUTE_PGM_RSRC2:TIDIG_COMP_CNT: 0
	.section	.text._ZN7rocprim17ROCPRIM_400000_NS6detail17trampoline_kernelINS0_14default_configENS1_22reduce_config_selectorIbEEZNS1_11reduce_implILb1ES3_N6hipcub16HIPCUB_304000_NS22TransformInputIteratorIb7NonZeroIfEPflEEPllNS8_6detail34convert_binary_result_type_wrapperINS8_3SumESD_lEEEE10hipError_tPvRmT1_T2_T3_mT4_P12ihipStream_tbEUlT_E0_NS1_11comp_targetILNS1_3genE9ELNS1_11target_archE1100ELNS1_3gpuE3ELNS1_3repE0EEENS1_30default_config_static_selectorELNS0_4arch9wavefront6targetE0EEEvSM_,"axG",@progbits,_ZN7rocprim17ROCPRIM_400000_NS6detail17trampoline_kernelINS0_14default_configENS1_22reduce_config_selectorIbEEZNS1_11reduce_implILb1ES3_N6hipcub16HIPCUB_304000_NS22TransformInputIteratorIb7NonZeroIfEPflEEPllNS8_6detail34convert_binary_result_type_wrapperINS8_3SumESD_lEEEE10hipError_tPvRmT1_T2_T3_mT4_P12ihipStream_tbEUlT_E0_NS1_11comp_targetILNS1_3genE9ELNS1_11target_archE1100ELNS1_3gpuE3ELNS1_3repE0EEENS1_30default_config_static_selectorELNS0_4arch9wavefront6targetE0EEEvSM_,comdat
	.protected	_ZN7rocprim17ROCPRIM_400000_NS6detail17trampoline_kernelINS0_14default_configENS1_22reduce_config_selectorIbEEZNS1_11reduce_implILb1ES3_N6hipcub16HIPCUB_304000_NS22TransformInputIteratorIb7NonZeroIfEPflEEPllNS8_6detail34convert_binary_result_type_wrapperINS8_3SumESD_lEEEE10hipError_tPvRmT1_T2_T3_mT4_P12ihipStream_tbEUlT_E0_NS1_11comp_targetILNS1_3genE9ELNS1_11target_archE1100ELNS1_3gpuE3ELNS1_3repE0EEENS1_30default_config_static_selectorELNS0_4arch9wavefront6targetE0EEEvSM_ ; -- Begin function _ZN7rocprim17ROCPRIM_400000_NS6detail17trampoline_kernelINS0_14default_configENS1_22reduce_config_selectorIbEEZNS1_11reduce_implILb1ES3_N6hipcub16HIPCUB_304000_NS22TransformInputIteratorIb7NonZeroIfEPflEEPllNS8_6detail34convert_binary_result_type_wrapperINS8_3SumESD_lEEEE10hipError_tPvRmT1_T2_T3_mT4_P12ihipStream_tbEUlT_E0_NS1_11comp_targetILNS1_3genE9ELNS1_11target_archE1100ELNS1_3gpuE3ELNS1_3repE0EEENS1_30default_config_static_selectorELNS0_4arch9wavefront6targetE0EEEvSM_
	.globl	_ZN7rocprim17ROCPRIM_400000_NS6detail17trampoline_kernelINS0_14default_configENS1_22reduce_config_selectorIbEEZNS1_11reduce_implILb1ES3_N6hipcub16HIPCUB_304000_NS22TransformInputIteratorIb7NonZeroIfEPflEEPllNS8_6detail34convert_binary_result_type_wrapperINS8_3SumESD_lEEEE10hipError_tPvRmT1_T2_T3_mT4_P12ihipStream_tbEUlT_E0_NS1_11comp_targetILNS1_3genE9ELNS1_11target_archE1100ELNS1_3gpuE3ELNS1_3repE0EEENS1_30default_config_static_selectorELNS0_4arch9wavefront6targetE0EEEvSM_
	.p2align	8
	.type	_ZN7rocprim17ROCPRIM_400000_NS6detail17trampoline_kernelINS0_14default_configENS1_22reduce_config_selectorIbEEZNS1_11reduce_implILb1ES3_N6hipcub16HIPCUB_304000_NS22TransformInputIteratorIb7NonZeroIfEPflEEPllNS8_6detail34convert_binary_result_type_wrapperINS8_3SumESD_lEEEE10hipError_tPvRmT1_T2_T3_mT4_P12ihipStream_tbEUlT_E0_NS1_11comp_targetILNS1_3genE9ELNS1_11target_archE1100ELNS1_3gpuE3ELNS1_3repE0EEENS1_30default_config_static_selectorELNS0_4arch9wavefront6targetE0EEEvSM_,@function
_ZN7rocprim17ROCPRIM_400000_NS6detail17trampoline_kernelINS0_14default_configENS1_22reduce_config_selectorIbEEZNS1_11reduce_implILb1ES3_N6hipcub16HIPCUB_304000_NS22TransformInputIteratorIb7NonZeroIfEPflEEPllNS8_6detail34convert_binary_result_type_wrapperINS8_3SumESD_lEEEE10hipError_tPvRmT1_T2_T3_mT4_P12ihipStream_tbEUlT_E0_NS1_11comp_targetILNS1_3genE9ELNS1_11target_archE1100ELNS1_3gpuE3ELNS1_3repE0EEENS1_30default_config_static_selectorELNS0_4arch9wavefront6targetE0EEEvSM_: ; @_ZN7rocprim17ROCPRIM_400000_NS6detail17trampoline_kernelINS0_14default_configENS1_22reduce_config_selectorIbEEZNS1_11reduce_implILb1ES3_N6hipcub16HIPCUB_304000_NS22TransformInputIteratorIb7NonZeroIfEPflEEPllNS8_6detail34convert_binary_result_type_wrapperINS8_3SumESD_lEEEE10hipError_tPvRmT1_T2_T3_mT4_P12ihipStream_tbEUlT_E0_NS1_11comp_targetILNS1_3genE9ELNS1_11target_archE1100ELNS1_3gpuE3ELNS1_3repE0EEENS1_30default_config_static_selectorELNS0_4arch9wavefront6targetE0EEEvSM_
; %bb.0:
	s_clause 0x2
	s_load_b256 s[16:23], s[0:1], 0x10
	s_load_b64 s[4:5], s[0:1], 0x0
	s_load_b128 s[24:27], s[0:1], 0x30
	s_mov_b32 s3, 0
	v_lshlrev_b32_e32 v34, 2, v0
	v_mbcnt_lo_u32_b32 v33, -1, 0
	s_mov_b32 s28, s15
	s_mov_b32 s29, s3
	s_waitcnt lgkmcnt(0)
	s_lshl_b64 s[0:1], s[16:17], 2
	s_delay_alu instid0(SALU_CYCLE_1) | instskip(SKIP_4) | instid1(SALU_CYCLE_1)
	s_add_u32 s6, s4, s0
	s_addc_u32 s7, s5, s1
	s_lshl_b32 s2, s15, 11
	s_lshr_b64 s[4:5], s[18:19], 11
	s_lshl_b64 s[0:1], s[2:3], 2
	s_add_u32 s14, s6, s0
	s_addc_u32 s15, s7, s1
	s_cmp_lg_u64 s[4:5], s[28:29]
	s_cbranch_scc0 .LBB242_6
; %bb.1:
	s_clause 0x6
	global_load_b32 v3, v34, s[14:15]
	global_load_b32 v4, v34, s[14:15] offset:512
	global_load_b32 v5, v34, s[14:15] offset:1024
	;; [unrolled: 1-line block ×6, first 2 shown]
	v_add_co_u32 v1, s0, s14, v34
	global_load_b32 v10, v34, s[14:15] offset:3584
	v_add_co_ci_u32_e64 v2, null, s15, 0, s0
	v_add_co_u32 v1, vcc_lo, 0x1000, v1
	s_delay_alu instid0(VALU_DEP_2)
	v_add_co_ci_u32_e32 v2, vcc_lo, 0, v2, vcc_lo
	s_clause 0x7
	global_load_b32 v11, v[1:2], off
	global_load_b32 v12, v[1:2], off offset:512
	global_load_b32 v13, v[1:2], off offset:1024
	;; [unrolled: 1-line block ×7, first 2 shown]
	s_waitcnt vmcnt(15)
	v_cmp_neq_f32_e32 vcc_lo, 0, v3
	v_cndmask_b32_e64 v2, 0, 1, vcc_lo
	s_waitcnt vmcnt(14)
	v_cmp_neq_f32_e32 vcc_lo, 0, v4
	v_cndmask_b32_e64 v3, 0, 1, vcc_lo
	s_waitcnt vmcnt(13)
	v_cmp_neq_f32_e32 vcc_lo, 0, v5
	s_delay_alu instid0(VALU_DEP_2)
	v_add_co_u32 v2, s0, v3, v2
	v_cndmask_b32_e64 v4, 0, 1, vcc_lo
	s_waitcnt vmcnt(12)
	v_cmp_neq_f32_e32 vcc_lo, 0, v6
	v_add_co_ci_u32_e64 v5, null, 0, 0, s0
	s_waitcnt vmcnt(11)
	v_cmp_neq_f32_e64 s0, 0, v7
	v_cndmask_b32_e64 v3, 0, 1, vcc_lo
	v_add_co_u32 v2, vcc_lo, v2, v4
	v_add_co_ci_u32_e32 v5, vcc_lo, 0, v5, vcc_lo
	s_delay_alu instid0(VALU_DEP_4) | instskip(NEXT) | instid1(VALU_DEP_3)
	v_cndmask_b32_e64 v4, 0, 1, s0
	v_add_co_u32 v2, vcc_lo, v2, v3
	s_waitcnt vmcnt(10)
	v_cmp_neq_f32_e64 s0, 0, v8
	v_add_co_ci_u32_e32 v5, vcc_lo, 0, v5, vcc_lo
	s_delay_alu instid0(VALU_DEP_3) | instskip(NEXT) | instid1(VALU_DEP_3)
	v_add_co_u32 v2, vcc_lo, v2, v4
	v_cndmask_b32_e64 v3, 0, 1, s0
	s_waitcnt vmcnt(9)
	v_cmp_neq_f32_e64 s0, 0, v9
	v_add_co_ci_u32_e32 v5, vcc_lo, 0, v5, vcc_lo
	s_delay_alu instid0(VALU_DEP_3) | instskip(NEXT) | instid1(VALU_DEP_3)
	v_add_co_u32 v2, vcc_lo, v2, v3
	v_cndmask_b32_e64 v4, 0, 1, s0
	;; [unrolled: 6-line block ×11, first 2 shown]
	s_delay_alu instid0(VALU_DEP_3) | instskip(SKIP_2) | instid1(VALU_DEP_3)
	v_add_co_ci_u32_e32 v3, vcc_lo, 0, v3, vcc_lo
	v_mov_b32_e32 v4, 0
	s_mov_b32 s0, exec_lo
	v_add_co_u32 v1, vcc_lo, v2, v1
	s_delay_alu instid0(VALU_DEP_3) | instskip(NEXT) | instid1(VALU_DEP_2)
	v_add_co_ci_u32_e32 v2, vcc_lo, 0, v3, vcc_lo
	v_mov_b32_dpp v3, v1 quad_perm:[1,0,3,2] row_mask:0xf bank_mask:0xf
	s_delay_alu instid0(VALU_DEP_1) | instskip(SKIP_1) | instid1(VALU_DEP_4)
	v_add_co_u32 v1, vcc_lo, v1, v3
	v_mov_b32_dpp v3, v4 quad_perm:[1,0,3,2] row_mask:0xf bank_mask:0xf
	v_add_co_ci_u32_e32 v2, vcc_lo, 0, v2, vcc_lo
	s_delay_alu instid0(VALU_DEP_3) | instskip(SKIP_1) | instid1(VALU_DEP_3)
	v_mov_b32_dpp v5, v1 quad_perm:[2,3,0,1] row_mask:0xf bank_mask:0xf
	v_add_co_u32 v1, vcc_lo, 0, v1
	v_add_co_ci_u32_e32 v2, vcc_lo, v3, v2, vcc_lo
	s_delay_alu instid0(VALU_DEP_2) | instskip(NEXT) | instid1(VALU_DEP_2)
	v_add_co_u32 v1, vcc_lo, v1, v5
	v_mov_b32_dpp v3, v2 quad_perm:[2,3,0,1] row_mask:0xf bank_mask:0xf
	v_add_co_ci_u32_e32 v2, vcc_lo, 0, v2, vcc_lo
	s_delay_alu instid0(VALU_DEP_3) | instskip(SKIP_1) | instid1(VALU_DEP_3)
	v_mov_b32_dpp v5, v1 row_ror:4 row_mask:0xf bank_mask:0xf
	v_add_co_u32 v1, vcc_lo, v1, 0
	v_add_co_ci_u32_e32 v2, vcc_lo, v2, v3, vcc_lo
	s_delay_alu instid0(VALU_DEP_2) | instskip(NEXT) | instid1(VALU_DEP_2)
	v_add_co_u32 v1, vcc_lo, v1, v5
	v_mov_b32_dpp v3, v2 row_ror:4 row_mask:0xf bank_mask:0xf
	v_add_co_ci_u32_e32 v2, vcc_lo, 0, v2, vcc_lo
	s_delay_alu instid0(VALU_DEP_3) | instskip(SKIP_1) | instid1(VALU_DEP_3)
	v_mov_b32_dpp v5, v1 row_ror:8 row_mask:0xf bank_mask:0xf
	v_add_co_u32 v1, vcc_lo, v1, 0
	v_add_co_ci_u32_e32 v2, vcc_lo, v2, v3, vcc_lo
	s_delay_alu instid0(VALU_DEP_2) | instskip(NEXT) | instid1(VALU_DEP_2)
	v_add_co_u32 v1, vcc_lo, v1, v5
	v_mov_b32_dpp v3, v2 row_ror:8 row_mask:0xf bank_mask:0xf
	v_add_co_ci_u32_e32 v2, vcc_lo, 0, v2, vcc_lo
	ds_swizzle_b32 v5, v1 offset:swizzle(BROADCAST,32,15)
	v_add_co_u32 v1, vcc_lo, v1, 0
	v_add_co_ci_u32_e32 v2, vcc_lo, v2, v3, vcc_lo
	ds_swizzle_b32 v3, v2 offset:swizzle(BROADCAST,32,15)
	s_waitcnt lgkmcnt(1)
	v_add_co_u32 v1, vcc_lo, v1, v5
	v_add_co_ci_u32_e32 v2, vcc_lo, 0, v2, vcc_lo
	ds_bpermute_b32 v1, v4, v1 offset:124
	s_waitcnt lgkmcnt(1)
	v_add_nc_u32_e32 v2, v3, v2
	ds_bpermute_b32 v2, v4, v2 offset:124
	v_cmpx_eq_u32_e32 0, v33
	s_cbranch_execz .LBB242_3
; %bb.2:
	v_lshrrev_b32_e32 v3, 2, v0
	s_delay_alu instid0(VALU_DEP_1)
	v_and_b32_e32 v3, 24, v3
	s_waitcnt lgkmcnt(0)
	ds_store_b64 v3, v[1:2]
.LBB242_3:
	s_or_b32 exec_lo, exec_lo, s0
	s_delay_alu instid0(SALU_CYCLE_1)
	s_mov_b32 s0, exec_lo
	s_waitcnt lgkmcnt(0)
	s_barrier
	buffer_gl0_inv
	v_cmpx_gt_u32_e32 32, v0
	s_cbranch_execz .LBB242_5
; %bb.4:
	v_and_b32_e32 v3, 3, v33
	s_delay_alu instid0(VALU_DEP_1) | instskip(SKIP_4) | instid1(VALU_DEP_2)
	v_lshlrev_b32_e32 v1, 3, v3
	v_cmp_ne_u32_e32 vcc_lo, 3, v3
	ds_load_b64 v[1:2], v1
	v_add_co_ci_u32_e32 v4, vcc_lo, 0, v33, vcc_lo
	v_cmp_gt_u32_e32 vcc_lo, 2, v3
	v_lshlrev_b32_e32 v4, 2, v4
	v_cndmask_b32_e64 v3, 0, 1, vcc_lo
	s_delay_alu instid0(VALU_DEP_1) | instskip(NEXT) | instid1(VALU_DEP_1)
	v_lshlrev_b32_e32 v3, 1, v3
	v_add_lshl_u32 v3, v3, v33, 2
	s_waitcnt lgkmcnt(0)
	ds_bpermute_b32 v5, v4, v1
	ds_bpermute_b32 v4, v4, v2
	s_waitcnt lgkmcnt(1)
	v_add_co_u32 v1, vcc_lo, v1, v5
	v_add_co_ci_u32_e32 v2, vcc_lo, 0, v2, vcc_lo
	ds_bpermute_b32 v5, v3, v1
	v_add_co_u32 v1, vcc_lo, 0, v1
	s_waitcnt lgkmcnt(1)
	v_add_co_ci_u32_e32 v2, vcc_lo, v4, v2, vcc_lo
	ds_bpermute_b32 v3, v3, v2
	s_waitcnt lgkmcnt(1)
	v_add_co_u32 v1, vcc_lo, v1, v5
	v_add_co_ci_u32_e32 v2, vcc_lo, 0, v2, vcc_lo
	s_delay_alu instid0(VALU_DEP_2) | instskip(SKIP_1) | instid1(VALU_DEP_2)
	v_add_co_u32 v1, vcc_lo, v1, 0
	s_waitcnt lgkmcnt(0)
	v_add_co_ci_u32_e32 v2, vcc_lo, v2, v3, vcc_lo
.LBB242_5:
	s_or_b32 exec_lo, exec_lo, s0
	s_branch .LBB242_58
.LBB242_6:
                                        ; implicit-def: $vgpr1_vgpr2
	s_cbranch_execz .LBB242_58
; %bb.7:
	s_sub_i32 s16, s18, s2
	s_mov_b32 s0, exec_lo
                                        ; implicit-def: $vgpr1_vgpr2_vgpr3_vgpr4_vgpr5_vgpr6_vgpr7_vgpr8_vgpr9_vgpr10_vgpr11_vgpr12_vgpr13_vgpr14_vgpr15_vgpr16_vgpr17_vgpr18_vgpr19_vgpr20_vgpr21_vgpr22_vgpr23_vgpr24_vgpr25_vgpr26_vgpr27_vgpr28_vgpr29_vgpr30_vgpr31_vgpr32
	v_cmpx_gt_u32_e64 s16, v0
	s_cbranch_execz .LBB242_9
; %bb.8:
	global_load_b32 v1, v34, s[14:15]
	v_mov_b32_e32 v2, 0
	s_waitcnt vmcnt(0)
	v_cmp_neq_f32_e32 vcc_lo, 0, v1
	v_cndmask_b32_e64 v1, 0, 1, vcc_lo
.LBB242_9:
	s_or_b32 exec_lo, exec_lo, s0
	v_or_b32_e32 v35, 0x80, v0
	s_delay_alu instid0(VALU_DEP_1)
	v_cmp_gt_u32_e32 vcc_lo, s16, v35
	s_and_saveexec_b32 s1, vcc_lo
	s_cbranch_execz .LBB242_11
; %bb.10:
	global_load_b32 v3, v34, s[14:15] offset:512
	v_mov_b32_e32 v4, 0
	s_waitcnt vmcnt(0)
	v_cmp_neq_f32_e64 s0, 0, v3
	s_delay_alu instid0(VALU_DEP_1)
	v_cndmask_b32_e64 v3, 0, 1, s0
.LBB242_11:
	s_or_b32 exec_lo, exec_lo, s1
	v_or_b32_e32 v35, 0x100, v0
	s_delay_alu instid0(VALU_DEP_1) | instskip(NEXT) | instid1(VALU_DEP_1)
	v_cmp_gt_u32_e64 s0, s16, v35
	s_and_saveexec_b32 s2, s0
	s_cbranch_execz .LBB242_13
; %bb.12:
	global_load_b32 v5, v34, s[14:15] offset:1024
	v_mov_b32_e32 v6, 0
	s_waitcnt vmcnt(0)
	v_cmp_neq_f32_e64 s1, 0, v5
	s_delay_alu instid0(VALU_DEP_1)
	v_cndmask_b32_e64 v5, 0, 1, s1
.LBB242_13:
	s_or_b32 exec_lo, exec_lo, s2
	v_or_b32_e32 v35, 0x180, v0
	s_delay_alu instid0(VALU_DEP_1) | instskip(NEXT) | instid1(VALU_DEP_1)
	v_cmp_gt_u32_e64 s1, s16, v35
	s_and_saveexec_b32 s3, s1
	;; [unrolled: 14-line block ×7, first 2 shown]
	s_cbranch_execz .LBB242_25
; %bb.24:
	v_dual_mov_b32 v18, 0 :: v_dual_lshlrev_b32 v17, 2, v34
	global_load_b32 v17, v17, s[14:15]
	s_waitcnt vmcnt(0)
	v_cmp_neq_f32_e64 s7, 0, v17
	s_delay_alu instid0(VALU_DEP_1)
	v_cndmask_b32_e64 v17, 0, 1, s7
.LBB242_25:
	s_or_b32 exec_lo, exec_lo, s8
	v_or_b32_e32 v34, 0x480, v0
	s_delay_alu instid0(VALU_DEP_1) | instskip(NEXT) | instid1(VALU_DEP_1)
	v_cmp_gt_u32_e64 s7, s16, v34
	s_and_saveexec_b32 s9, s7
	s_cbranch_execz .LBB242_27
; %bb.26:
	v_dual_mov_b32 v20, 0 :: v_dual_lshlrev_b32 v19, 2, v34
	global_load_b32 v19, v19, s[14:15]
	s_waitcnt vmcnt(0)
	v_cmp_neq_f32_e64 s8, 0, v19
	s_delay_alu instid0(VALU_DEP_1)
	v_cndmask_b32_e64 v19, 0, 1, s8
.LBB242_27:
	s_or_b32 exec_lo, exec_lo, s9
	v_or_b32_e32 v34, 0x500, v0
	s_delay_alu instid0(VALU_DEP_1) | instskip(NEXT) | instid1(VALU_DEP_1)
	v_cmp_gt_u32_e64 s8, s16, v34
	s_and_saveexec_b32 s10, s8
	;; [unrolled: 14-line block ×7, first 2 shown]
	s_cbranch_execz .LBB242_39
; %bb.38:
	v_dual_mov_b32 v32, 0 :: v_dual_lshlrev_b32 v31, 2, v34
	global_load_b32 v31, v31, s[14:15]
	s_waitcnt vmcnt(0)
	v_cmp_neq_f32_e64 s14, 0, v31
	s_delay_alu instid0(VALU_DEP_1)
	v_cndmask_b32_e64 v31, 0, 1, s14
.LBB242_39:
	s_or_b32 exec_lo, exec_lo, s17
	v_dual_cndmask_b32 v3, 0, v3 :: v_dual_cndmask_b32 v4, 0, v4
	v_cndmask_b32_e64 v5, 0, v5, s0
	v_cndmask_b32_e64 v6, 0, v6, s0
	s_min_u32 s0, s16, 0x80
	s_delay_alu instid0(VALU_DEP_3) | instskip(SKIP_2) | instid1(VALU_DEP_3)
	v_add_co_u32 v1, vcc_lo, v3, v1
	v_add_co_ci_u32_e32 v2, vcc_lo, v4, v2, vcc_lo
	v_cndmask_b32_e64 v3, 0, v7, s1
	v_add_co_u32 v1, vcc_lo, v1, v5
	s_delay_alu instid0(VALU_DEP_3) | instskip(SKIP_2) | instid1(VALU_DEP_4)
	v_add_co_ci_u32_e32 v2, vcc_lo, v2, v6, vcc_lo
	v_cndmask_b32_e64 v4, 0, v8, s1
	v_cndmask_b32_e64 v5, 0, v9, s2
	v_add_co_u32 v1, vcc_lo, v1, v3
	v_cndmask_b32_e64 v3, 0, v10, s2
	s_delay_alu instid0(VALU_DEP_4) | instskip(SKIP_1) | instid1(VALU_DEP_4)
	v_add_co_ci_u32_e32 v2, vcc_lo, v2, v4, vcc_lo
	v_cndmask_b32_e64 v4, 0, v11, s3
	v_add_co_u32 v1, vcc_lo, v1, v5
	s_delay_alu instid0(VALU_DEP_3) | instskip(SKIP_2) | instid1(VALU_DEP_4)
	v_add_co_ci_u32_e32 v2, vcc_lo, v2, v3, vcc_lo
	v_cndmask_b32_e64 v3, 0, v12, s3
	v_cndmask_b32_e64 v5, 0, v13, s4
	v_add_co_u32 v1, vcc_lo, v1, v4
	v_cndmask_b32_e64 v4, 0, v15, s5
	s_delay_alu instid0(VALU_DEP_4) | instskip(SKIP_1) | instid1(VALU_DEP_4)
	v_add_co_ci_u32_e32 v2, vcc_lo, v2, v3, vcc_lo
	v_cndmask_b32_e64 v3, 0, v14, s4
	v_add_co_u32 v1, vcc_lo, v1, v5
	v_cndmask_b32_e64 v5, 0, v17, s6
	s_delay_alu instid0(VALU_DEP_3) | instskip(SKIP_1) | instid1(VALU_DEP_4)
	v_add_co_ci_u32_e32 v2, vcc_lo, v2, v3, vcc_lo
	v_cndmask_b32_e64 v3, 0, v16, s5
	v_add_co_u32 v1, vcc_lo, v1, v4
	v_cndmask_b32_e64 v4, 0, v19, s7
	s_delay_alu instid0(VALU_DEP_3) | instskip(SKIP_1) | instid1(VALU_DEP_4)
	;; [unrolled: 5-line block ×7, first 2 shown]
	v_add_co_ci_u32_e32 v2, vcc_lo, v2, v3, vcc_lo
	v_cndmask_b32_e64 v3, 0, v28, s11
	v_add_co_u32 v1, vcc_lo, v1, v4
	v_cndmask_b32_e64 v4, 0, v29, s12
	s_delay_alu instid0(VALU_DEP_3) | instskip(SKIP_4) | instid1(VALU_DEP_3)
	v_add_co_ci_u32_e32 v2, vcc_lo, v2, v3, vcc_lo
	v_cmp_ne_u32_e32 vcc_lo, 31, v33
	v_cndmask_b32_e64 v3, 0, v30, s12
	v_add_co_ci_u32_e32 v6, vcc_lo, 0, v33, vcc_lo
	v_add_co_u32 v1, vcc_lo, v1, v4
	v_add_co_ci_u32_e32 v2, vcc_lo, v2, v3, vcc_lo
	v_cndmask_b32_e64 v3, 0, v32, s13
	s_delay_alu instid0(VALU_DEP_3) | instskip(SKIP_1) | instid1(VALU_DEP_3)
	v_add_co_u32 v1, vcc_lo, v1, v5
	v_lshlrev_b32_e32 v4, 2, v6
	v_add_co_ci_u32_e32 v2, vcc_lo, v2, v3, vcc_lo
	v_and_b32_e32 v3, 0x60, v0
	ds_bpermute_b32 v6, v4, v1
	ds_bpermute_b32 v5, v4, v2
	v_add_nc_u32_e32 v4, 1, v33
	v_sub_nc_u32_e64 v3, s0, v3 clamp
	s_delay_alu instid0(VALU_DEP_1)
	v_cmp_lt_u32_e32 vcc_lo, v4, v3
	v_mov_b32_e32 v4, v1
	s_and_saveexec_b32 s1, vcc_lo
	s_cbranch_execz .LBB242_41
; %bb.40:
	s_waitcnt lgkmcnt(1)
	v_add_co_u32 v4, vcc_lo, v1, v6
	v_add_co_ci_u32_e32 v2, vcc_lo, 0, v2, vcc_lo
	s_delay_alu instid0(VALU_DEP_2) | instskip(SKIP_1) | instid1(VALU_DEP_2)
	v_add_co_u32 v1, vcc_lo, v4, 0
	s_waitcnt lgkmcnt(0)
	v_add_co_ci_u32_e32 v2, vcc_lo, v2, v5, vcc_lo
.LBB242_41:
	s_or_b32 exec_lo, exec_lo, s1
	v_cmp_gt_u32_e32 vcc_lo, 30, v33
	v_add_nc_u32_e32 v7, 2, v33
	s_mov_b32 s1, exec_lo
	s_waitcnt lgkmcnt(0)
	v_cndmask_b32_e64 v5, 0, 1, vcc_lo
	s_delay_alu instid0(VALU_DEP_1) | instskip(NEXT) | instid1(VALU_DEP_1)
	v_lshlrev_b32_e32 v5, 1, v5
	v_add_lshl_u32 v5, v5, v33, 2
	ds_bpermute_b32 v6, v5, v4
	ds_bpermute_b32 v5, v5, v2
	v_cmpx_lt_u32_e64 v7, v3
	s_cbranch_execz .LBB242_43
; %bb.42:
	s_waitcnt lgkmcnt(1)
	v_add_co_u32 v4, vcc_lo, v1, v6
	v_add_co_ci_u32_e32 v2, vcc_lo, 0, v2, vcc_lo
	s_delay_alu instid0(VALU_DEP_2) | instskip(SKIP_1) | instid1(VALU_DEP_2)
	v_add_co_u32 v1, vcc_lo, 0, v4
	s_waitcnt lgkmcnt(0)
	v_add_co_ci_u32_e32 v2, vcc_lo, v5, v2, vcc_lo
.LBB242_43:
	s_or_b32 exec_lo, exec_lo, s1
	v_cmp_gt_u32_e32 vcc_lo, 28, v33
	v_add_nc_u32_e32 v7, 4, v33
	s_mov_b32 s1, exec_lo
	s_waitcnt lgkmcnt(0)
	v_cndmask_b32_e64 v5, 0, 1, vcc_lo
	s_delay_alu instid0(VALU_DEP_1) | instskip(NEXT) | instid1(VALU_DEP_1)
	v_lshlrev_b32_e32 v5, 2, v5
	v_add_lshl_u32 v5, v5, v33, 2
	ds_bpermute_b32 v6, v5, v4
	ds_bpermute_b32 v5, v5, v2
	v_cmpx_lt_u32_e64 v7, v3
	;; [unrolled: 22-line block ×3, first 2 shown]
	s_cbranch_execz .LBB242_47
; %bb.46:
	s_waitcnt lgkmcnt(1)
	v_add_co_u32 v4, vcc_lo, v1, v6
	v_add_co_ci_u32_e32 v2, vcc_lo, 0, v2, vcc_lo
	s_delay_alu instid0(VALU_DEP_2) | instskip(SKIP_1) | instid1(VALU_DEP_2)
	v_add_co_u32 v1, vcc_lo, 0, v4
	s_waitcnt lgkmcnt(0)
	v_add_co_ci_u32_e32 v2, vcc_lo, v5, v2, vcc_lo
.LBB242_47:
	s_or_b32 exec_lo, exec_lo, s1
	v_cmp_gt_u32_e32 vcc_lo, 16, v33
	s_mov_b32 s1, exec_lo
	s_waitcnt lgkmcnt(0)
	v_cndmask_b32_e64 v5, 0, 1, vcc_lo
	s_delay_alu instid0(VALU_DEP_1) | instskip(NEXT) | instid1(VALU_DEP_1)
	v_lshlrev_b32_e32 v5, 4, v5
	v_add_lshl_u32 v6, v5, v33, 2
	ds_bpermute_b32 v5, v6, v4
	ds_bpermute_b32 v4, v6, v2
	v_add_nc_u32_e32 v6, 16, v33
	s_delay_alu instid0(VALU_DEP_1)
	v_cmpx_lt_u32_e64 v6, v3
	s_cbranch_execz .LBB242_49
; %bb.48:
	s_waitcnt lgkmcnt(1)
	v_add_co_u32 v1, vcc_lo, v1, v5
	v_add_co_ci_u32_e32 v2, vcc_lo, 0, v2, vcc_lo
	s_delay_alu instid0(VALU_DEP_2) | instskip(SKIP_1) | instid1(VALU_DEP_2)
	v_add_co_u32 v1, vcc_lo, v1, 0
	s_waitcnt lgkmcnt(0)
	v_add_co_ci_u32_e32 v2, vcc_lo, v2, v4, vcc_lo
.LBB242_49:
	s_or_b32 exec_lo, exec_lo, s1
	s_delay_alu instid0(SALU_CYCLE_1)
	s_mov_b32 s1, exec_lo
	v_cmpx_eq_u32_e32 0, v33
	s_cbranch_execz .LBB242_51
; %bb.50:
	v_lshrrev_b32_e32 v3, 2, v0
	s_delay_alu instid0(VALU_DEP_1)
	v_and_b32_e32 v3, 24, v3
	ds_store_b64 v3, v[1:2] offset:32
.LBB242_51:
	s_or_b32 exec_lo, exec_lo, s1
	s_delay_alu instid0(SALU_CYCLE_1)
	s_mov_b32 s1, exec_lo
	s_waitcnt lgkmcnt(0)
	s_barrier
	buffer_gl0_inv
	v_cmpx_gt_u32_e32 4, v0
	s_cbranch_execz .LBB242_57
; %bb.52:
	v_lshlrev_b32_e32 v1, 3, v33
	s_add_i32 s0, s0, 31
	s_delay_alu instid0(SALU_CYCLE_1) | instskip(SKIP_2) | instid1(VALU_DEP_1)
	s_lshr_b32 s0, s0, 5
	ds_load_b64 v[1:2], v1 offset:32
	v_and_b32_e32 v3, 3, v33
	v_cmp_ne_u32_e32 vcc_lo, 3, v3
	v_add_co_ci_u32_e32 v4, vcc_lo, 0, v33, vcc_lo
	s_delay_alu instid0(VALU_DEP_1) | instskip(SKIP_4) | instid1(VALU_DEP_1)
	v_lshlrev_b32_e32 v4, 2, v4
	s_waitcnt lgkmcnt(0)
	ds_bpermute_b32 v6, v4, v1
	ds_bpermute_b32 v5, v4, v2
	v_add_nc_u32_e32 v4, 1, v3
	v_cmp_gt_u32_e32 vcc_lo, s0, v4
	v_mov_b32_e32 v4, v1
	s_and_saveexec_b32 s2, vcc_lo
	s_cbranch_execz .LBB242_54
; %bb.53:
	s_waitcnt lgkmcnt(1)
	v_add_co_u32 v4, vcc_lo, v1, v6
	v_add_co_ci_u32_e32 v2, vcc_lo, 0, v2, vcc_lo
	s_delay_alu instid0(VALU_DEP_2) | instskip(SKIP_1) | instid1(VALU_DEP_2)
	v_add_co_u32 v1, vcc_lo, 0, v4
	s_waitcnt lgkmcnt(0)
	v_add_co_ci_u32_e32 v2, vcc_lo, v5, v2, vcc_lo
.LBB242_54:
	s_or_b32 exec_lo, exec_lo, s2
	v_cmp_gt_u32_e32 vcc_lo, 2, v3
	v_add_nc_u32_e32 v3, 2, v3
	s_waitcnt lgkmcnt(0)
	v_cndmask_b32_e64 v5, 0, 1, vcc_lo
	s_delay_alu instid0(VALU_DEP_2) | instskip(NEXT) | instid1(VALU_DEP_2)
	v_cmp_gt_u32_e32 vcc_lo, s0, v3
	v_lshlrev_b32_e32 v5, 1, v5
	s_delay_alu instid0(VALU_DEP_1)
	v_add_lshl_u32 v6, v5, v33, 2
	ds_bpermute_b32 v5, v6, v4
	ds_bpermute_b32 v4, v6, v2
	s_and_saveexec_b32 s0, vcc_lo
	s_cbranch_execz .LBB242_56
; %bb.55:
	s_waitcnt lgkmcnt(1)
	v_add_co_u32 v1, vcc_lo, v1, v5
	v_add_co_ci_u32_e32 v2, vcc_lo, 0, v2, vcc_lo
	s_delay_alu instid0(VALU_DEP_2) | instskip(SKIP_1) | instid1(VALU_DEP_2)
	v_add_co_u32 v1, vcc_lo, v1, 0
	s_waitcnt lgkmcnt(0)
	v_add_co_ci_u32_e32 v2, vcc_lo, v2, v4, vcc_lo
.LBB242_56:
	s_or_b32 exec_lo, exec_lo, s0
.LBB242_57:
	s_delay_alu instid0(SALU_CYCLE_1)
	s_or_b32 exec_lo, exec_lo, s1
.LBB242_58:
	s_delay_alu instid0(SALU_CYCLE_1)
	s_mov_b32 s0, exec_lo
	v_cmpx_eq_u32_e32 0, v0
	s_cbranch_execz .LBB242_60
; %bb.59:
	s_mul_i32 s0, s24, s23
	s_mul_hi_u32 s1, s24, s22
	s_mul_i32 s2, s25, s22
	s_add_i32 s1, s1, s0
	s_mul_i32 s0, s24, s22
	s_add_i32 s1, s1, s2
	v_mov_b32_e32 v0, 0
	s_lshl_b64 s[0:1], s[0:1], 3
	s_delay_alu instid0(SALU_CYCLE_1)
	s_add_u32 s2, s20, s0
	s_addc_u32 s3, s21, s1
	s_cmp_eq_u64 s[18:19], 0
	s_cselect_b32 s4, -1, 0
	s_lshl_b64 s[0:1], s[28:29], 3
	v_cndmask_b32_e64 v2, v2, s27, s4
	v_cndmask_b32_e64 v1, v1, s26, s4
	s_add_u32 s0, s2, s0
	s_addc_u32 s1, s3, s1
	global_store_b64 v0, v[1:2], s[0:1]
.LBB242_60:
	s_nop 0
	s_sendmsg sendmsg(MSG_DEALLOC_VGPRS)
	s_endpgm
	.section	.rodata,"a",@progbits
	.p2align	6, 0x0
	.amdhsa_kernel _ZN7rocprim17ROCPRIM_400000_NS6detail17trampoline_kernelINS0_14default_configENS1_22reduce_config_selectorIbEEZNS1_11reduce_implILb1ES3_N6hipcub16HIPCUB_304000_NS22TransformInputIteratorIb7NonZeroIfEPflEEPllNS8_6detail34convert_binary_result_type_wrapperINS8_3SumESD_lEEEE10hipError_tPvRmT1_T2_T3_mT4_P12ihipStream_tbEUlT_E0_NS1_11comp_targetILNS1_3genE9ELNS1_11target_archE1100ELNS1_3gpuE3ELNS1_3repE0EEENS1_30default_config_static_selectorELNS0_4arch9wavefront6targetE0EEEvSM_
		.amdhsa_group_segment_fixed_size 64
		.amdhsa_private_segment_fixed_size 0
		.amdhsa_kernarg_size 72
		.amdhsa_user_sgpr_count 15
		.amdhsa_user_sgpr_dispatch_ptr 0
		.amdhsa_user_sgpr_queue_ptr 0
		.amdhsa_user_sgpr_kernarg_segment_ptr 1
		.amdhsa_user_sgpr_dispatch_id 0
		.amdhsa_user_sgpr_private_segment_size 0
		.amdhsa_wavefront_size32 1
		.amdhsa_uses_dynamic_stack 0
		.amdhsa_enable_private_segment 0
		.amdhsa_system_sgpr_workgroup_id_x 1
		.amdhsa_system_sgpr_workgroup_id_y 0
		.amdhsa_system_sgpr_workgroup_id_z 0
		.amdhsa_system_sgpr_workgroup_info 0
		.amdhsa_system_vgpr_workitem_id 0
		.amdhsa_next_free_vgpr 36
		.amdhsa_next_free_sgpr 30
		.amdhsa_reserve_vcc 1
		.amdhsa_float_round_mode_32 0
		.amdhsa_float_round_mode_16_64 0
		.amdhsa_float_denorm_mode_32 3
		.amdhsa_float_denorm_mode_16_64 3
		.amdhsa_dx10_clamp 1
		.amdhsa_ieee_mode 1
		.amdhsa_fp16_overflow 0
		.amdhsa_workgroup_processor_mode 1
		.amdhsa_memory_ordered 1
		.amdhsa_forward_progress 0
		.amdhsa_shared_vgpr_count 0
		.amdhsa_exception_fp_ieee_invalid_op 0
		.amdhsa_exception_fp_denorm_src 0
		.amdhsa_exception_fp_ieee_div_zero 0
		.amdhsa_exception_fp_ieee_overflow 0
		.amdhsa_exception_fp_ieee_underflow 0
		.amdhsa_exception_fp_ieee_inexact 0
		.amdhsa_exception_int_div_zero 0
	.end_amdhsa_kernel
	.section	.text._ZN7rocprim17ROCPRIM_400000_NS6detail17trampoline_kernelINS0_14default_configENS1_22reduce_config_selectorIbEEZNS1_11reduce_implILb1ES3_N6hipcub16HIPCUB_304000_NS22TransformInputIteratorIb7NonZeroIfEPflEEPllNS8_6detail34convert_binary_result_type_wrapperINS8_3SumESD_lEEEE10hipError_tPvRmT1_T2_T3_mT4_P12ihipStream_tbEUlT_E0_NS1_11comp_targetILNS1_3genE9ELNS1_11target_archE1100ELNS1_3gpuE3ELNS1_3repE0EEENS1_30default_config_static_selectorELNS0_4arch9wavefront6targetE0EEEvSM_,"axG",@progbits,_ZN7rocprim17ROCPRIM_400000_NS6detail17trampoline_kernelINS0_14default_configENS1_22reduce_config_selectorIbEEZNS1_11reduce_implILb1ES3_N6hipcub16HIPCUB_304000_NS22TransformInputIteratorIb7NonZeroIfEPflEEPllNS8_6detail34convert_binary_result_type_wrapperINS8_3SumESD_lEEEE10hipError_tPvRmT1_T2_T3_mT4_P12ihipStream_tbEUlT_E0_NS1_11comp_targetILNS1_3genE9ELNS1_11target_archE1100ELNS1_3gpuE3ELNS1_3repE0EEENS1_30default_config_static_selectorELNS0_4arch9wavefront6targetE0EEEvSM_,comdat
.Lfunc_end242:
	.size	_ZN7rocprim17ROCPRIM_400000_NS6detail17trampoline_kernelINS0_14default_configENS1_22reduce_config_selectorIbEEZNS1_11reduce_implILb1ES3_N6hipcub16HIPCUB_304000_NS22TransformInputIteratorIb7NonZeroIfEPflEEPllNS8_6detail34convert_binary_result_type_wrapperINS8_3SumESD_lEEEE10hipError_tPvRmT1_T2_T3_mT4_P12ihipStream_tbEUlT_E0_NS1_11comp_targetILNS1_3genE9ELNS1_11target_archE1100ELNS1_3gpuE3ELNS1_3repE0EEENS1_30default_config_static_selectorELNS0_4arch9wavefront6targetE0EEEvSM_, .Lfunc_end242-_ZN7rocprim17ROCPRIM_400000_NS6detail17trampoline_kernelINS0_14default_configENS1_22reduce_config_selectorIbEEZNS1_11reduce_implILb1ES3_N6hipcub16HIPCUB_304000_NS22TransformInputIteratorIb7NonZeroIfEPflEEPllNS8_6detail34convert_binary_result_type_wrapperINS8_3SumESD_lEEEE10hipError_tPvRmT1_T2_T3_mT4_P12ihipStream_tbEUlT_E0_NS1_11comp_targetILNS1_3genE9ELNS1_11target_archE1100ELNS1_3gpuE3ELNS1_3repE0EEENS1_30default_config_static_selectorELNS0_4arch9wavefront6targetE0EEEvSM_
                                        ; -- End function
	.section	.AMDGPU.csdata,"",@progbits
; Kernel info:
; codeLenInByte = 3864
; NumSgprs: 32
; NumVgprs: 36
; ScratchSize: 0
; MemoryBound: 0
; FloatMode: 240
; IeeeMode: 1
; LDSByteSize: 64 bytes/workgroup (compile time only)
; SGPRBlocks: 3
; VGPRBlocks: 4
; NumSGPRsForWavesPerEU: 32
; NumVGPRsForWavesPerEU: 36
; Occupancy: 16
; WaveLimiterHint : 1
; COMPUTE_PGM_RSRC2:SCRATCH_EN: 0
; COMPUTE_PGM_RSRC2:USER_SGPR: 15
; COMPUTE_PGM_RSRC2:TRAP_HANDLER: 0
; COMPUTE_PGM_RSRC2:TGID_X_EN: 1
; COMPUTE_PGM_RSRC2:TGID_Y_EN: 0
; COMPUTE_PGM_RSRC2:TGID_Z_EN: 0
; COMPUTE_PGM_RSRC2:TIDIG_COMP_CNT: 0
	.section	.text._ZN7rocprim17ROCPRIM_400000_NS6detail17trampoline_kernelINS0_14default_configENS1_22reduce_config_selectorIbEEZNS1_11reduce_implILb1ES3_N6hipcub16HIPCUB_304000_NS22TransformInputIteratorIb7NonZeroIfEPflEEPllNS8_6detail34convert_binary_result_type_wrapperINS8_3SumESD_lEEEE10hipError_tPvRmT1_T2_T3_mT4_P12ihipStream_tbEUlT_E0_NS1_11comp_targetILNS1_3genE8ELNS1_11target_archE1030ELNS1_3gpuE2ELNS1_3repE0EEENS1_30default_config_static_selectorELNS0_4arch9wavefront6targetE0EEEvSM_,"axG",@progbits,_ZN7rocprim17ROCPRIM_400000_NS6detail17trampoline_kernelINS0_14default_configENS1_22reduce_config_selectorIbEEZNS1_11reduce_implILb1ES3_N6hipcub16HIPCUB_304000_NS22TransformInputIteratorIb7NonZeroIfEPflEEPllNS8_6detail34convert_binary_result_type_wrapperINS8_3SumESD_lEEEE10hipError_tPvRmT1_T2_T3_mT4_P12ihipStream_tbEUlT_E0_NS1_11comp_targetILNS1_3genE8ELNS1_11target_archE1030ELNS1_3gpuE2ELNS1_3repE0EEENS1_30default_config_static_selectorELNS0_4arch9wavefront6targetE0EEEvSM_,comdat
	.protected	_ZN7rocprim17ROCPRIM_400000_NS6detail17trampoline_kernelINS0_14default_configENS1_22reduce_config_selectorIbEEZNS1_11reduce_implILb1ES3_N6hipcub16HIPCUB_304000_NS22TransformInputIteratorIb7NonZeroIfEPflEEPllNS8_6detail34convert_binary_result_type_wrapperINS8_3SumESD_lEEEE10hipError_tPvRmT1_T2_T3_mT4_P12ihipStream_tbEUlT_E0_NS1_11comp_targetILNS1_3genE8ELNS1_11target_archE1030ELNS1_3gpuE2ELNS1_3repE0EEENS1_30default_config_static_selectorELNS0_4arch9wavefront6targetE0EEEvSM_ ; -- Begin function _ZN7rocprim17ROCPRIM_400000_NS6detail17trampoline_kernelINS0_14default_configENS1_22reduce_config_selectorIbEEZNS1_11reduce_implILb1ES3_N6hipcub16HIPCUB_304000_NS22TransformInputIteratorIb7NonZeroIfEPflEEPllNS8_6detail34convert_binary_result_type_wrapperINS8_3SumESD_lEEEE10hipError_tPvRmT1_T2_T3_mT4_P12ihipStream_tbEUlT_E0_NS1_11comp_targetILNS1_3genE8ELNS1_11target_archE1030ELNS1_3gpuE2ELNS1_3repE0EEENS1_30default_config_static_selectorELNS0_4arch9wavefront6targetE0EEEvSM_
	.globl	_ZN7rocprim17ROCPRIM_400000_NS6detail17trampoline_kernelINS0_14default_configENS1_22reduce_config_selectorIbEEZNS1_11reduce_implILb1ES3_N6hipcub16HIPCUB_304000_NS22TransformInputIteratorIb7NonZeroIfEPflEEPllNS8_6detail34convert_binary_result_type_wrapperINS8_3SumESD_lEEEE10hipError_tPvRmT1_T2_T3_mT4_P12ihipStream_tbEUlT_E0_NS1_11comp_targetILNS1_3genE8ELNS1_11target_archE1030ELNS1_3gpuE2ELNS1_3repE0EEENS1_30default_config_static_selectorELNS0_4arch9wavefront6targetE0EEEvSM_
	.p2align	8
	.type	_ZN7rocprim17ROCPRIM_400000_NS6detail17trampoline_kernelINS0_14default_configENS1_22reduce_config_selectorIbEEZNS1_11reduce_implILb1ES3_N6hipcub16HIPCUB_304000_NS22TransformInputIteratorIb7NonZeroIfEPflEEPllNS8_6detail34convert_binary_result_type_wrapperINS8_3SumESD_lEEEE10hipError_tPvRmT1_T2_T3_mT4_P12ihipStream_tbEUlT_E0_NS1_11comp_targetILNS1_3genE8ELNS1_11target_archE1030ELNS1_3gpuE2ELNS1_3repE0EEENS1_30default_config_static_selectorELNS0_4arch9wavefront6targetE0EEEvSM_,@function
_ZN7rocprim17ROCPRIM_400000_NS6detail17trampoline_kernelINS0_14default_configENS1_22reduce_config_selectorIbEEZNS1_11reduce_implILb1ES3_N6hipcub16HIPCUB_304000_NS22TransformInputIteratorIb7NonZeroIfEPflEEPllNS8_6detail34convert_binary_result_type_wrapperINS8_3SumESD_lEEEE10hipError_tPvRmT1_T2_T3_mT4_P12ihipStream_tbEUlT_E0_NS1_11comp_targetILNS1_3genE8ELNS1_11target_archE1030ELNS1_3gpuE2ELNS1_3repE0EEENS1_30default_config_static_selectorELNS0_4arch9wavefront6targetE0EEEvSM_: ; @_ZN7rocprim17ROCPRIM_400000_NS6detail17trampoline_kernelINS0_14default_configENS1_22reduce_config_selectorIbEEZNS1_11reduce_implILb1ES3_N6hipcub16HIPCUB_304000_NS22TransformInputIteratorIb7NonZeroIfEPflEEPllNS8_6detail34convert_binary_result_type_wrapperINS8_3SumESD_lEEEE10hipError_tPvRmT1_T2_T3_mT4_P12ihipStream_tbEUlT_E0_NS1_11comp_targetILNS1_3genE8ELNS1_11target_archE1030ELNS1_3gpuE2ELNS1_3repE0EEENS1_30default_config_static_selectorELNS0_4arch9wavefront6targetE0EEEvSM_
; %bb.0:
	.section	.rodata,"a",@progbits
	.p2align	6, 0x0
	.amdhsa_kernel _ZN7rocprim17ROCPRIM_400000_NS6detail17trampoline_kernelINS0_14default_configENS1_22reduce_config_selectorIbEEZNS1_11reduce_implILb1ES3_N6hipcub16HIPCUB_304000_NS22TransformInputIteratorIb7NonZeroIfEPflEEPllNS8_6detail34convert_binary_result_type_wrapperINS8_3SumESD_lEEEE10hipError_tPvRmT1_T2_T3_mT4_P12ihipStream_tbEUlT_E0_NS1_11comp_targetILNS1_3genE8ELNS1_11target_archE1030ELNS1_3gpuE2ELNS1_3repE0EEENS1_30default_config_static_selectorELNS0_4arch9wavefront6targetE0EEEvSM_
		.amdhsa_group_segment_fixed_size 0
		.amdhsa_private_segment_fixed_size 0
		.amdhsa_kernarg_size 72
		.amdhsa_user_sgpr_count 15
		.amdhsa_user_sgpr_dispatch_ptr 0
		.amdhsa_user_sgpr_queue_ptr 0
		.amdhsa_user_sgpr_kernarg_segment_ptr 1
		.amdhsa_user_sgpr_dispatch_id 0
		.amdhsa_user_sgpr_private_segment_size 0
		.amdhsa_wavefront_size32 1
		.amdhsa_uses_dynamic_stack 0
		.amdhsa_enable_private_segment 0
		.amdhsa_system_sgpr_workgroup_id_x 1
		.amdhsa_system_sgpr_workgroup_id_y 0
		.amdhsa_system_sgpr_workgroup_id_z 0
		.amdhsa_system_sgpr_workgroup_info 0
		.amdhsa_system_vgpr_workitem_id 0
		.amdhsa_next_free_vgpr 1
		.amdhsa_next_free_sgpr 1
		.amdhsa_reserve_vcc 0
		.amdhsa_float_round_mode_32 0
		.amdhsa_float_round_mode_16_64 0
		.amdhsa_float_denorm_mode_32 3
		.amdhsa_float_denorm_mode_16_64 3
		.amdhsa_dx10_clamp 1
		.amdhsa_ieee_mode 1
		.amdhsa_fp16_overflow 0
		.amdhsa_workgroup_processor_mode 1
		.amdhsa_memory_ordered 1
		.amdhsa_forward_progress 0
		.amdhsa_shared_vgpr_count 0
		.amdhsa_exception_fp_ieee_invalid_op 0
		.amdhsa_exception_fp_denorm_src 0
		.amdhsa_exception_fp_ieee_div_zero 0
		.amdhsa_exception_fp_ieee_overflow 0
		.amdhsa_exception_fp_ieee_underflow 0
		.amdhsa_exception_fp_ieee_inexact 0
		.amdhsa_exception_int_div_zero 0
	.end_amdhsa_kernel
	.section	.text._ZN7rocprim17ROCPRIM_400000_NS6detail17trampoline_kernelINS0_14default_configENS1_22reduce_config_selectorIbEEZNS1_11reduce_implILb1ES3_N6hipcub16HIPCUB_304000_NS22TransformInputIteratorIb7NonZeroIfEPflEEPllNS8_6detail34convert_binary_result_type_wrapperINS8_3SumESD_lEEEE10hipError_tPvRmT1_T2_T3_mT4_P12ihipStream_tbEUlT_E0_NS1_11comp_targetILNS1_3genE8ELNS1_11target_archE1030ELNS1_3gpuE2ELNS1_3repE0EEENS1_30default_config_static_selectorELNS0_4arch9wavefront6targetE0EEEvSM_,"axG",@progbits,_ZN7rocprim17ROCPRIM_400000_NS6detail17trampoline_kernelINS0_14default_configENS1_22reduce_config_selectorIbEEZNS1_11reduce_implILb1ES3_N6hipcub16HIPCUB_304000_NS22TransformInputIteratorIb7NonZeroIfEPflEEPllNS8_6detail34convert_binary_result_type_wrapperINS8_3SumESD_lEEEE10hipError_tPvRmT1_T2_T3_mT4_P12ihipStream_tbEUlT_E0_NS1_11comp_targetILNS1_3genE8ELNS1_11target_archE1030ELNS1_3gpuE2ELNS1_3repE0EEENS1_30default_config_static_selectorELNS0_4arch9wavefront6targetE0EEEvSM_,comdat
.Lfunc_end243:
	.size	_ZN7rocprim17ROCPRIM_400000_NS6detail17trampoline_kernelINS0_14default_configENS1_22reduce_config_selectorIbEEZNS1_11reduce_implILb1ES3_N6hipcub16HIPCUB_304000_NS22TransformInputIteratorIb7NonZeroIfEPflEEPllNS8_6detail34convert_binary_result_type_wrapperINS8_3SumESD_lEEEE10hipError_tPvRmT1_T2_T3_mT4_P12ihipStream_tbEUlT_E0_NS1_11comp_targetILNS1_3genE8ELNS1_11target_archE1030ELNS1_3gpuE2ELNS1_3repE0EEENS1_30default_config_static_selectorELNS0_4arch9wavefront6targetE0EEEvSM_, .Lfunc_end243-_ZN7rocprim17ROCPRIM_400000_NS6detail17trampoline_kernelINS0_14default_configENS1_22reduce_config_selectorIbEEZNS1_11reduce_implILb1ES3_N6hipcub16HIPCUB_304000_NS22TransformInputIteratorIb7NonZeroIfEPflEEPllNS8_6detail34convert_binary_result_type_wrapperINS8_3SumESD_lEEEE10hipError_tPvRmT1_T2_T3_mT4_P12ihipStream_tbEUlT_E0_NS1_11comp_targetILNS1_3genE8ELNS1_11target_archE1030ELNS1_3gpuE2ELNS1_3repE0EEENS1_30default_config_static_selectorELNS0_4arch9wavefront6targetE0EEEvSM_
                                        ; -- End function
	.section	.AMDGPU.csdata,"",@progbits
; Kernel info:
; codeLenInByte = 0
; NumSgprs: 0
; NumVgprs: 0
; ScratchSize: 0
; MemoryBound: 0
; FloatMode: 240
; IeeeMode: 1
; LDSByteSize: 0 bytes/workgroup (compile time only)
; SGPRBlocks: 0
; VGPRBlocks: 0
; NumSGPRsForWavesPerEU: 1
; NumVGPRsForWavesPerEU: 1
; Occupancy: 16
; WaveLimiterHint : 0
; COMPUTE_PGM_RSRC2:SCRATCH_EN: 0
; COMPUTE_PGM_RSRC2:USER_SGPR: 15
; COMPUTE_PGM_RSRC2:TRAP_HANDLER: 0
; COMPUTE_PGM_RSRC2:TGID_X_EN: 1
; COMPUTE_PGM_RSRC2:TGID_Y_EN: 0
; COMPUTE_PGM_RSRC2:TGID_Z_EN: 0
; COMPUTE_PGM_RSRC2:TIDIG_COMP_CNT: 0
	.section	.text._ZN7rocprim17ROCPRIM_400000_NS6detail17trampoline_kernelINS0_14default_configENS1_22reduce_config_selectorIbEEZNS1_11reduce_implILb1ES3_N6hipcub16HIPCUB_304000_NS22TransformInputIteratorIb7NonZeroIfEPflEEPllNS8_6detail34convert_binary_result_type_wrapperINS8_3SumESD_lEEEE10hipError_tPvRmT1_T2_T3_mT4_P12ihipStream_tbEUlT_E1_NS1_11comp_targetILNS1_3genE0ELNS1_11target_archE4294967295ELNS1_3gpuE0ELNS1_3repE0EEENS1_30default_config_static_selectorELNS0_4arch9wavefront6targetE0EEEvSM_,"axG",@progbits,_ZN7rocprim17ROCPRIM_400000_NS6detail17trampoline_kernelINS0_14default_configENS1_22reduce_config_selectorIbEEZNS1_11reduce_implILb1ES3_N6hipcub16HIPCUB_304000_NS22TransformInputIteratorIb7NonZeroIfEPflEEPllNS8_6detail34convert_binary_result_type_wrapperINS8_3SumESD_lEEEE10hipError_tPvRmT1_T2_T3_mT4_P12ihipStream_tbEUlT_E1_NS1_11comp_targetILNS1_3genE0ELNS1_11target_archE4294967295ELNS1_3gpuE0ELNS1_3repE0EEENS1_30default_config_static_selectorELNS0_4arch9wavefront6targetE0EEEvSM_,comdat
	.protected	_ZN7rocprim17ROCPRIM_400000_NS6detail17trampoline_kernelINS0_14default_configENS1_22reduce_config_selectorIbEEZNS1_11reduce_implILb1ES3_N6hipcub16HIPCUB_304000_NS22TransformInputIteratorIb7NonZeroIfEPflEEPllNS8_6detail34convert_binary_result_type_wrapperINS8_3SumESD_lEEEE10hipError_tPvRmT1_T2_T3_mT4_P12ihipStream_tbEUlT_E1_NS1_11comp_targetILNS1_3genE0ELNS1_11target_archE4294967295ELNS1_3gpuE0ELNS1_3repE0EEENS1_30default_config_static_selectorELNS0_4arch9wavefront6targetE0EEEvSM_ ; -- Begin function _ZN7rocprim17ROCPRIM_400000_NS6detail17trampoline_kernelINS0_14default_configENS1_22reduce_config_selectorIbEEZNS1_11reduce_implILb1ES3_N6hipcub16HIPCUB_304000_NS22TransformInputIteratorIb7NonZeroIfEPflEEPllNS8_6detail34convert_binary_result_type_wrapperINS8_3SumESD_lEEEE10hipError_tPvRmT1_T2_T3_mT4_P12ihipStream_tbEUlT_E1_NS1_11comp_targetILNS1_3genE0ELNS1_11target_archE4294967295ELNS1_3gpuE0ELNS1_3repE0EEENS1_30default_config_static_selectorELNS0_4arch9wavefront6targetE0EEEvSM_
	.globl	_ZN7rocprim17ROCPRIM_400000_NS6detail17trampoline_kernelINS0_14default_configENS1_22reduce_config_selectorIbEEZNS1_11reduce_implILb1ES3_N6hipcub16HIPCUB_304000_NS22TransformInputIteratorIb7NonZeroIfEPflEEPllNS8_6detail34convert_binary_result_type_wrapperINS8_3SumESD_lEEEE10hipError_tPvRmT1_T2_T3_mT4_P12ihipStream_tbEUlT_E1_NS1_11comp_targetILNS1_3genE0ELNS1_11target_archE4294967295ELNS1_3gpuE0ELNS1_3repE0EEENS1_30default_config_static_selectorELNS0_4arch9wavefront6targetE0EEEvSM_
	.p2align	8
	.type	_ZN7rocprim17ROCPRIM_400000_NS6detail17trampoline_kernelINS0_14default_configENS1_22reduce_config_selectorIbEEZNS1_11reduce_implILb1ES3_N6hipcub16HIPCUB_304000_NS22TransformInputIteratorIb7NonZeroIfEPflEEPllNS8_6detail34convert_binary_result_type_wrapperINS8_3SumESD_lEEEE10hipError_tPvRmT1_T2_T3_mT4_P12ihipStream_tbEUlT_E1_NS1_11comp_targetILNS1_3genE0ELNS1_11target_archE4294967295ELNS1_3gpuE0ELNS1_3repE0EEENS1_30default_config_static_selectorELNS0_4arch9wavefront6targetE0EEEvSM_,@function
_ZN7rocprim17ROCPRIM_400000_NS6detail17trampoline_kernelINS0_14default_configENS1_22reduce_config_selectorIbEEZNS1_11reduce_implILb1ES3_N6hipcub16HIPCUB_304000_NS22TransformInputIteratorIb7NonZeroIfEPflEEPllNS8_6detail34convert_binary_result_type_wrapperINS8_3SumESD_lEEEE10hipError_tPvRmT1_T2_T3_mT4_P12ihipStream_tbEUlT_E1_NS1_11comp_targetILNS1_3genE0ELNS1_11target_archE4294967295ELNS1_3gpuE0ELNS1_3repE0EEENS1_30default_config_static_selectorELNS0_4arch9wavefront6targetE0EEEvSM_: ; @_ZN7rocprim17ROCPRIM_400000_NS6detail17trampoline_kernelINS0_14default_configENS1_22reduce_config_selectorIbEEZNS1_11reduce_implILb1ES3_N6hipcub16HIPCUB_304000_NS22TransformInputIteratorIb7NonZeroIfEPflEEPllNS8_6detail34convert_binary_result_type_wrapperINS8_3SumESD_lEEEE10hipError_tPvRmT1_T2_T3_mT4_P12ihipStream_tbEUlT_E1_NS1_11comp_targetILNS1_3genE0ELNS1_11target_archE4294967295ELNS1_3gpuE0ELNS1_3repE0EEENS1_30default_config_static_selectorELNS0_4arch9wavefront6targetE0EEEvSM_
; %bb.0:
	.section	.rodata,"a",@progbits
	.p2align	6, 0x0
	.amdhsa_kernel _ZN7rocprim17ROCPRIM_400000_NS6detail17trampoline_kernelINS0_14default_configENS1_22reduce_config_selectorIbEEZNS1_11reduce_implILb1ES3_N6hipcub16HIPCUB_304000_NS22TransformInputIteratorIb7NonZeroIfEPflEEPllNS8_6detail34convert_binary_result_type_wrapperINS8_3SumESD_lEEEE10hipError_tPvRmT1_T2_T3_mT4_P12ihipStream_tbEUlT_E1_NS1_11comp_targetILNS1_3genE0ELNS1_11target_archE4294967295ELNS1_3gpuE0ELNS1_3repE0EEENS1_30default_config_static_selectorELNS0_4arch9wavefront6targetE0EEEvSM_
		.amdhsa_group_segment_fixed_size 0
		.amdhsa_private_segment_fixed_size 0
		.amdhsa_kernarg_size 56
		.amdhsa_user_sgpr_count 15
		.amdhsa_user_sgpr_dispatch_ptr 0
		.amdhsa_user_sgpr_queue_ptr 0
		.amdhsa_user_sgpr_kernarg_segment_ptr 1
		.amdhsa_user_sgpr_dispatch_id 0
		.amdhsa_user_sgpr_private_segment_size 0
		.amdhsa_wavefront_size32 1
		.amdhsa_uses_dynamic_stack 0
		.amdhsa_enable_private_segment 0
		.amdhsa_system_sgpr_workgroup_id_x 1
		.amdhsa_system_sgpr_workgroup_id_y 0
		.amdhsa_system_sgpr_workgroup_id_z 0
		.amdhsa_system_sgpr_workgroup_info 0
		.amdhsa_system_vgpr_workitem_id 0
		.amdhsa_next_free_vgpr 1
		.amdhsa_next_free_sgpr 1
		.amdhsa_reserve_vcc 0
		.amdhsa_float_round_mode_32 0
		.amdhsa_float_round_mode_16_64 0
		.amdhsa_float_denorm_mode_32 3
		.amdhsa_float_denorm_mode_16_64 3
		.amdhsa_dx10_clamp 1
		.amdhsa_ieee_mode 1
		.amdhsa_fp16_overflow 0
		.amdhsa_workgroup_processor_mode 1
		.amdhsa_memory_ordered 1
		.amdhsa_forward_progress 0
		.amdhsa_shared_vgpr_count 0
		.amdhsa_exception_fp_ieee_invalid_op 0
		.amdhsa_exception_fp_denorm_src 0
		.amdhsa_exception_fp_ieee_div_zero 0
		.amdhsa_exception_fp_ieee_overflow 0
		.amdhsa_exception_fp_ieee_underflow 0
		.amdhsa_exception_fp_ieee_inexact 0
		.amdhsa_exception_int_div_zero 0
	.end_amdhsa_kernel
	.section	.text._ZN7rocprim17ROCPRIM_400000_NS6detail17trampoline_kernelINS0_14default_configENS1_22reduce_config_selectorIbEEZNS1_11reduce_implILb1ES3_N6hipcub16HIPCUB_304000_NS22TransformInputIteratorIb7NonZeroIfEPflEEPllNS8_6detail34convert_binary_result_type_wrapperINS8_3SumESD_lEEEE10hipError_tPvRmT1_T2_T3_mT4_P12ihipStream_tbEUlT_E1_NS1_11comp_targetILNS1_3genE0ELNS1_11target_archE4294967295ELNS1_3gpuE0ELNS1_3repE0EEENS1_30default_config_static_selectorELNS0_4arch9wavefront6targetE0EEEvSM_,"axG",@progbits,_ZN7rocprim17ROCPRIM_400000_NS6detail17trampoline_kernelINS0_14default_configENS1_22reduce_config_selectorIbEEZNS1_11reduce_implILb1ES3_N6hipcub16HIPCUB_304000_NS22TransformInputIteratorIb7NonZeroIfEPflEEPllNS8_6detail34convert_binary_result_type_wrapperINS8_3SumESD_lEEEE10hipError_tPvRmT1_T2_T3_mT4_P12ihipStream_tbEUlT_E1_NS1_11comp_targetILNS1_3genE0ELNS1_11target_archE4294967295ELNS1_3gpuE0ELNS1_3repE0EEENS1_30default_config_static_selectorELNS0_4arch9wavefront6targetE0EEEvSM_,comdat
.Lfunc_end244:
	.size	_ZN7rocprim17ROCPRIM_400000_NS6detail17trampoline_kernelINS0_14default_configENS1_22reduce_config_selectorIbEEZNS1_11reduce_implILb1ES3_N6hipcub16HIPCUB_304000_NS22TransformInputIteratorIb7NonZeroIfEPflEEPllNS8_6detail34convert_binary_result_type_wrapperINS8_3SumESD_lEEEE10hipError_tPvRmT1_T2_T3_mT4_P12ihipStream_tbEUlT_E1_NS1_11comp_targetILNS1_3genE0ELNS1_11target_archE4294967295ELNS1_3gpuE0ELNS1_3repE0EEENS1_30default_config_static_selectorELNS0_4arch9wavefront6targetE0EEEvSM_, .Lfunc_end244-_ZN7rocprim17ROCPRIM_400000_NS6detail17trampoline_kernelINS0_14default_configENS1_22reduce_config_selectorIbEEZNS1_11reduce_implILb1ES3_N6hipcub16HIPCUB_304000_NS22TransformInputIteratorIb7NonZeroIfEPflEEPllNS8_6detail34convert_binary_result_type_wrapperINS8_3SumESD_lEEEE10hipError_tPvRmT1_T2_T3_mT4_P12ihipStream_tbEUlT_E1_NS1_11comp_targetILNS1_3genE0ELNS1_11target_archE4294967295ELNS1_3gpuE0ELNS1_3repE0EEENS1_30default_config_static_selectorELNS0_4arch9wavefront6targetE0EEEvSM_
                                        ; -- End function
	.section	.AMDGPU.csdata,"",@progbits
; Kernel info:
; codeLenInByte = 0
; NumSgprs: 0
; NumVgprs: 0
; ScratchSize: 0
; MemoryBound: 0
; FloatMode: 240
; IeeeMode: 1
; LDSByteSize: 0 bytes/workgroup (compile time only)
; SGPRBlocks: 0
; VGPRBlocks: 0
; NumSGPRsForWavesPerEU: 1
; NumVGPRsForWavesPerEU: 1
; Occupancy: 16
; WaveLimiterHint : 0
; COMPUTE_PGM_RSRC2:SCRATCH_EN: 0
; COMPUTE_PGM_RSRC2:USER_SGPR: 15
; COMPUTE_PGM_RSRC2:TRAP_HANDLER: 0
; COMPUTE_PGM_RSRC2:TGID_X_EN: 1
; COMPUTE_PGM_RSRC2:TGID_Y_EN: 0
; COMPUTE_PGM_RSRC2:TGID_Z_EN: 0
; COMPUTE_PGM_RSRC2:TIDIG_COMP_CNT: 0
	.section	.text._ZN7rocprim17ROCPRIM_400000_NS6detail17trampoline_kernelINS0_14default_configENS1_22reduce_config_selectorIbEEZNS1_11reduce_implILb1ES3_N6hipcub16HIPCUB_304000_NS22TransformInputIteratorIb7NonZeroIfEPflEEPllNS8_6detail34convert_binary_result_type_wrapperINS8_3SumESD_lEEEE10hipError_tPvRmT1_T2_T3_mT4_P12ihipStream_tbEUlT_E1_NS1_11comp_targetILNS1_3genE5ELNS1_11target_archE942ELNS1_3gpuE9ELNS1_3repE0EEENS1_30default_config_static_selectorELNS0_4arch9wavefront6targetE0EEEvSM_,"axG",@progbits,_ZN7rocprim17ROCPRIM_400000_NS6detail17trampoline_kernelINS0_14default_configENS1_22reduce_config_selectorIbEEZNS1_11reduce_implILb1ES3_N6hipcub16HIPCUB_304000_NS22TransformInputIteratorIb7NonZeroIfEPflEEPllNS8_6detail34convert_binary_result_type_wrapperINS8_3SumESD_lEEEE10hipError_tPvRmT1_T2_T3_mT4_P12ihipStream_tbEUlT_E1_NS1_11comp_targetILNS1_3genE5ELNS1_11target_archE942ELNS1_3gpuE9ELNS1_3repE0EEENS1_30default_config_static_selectorELNS0_4arch9wavefront6targetE0EEEvSM_,comdat
	.protected	_ZN7rocprim17ROCPRIM_400000_NS6detail17trampoline_kernelINS0_14default_configENS1_22reduce_config_selectorIbEEZNS1_11reduce_implILb1ES3_N6hipcub16HIPCUB_304000_NS22TransformInputIteratorIb7NonZeroIfEPflEEPllNS8_6detail34convert_binary_result_type_wrapperINS8_3SumESD_lEEEE10hipError_tPvRmT1_T2_T3_mT4_P12ihipStream_tbEUlT_E1_NS1_11comp_targetILNS1_3genE5ELNS1_11target_archE942ELNS1_3gpuE9ELNS1_3repE0EEENS1_30default_config_static_selectorELNS0_4arch9wavefront6targetE0EEEvSM_ ; -- Begin function _ZN7rocprim17ROCPRIM_400000_NS6detail17trampoline_kernelINS0_14default_configENS1_22reduce_config_selectorIbEEZNS1_11reduce_implILb1ES3_N6hipcub16HIPCUB_304000_NS22TransformInputIteratorIb7NonZeroIfEPflEEPllNS8_6detail34convert_binary_result_type_wrapperINS8_3SumESD_lEEEE10hipError_tPvRmT1_T2_T3_mT4_P12ihipStream_tbEUlT_E1_NS1_11comp_targetILNS1_3genE5ELNS1_11target_archE942ELNS1_3gpuE9ELNS1_3repE0EEENS1_30default_config_static_selectorELNS0_4arch9wavefront6targetE0EEEvSM_
	.globl	_ZN7rocprim17ROCPRIM_400000_NS6detail17trampoline_kernelINS0_14default_configENS1_22reduce_config_selectorIbEEZNS1_11reduce_implILb1ES3_N6hipcub16HIPCUB_304000_NS22TransformInputIteratorIb7NonZeroIfEPflEEPllNS8_6detail34convert_binary_result_type_wrapperINS8_3SumESD_lEEEE10hipError_tPvRmT1_T2_T3_mT4_P12ihipStream_tbEUlT_E1_NS1_11comp_targetILNS1_3genE5ELNS1_11target_archE942ELNS1_3gpuE9ELNS1_3repE0EEENS1_30default_config_static_selectorELNS0_4arch9wavefront6targetE0EEEvSM_
	.p2align	8
	.type	_ZN7rocprim17ROCPRIM_400000_NS6detail17trampoline_kernelINS0_14default_configENS1_22reduce_config_selectorIbEEZNS1_11reduce_implILb1ES3_N6hipcub16HIPCUB_304000_NS22TransformInputIteratorIb7NonZeroIfEPflEEPllNS8_6detail34convert_binary_result_type_wrapperINS8_3SumESD_lEEEE10hipError_tPvRmT1_T2_T3_mT4_P12ihipStream_tbEUlT_E1_NS1_11comp_targetILNS1_3genE5ELNS1_11target_archE942ELNS1_3gpuE9ELNS1_3repE0EEENS1_30default_config_static_selectorELNS0_4arch9wavefront6targetE0EEEvSM_,@function
_ZN7rocprim17ROCPRIM_400000_NS6detail17trampoline_kernelINS0_14default_configENS1_22reduce_config_selectorIbEEZNS1_11reduce_implILb1ES3_N6hipcub16HIPCUB_304000_NS22TransformInputIteratorIb7NonZeroIfEPflEEPllNS8_6detail34convert_binary_result_type_wrapperINS8_3SumESD_lEEEE10hipError_tPvRmT1_T2_T3_mT4_P12ihipStream_tbEUlT_E1_NS1_11comp_targetILNS1_3genE5ELNS1_11target_archE942ELNS1_3gpuE9ELNS1_3repE0EEENS1_30default_config_static_selectorELNS0_4arch9wavefront6targetE0EEEvSM_: ; @_ZN7rocprim17ROCPRIM_400000_NS6detail17trampoline_kernelINS0_14default_configENS1_22reduce_config_selectorIbEEZNS1_11reduce_implILb1ES3_N6hipcub16HIPCUB_304000_NS22TransformInputIteratorIb7NonZeroIfEPflEEPllNS8_6detail34convert_binary_result_type_wrapperINS8_3SumESD_lEEEE10hipError_tPvRmT1_T2_T3_mT4_P12ihipStream_tbEUlT_E1_NS1_11comp_targetILNS1_3genE5ELNS1_11target_archE942ELNS1_3gpuE9ELNS1_3repE0EEENS1_30default_config_static_selectorELNS0_4arch9wavefront6targetE0EEEvSM_
; %bb.0:
	.section	.rodata,"a",@progbits
	.p2align	6, 0x0
	.amdhsa_kernel _ZN7rocprim17ROCPRIM_400000_NS6detail17trampoline_kernelINS0_14default_configENS1_22reduce_config_selectorIbEEZNS1_11reduce_implILb1ES3_N6hipcub16HIPCUB_304000_NS22TransformInputIteratorIb7NonZeroIfEPflEEPllNS8_6detail34convert_binary_result_type_wrapperINS8_3SumESD_lEEEE10hipError_tPvRmT1_T2_T3_mT4_P12ihipStream_tbEUlT_E1_NS1_11comp_targetILNS1_3genE5ELNS1_11target_archE942ELNS1_3gpuE9ELNS1_3repE0EEENS1_30default_config_static_selectorELNS0_4arch9wavefront6targetE0EEEvSM_
		.amdhsa_group_segment_fixed_size 0
		.amdhsa_private_segment_fixed_size 0
		.amdhsa_kernarg_size 56
		.amdhsa_user_sgpr_count 15
		.amdhsa_user_sgpr_dispatch_ptr 0
		.amdhsa_user_sgpr_queue_ptr 0
		.amdhsa_user_sgpr_kernarg_segment_ptr 1
		.amdhsa_user_sgpr_dispatch_id 0
		.amdhsa_user_sgpr_private_segment_size 0
		.amdhsa_wavefront_size32 1
		.amdhsa_uses_dynamic_stack 0
		.amdhsa_enable_private_segment 0
		.amdhsa_system_sgpr_workgroup_id_x 1
		.amdhsa_system_sgpr_workgroup_id_y 0
		.amdhsa_system_sgpr_workgroup_id_z 0
		.amdhsa_system_sgpr_workgroup_info 0
		.amdhsa_system_vgpr_workitem_id 0
		.amdhsa_next_free_vgpr 1
		.amdhsa_next_free_sgpr 1
		.amdhsa_reserve_vcc 0
		.amdhsa_float_round_mode_32 0
		.amdhsa_float_round_mode_16_64 0
		.amdhsa_float_denorm_mode_32 3
		.amdhsa_float_denorm_mode_16_64 3
		.amdhsa_dx10_clamp 1
		.amdhsa_ieee_mode 1
		.amdhsa_fp16_overflow 0
		.amdhsa_workgroup_processor_mode 1
		.amdhsa_memory_ordered 1
		.amdhsa_forward_progress 0
		.amdhsa_shared_vgpr_count 0
		.amdhsa_exception_fp_ieee_invalid_op 0
		.amdhsa_exception_fp_denorm_src 0
		.amdhsa_exception_fp_ieee_div_zero 0
		.amdhsa_exception_fp_ieee_overflow 0
		.amdhsa_exception_fp_ieee_underflow 0
		.amdhsa_exception_fp_ieee_inexact 0
		.amdhsa_exception_int_div_zero 0
	.end_amdhsa_kernel
	.section	.text._ZN7rocprim17ROCPRIM_400000_NS6detail17trampoline_kernelINS0_14default_configENS1_22reduce_config_selectorIbEEZNS1_11reduce_implILb1ES3_N6hipcub16HIPCUB_304000_NS22TransformInputIteratorIb7NonZeroIfEPflEEPllNS8_6detail34convert_binary_result_type_wrapperINS8_3SumESD_lEEEE10hipError_tPvRmT1_T2_T3_mT4_P12ihipStream_tbEUlT_E1_NS1_11comp_targetILNS1_3genE5ELNS1_11target_archE942ELNS1_3gpuE9ELNS1_3repE0EEENS1_30default_config_static_selectorELNS0_4arch9wavefront6targetE0EEEvSM_,"axG",@progbits,_ZN7rocprim17ROCPRIM_400000_NS6detail17trampoline_kernelINS0_14default_configENS1_22reduce_config_selectorIbEEZNS1_11reduce_implILb1ES3_N6hipcub16HIPCUB_304000_NS22TransformInputIteratorIb7NonZeroIfEPflEEPllNS8_6detail34convert_binary_result_type_wrapperINS8_3SumESD_lEEEE10hipError_tPvRmT1_T2_T3_mT4_P12ihipStream_tbEUlT_E1_NS1_11comp_targetILNS1_3genE5ELNS1_11target_archE942ELNS1_3gpuE9ELNS1_3repE0EEENS1_30default_config_static_selectorELNS0_4arch9wavefront6targetE0EEEvSM_,comdat
.Lfunc_end245:
	.size	_ZN7rocprim17ROCPRIM_400000_NS6detail17trampoline_kernelINS0_14default_configENS1_22reduce_config_selectorIbEEZNS1_11reduce_implILb1ES3_N6hipcub16HIPCUB_304000_NS22TransformInputIteratorIb7NonZeroIfEPflEEPllNS8_6detail34convert_binary_result_type_wrapperINS8_3SumESD_lEEEE10hipError_tPvRmT1_T2_T3_mT4_P12ihipStream_tbEUlT_E1_NS1_11comp_targetILNS1_3genE5ELNS1_11target_archE942ELNS1_3gpuE9ELNS1_3repE0EEENS1_30default_config_static_selectorELNS0_4arch9wavefront6targetE0EEEvSM_, .Lfunc_end245-_ZN7rocprim17ROCPRIM_400000_NS6detail17trampoline_kernelINS0_14default_configENS1_22reduce_config_selectorIbEEZNS1_11reduce_implILb1ES3_N6hipcub16HIPCUB_304000_NS22TransformInputIteratorIb7NonZeroIfEPflEEPllNS8_6detail34convert_binary_result_type_wrapperINS8_3SumESD_lEEEE10hipError_tPvRmT1_T2_T3_mT4_P12ihipStream_tbEUlT_E1_NS1_11comp_targetILNS1_3genE5ELNS1_11target_archE942ELNS1_3gpuE9ELNS1_3repE0EEENS1_30default_config_static_selectorELNS0_4arch9wavefront6targetE0EEEvSM_
                                        ; -- End function
	.section	.AMDGPU.csdata,"",@progbits
; Kernel info:
; codeLenInByte = 0
; NumSgprs: 0
; NumVgprs: 0
; ScratchSize: 0
; MemoryBound: 0
; FloatMode: 240
; IeeeMode: 1
; LDSByteSize: 0 bytes/workgroup (compile time only)
; SGPRBlocks: 0
; VGPRBlocks: 0
; NumSGPRsForWavesPerEU: 1
; NumVGPRsForWavesPerEU: 1
; Occupancy: 16
; WaveLimiterHint : 0
; COMPUTE_PGM_RSRC2:SCRATCH_EN: 0
; COMPUTE_PGM_RSRC2:USER_SGPR: 15
; COMPUTE_PGM_RSRC2:TRAP_HANDLER: 0
; COMPUTE_PGM_RSRC2:TGID_X_EN: 1
; COMPUTE_PGM_RSRC2:TGID_Y_EN: 0
; COMPUTE_PGM_RSRC2:TGID_Z_EN: 0
; COMPUTE_PGM_RSRC2:TIDIG_COMP_CNT: 0
	.section	.text._ZN7rocprim17ROCPRIM_400000_NS6detail17trampoline_kernelINS0_14default_configENS1_22reduce_config_selectorIbEEZNS1_11reduce_implILb1ES3_N6hipcub16HIPCUB_304000_NS22TransformInputIteratorIb7NonZeroIfEPflEEPllNS8_6detail34convert_binary_result_type_wrapperINS8_3SumESD_lEEEE10hipError_tPvRmT1_T2_T3_mT4_P12ihipStream_tbEUlT_E1_NS1_11comp_targetILNS1_3genE4ELNS1_11target_archE910ELNS1_3gpuE8ELNS1_3repE0EEENS1_30default_config_static_selectorELNS0_4arch9wavefront6targetE0EEEvSM_,"axG",@progbits,_ZN7rocprim17ROCPRIM_400000_NS6detail17trampoline_kernelINS0_14default_configENS1_22reduce_config_selectorIbEEZNS1_11reduce_implILb1ES3_N6hipcub16HIPCUB_304000_NS22TransformInputIteratorIb7NonZeroIfEPflEEPllNS8_6detail34convert_binary_result_type_wrapperINS8_3SumESD_lEEEE10hipError_tPvRmT1_T2_T3_mT4_P12ihipStream_tbEUlT_E1_NS1_11comp_targetILNS1_3genE4ELNS1_11target_archE910ELNS1_3gpuE8ELNS1_3repE0EEENS1_30default_config_static_selectorELNS0_4arch9wavefront6targetE0EEEvSM_,comdat
	.protected	_ZN7rocprim17ROCPRIM_400000_NS6detail17trampoline_kernelINS0_14default_configENS1_22reduce_config_selectorIbEEZNS1_11reduce_implILb1ES3_N6hipcub16HIPCUB_304000_NS22TransformInputIteratorIb7NonZeroIfEPflEEPllNS8_6detail34convert_binary_result_type_wrapperINS8_3SumESD_lEEEE10hipError_tPvRmT1_T2_T3_mT4_P12ihipStream_tbEUlT_E1_NS1_11comp_targetILNS1_3genE4ELNS1_11target_archE910ELNS1_3gpuE8ELNS1_3repE0EEENS1_30default_config_static_selectorELNS0_4arch9wavefront6targetE0EEEvSM_ ; -- Begin function _ZN7rocprim17ROCPRIM_400000_NS6detail17trampoline_kernelINS0_14default_configENS1_22reduce_config_selectorIbEEZNS1_11reduce_implILb1ES3_N6hipcub16HIPCUB_304000_NS22TransformInputIteratorIb7NonZeroIfEPflEEPllNS8_6detail34convert_binary_result_type_wrapperINS8_3SumESD_lEEEE10hipError_tPvRmT1_T2_T3_mT4_P12ihipStream_tbEUlT_E1_NS1_11comp_targetILNS1_3genE4ELNS1_11target_archE910ELNS1_3gpuE8ELNS1_3repE0EEENS1_30default_config_static_selectorELNS0_4arch9wavefront6targetE0EEEvSM_
	.globl	_ZN7rocprim17ROCPRIM_400000_NS6detail17trampoline_kernelINS0_14default_configENS1_22reduce_config_selectorIbEEZNS1_11reduce_implILb1ES3_N6hipcub16HIPCUB_304000_NS22TransformInputIteratorIb7NonZeroIfEPflEEPllNS8_6detail34convert_binary_result_type_wrapperINS8_3SumESD_lEEEE10hipError_tPvRmT1_T2_T3_mT4_P12ihipStream_tbEUlT_E1_NS1_11comp_targetILNS1_3genE4ELNS1_11target_archE910ELNS1_3gpuE8ELNS1_3repE0EEENS1_30default_config_static_selectorELNS0_4arch9wavefront6targetE0EEEvSM_
	.p2align	8
	.type	_ZN7rocprim17ROCPRIM_400000_NS6detail17trampoline_kernelINS0_14default_configENS1_22reduce_config_selectorIbEEZNS1_11reduce_implILb1ES3_N6hipcub16HIPCUB_304000_NS22TransformInputIteratorIb7NonZeroIfEPflEEPllNS8_6detail34convert_binary_result_type_wrapperINS8_3SumESD_lEEEE10hipError_tPvRmT1_T2_T3_mT4_P12ihipStream_tbEUlT_E1_NS1_11comp_targetILNS1_3genE4ELNS1_11target_archE910ELNS1_3gpuE8ELNS1_3repE0EEENS1_30default_config_static_selectorELNS0_4arch9wavefront6targetE0EEEvSM_,@function
_ZN7rocprim17ROCPRIM_400000_NS6detail17trampoline_kernelINS0_14default_configENS1_22reduce_config_selectorIbEEZNS1_11reduce_implILb1ES3_N6hipcub16HIPCUB_304000_NS22TransformInputIteratorIb7NonZeroIfEPflEEPllNS8_6detail34convert_binary_result_type_wrapperINS8_3SumESD_lEEEE10hipError_tPvRmT1_T2_T3_mT4_P12ihipStream_tbEUlT_E1_NS1_11comp_targetILNS1_3genE4ELNS1_11target_archE910ELNS1_3gpuE8ELNS1_3repE0EEENS1_30default_config_static_selectorELNS0_4arch9wavefront6targetE0EEEvSM_: ; @_ZN7rocprim17ROCPRIM_400000_NS6detail17trampoline_kernelINS0_14default_configENS1_22reduce_config_selectorIbEEZNS1_11reduce_implILb1ES3_N6hipcub16HIPCUB_304000_NS22TransformInputIteratorIb7NonZeroIfEPflEEPllNS8_6detail34convert_binary_result_type_wrapperINS8_3SumESD_lEEEE10hipError_tPvRmT1_T2_T3_mT4_P12ihipStream_tbEUlT_E1_NS1_11comp_targetILNS1_3genE4ELNS1_11target_archE910ELNS1_3gpuE8ELNS1_3repE0EEENS1_30default_config_static_selectorELNS0_4arch9wavefront6targetE0EEEvSM_
; %bb.0:
	.section	.rodata,"a",@progbits
	.p2align	6, 0x0
	.amdhsa_kernel _ZN7rocprim17ROCPRIM_400000_NS6detail17trampoline_kernelINS0_14default_configENS1_22reduce_config_selectorIbEEZNS1_11reduce_implILb1ES3_N6hipcub16HIPCUB_304000_NS22TransformInputIteratorIb7NonZeroIfEPflEEPllNS8_6detail34convert_binary_result_type_wrapperINS8_3SumESD_lEEEE10hipError_tPvRmT1_T2_T3_mT4_P12ihipStream_tbEUlT_E1_NS1_11comp_targetILNS1_3genE4ELNS1_11target_archE910ELNS1_3gpuE8ELNS1_3repE0EEENS1_30default_config_static_selectorELNS0_4arch9wavefront6targetE0EEEvSM_
		.amdhsa_group_segment_fixed_size 0
		.amdhsa_private_segment_fixed_size 0
		.amdhsa_kernarg_size 56
		.amdhsa_user_sgpr_count 15
		.amdhsa_user_sgpr_dispatch_ptr 0
		.amdhsa_user_sgpr_queue_ptr 0
		.amdhsa_user_sgpr_kernarg_segment_ptr 1
		.amdhsa_user_sgpr_dispatch_id 0
		.amdhsa_user_sgpr_private_segment_size 0
		.amdhsa_wavefront_size32 1
		.amdhsa_uses_dynamic_stack 0
		.amdhsa_enable_private_segment 0
		.amdhsa_system_sgpr_workgroup_id_x 1
		.amdhsa_system_sgpr_workgroup_id_y 0
		.amdhsa_system_sgpr_workgroup_id_z 0
		.amdhsa_system_sgpr_workgroup_info 0
		.amdhsa_system_vgpr_workitem_id 0
		.amdhsa_next_free_vgpr 1
		.amdhsa_next_free_sgpr 1
		.amdhsa_reserve_vcc 0
		.amdhsa_float_round_mode_32 0
		.amdhsa_float_round_mode_16_64 0
		.amdhsa_float_denorm_mode_32 3
		.amdhsa_float_denorm_mode_16_64 3
		.amdhsa_dx10_clamp 1
		.amdhsa_ieee_mode 1
		.amdhsa_fp16_overflow 0
		.amdhsa_workgroup_processor_mode 1
		.amdhsa_memory_ordered 1
		.amdhsa_forward_progress 0
		.amdhsa_shared_vgpr_count 0
		.amdhsa_exception_fp_ieee_invalid_op 0
		.amdhsa_exception_fp_denorm_src 0
		.amdhsa_exception_fp_ieee_div_zero 0
		.amdhsa_exception_fp_ieee_overflow 0
		.amdhsa_exception_fp_ieee_underflow 0
		.amdhsa_exception_fp_ieee_inexact 0
		.amdhsa_exception_int_div_zero 0
	.end_amdhsa_kernel
	.section	.text._ZN7rocprim17ROCPRIM_400000_NS6detail17trampoline_kernelINS0_14default_configENS1_22reduce_config_selectorIbEEZNS1_11reduce_implILb1ES3_N6hipcub16HIPCUB_304000_NS22TransformInputIteratorIb7NonZeroIfEPflEEPllNS8_6detail34convert_binary_result_type_wrapperINS8_3SumESD_lEEEE10hipError_tPvRmT1_T2_T3_mT4_P12ihipStream_tbEUlT_E1_NS1_11comp_targetILNS1_3genE4ELNS1_11target_archE910ELNS1_3gpuE8ELNS1_3repE0EEENS1_30default_config_static_selectorELNS0_4arch9wavefront6targetE0EEEvSM_,"axG",@progbits,_ZN7rocprim17ROCPRIM_400000_NS6detail17trampoline_kernelINS0_14default_configENS1_22reduce_config_selectorIbEEZNS1_11reduce_implILb1ES3_N6hipcub16HIPCUB_304000_NS22TransformInputIteratorIb7NonZeroIfEPflEEPllNS8_6detail34convert_binary_result_type_wrapperINS8_3SumESD_lEEEE10hipError_tPvRmT1_T2_T3_mT4_P12ihipStream_tbEUlT_E1_NS1_11comp_targetILNS1_3genE4ELNS1_11target_archE910ELNS1_3gpuE8ELNS1_3repE0EEENS1_30default_config_static_selectorELNS0_4arch9wavefront6targetE0EEEvSM_,comdat
.Lfunc_end246:
	.size	_ZN7rocprim17ROCPRIM_400000_NS6detail17trampoline_kernelINS0_14default_configENS1_22reduce_config_selectorIbEEZNS1_11reduce_implILb1ES3_N6hipcub16HIPCUB_304000_NS22TransformInputIteratorIb7NonZeroIfEPflEEPllNS8_6detail34convert_binary_result_type_wrapperINS8_3SumESD_lEEEE10hipError_tPvRmT1_T2_T3_mT4_P12ihipStream_tbEUlT_E1_NS1_11comp_targetILNS1_3genE4ELNS1_11target_archE910ELNS1_3gpuE8ELNS1_3repE0EEENS1_30default_config_static_selectorELNS0_4arch9wavefront6targetE0EEEvSM_, .Lfunc_end246-_ZN7rocprim17ROCPRIM_400000_NS6detail17trampoline_kernelINS0_14default_configENS1_22reduce_config_selectorIbEEZNS1_11reduce_implILb1ES3_N6hipcub16HIPCUB_304000_NS22TransformInputIteratorIb7NonZeroIfEPflEEPllNS8_6detail34convert_binary_result_type_wrapperINS8_3SumESD_lEEEE10hipError_tPvRmT1_T2_T3_mT4_P12ihipStream_tbEUlT_E1_NS1_11comp_targetILNS1_3genE4ELNS1_11target_archE910ELNS1_3gpuE8ELNS1_3repE0EEENS1_30default_config_static_selectorELNS0_4arch9wavefront6targetE0EEEvSM_
                                        ; -- End function
	.section	.AMDGPU.csdata,"",@progbits
; Kernel info:
; codeLenInByte = 0
; NumSgprs: 0
; NumVgprs: 0
; ScratchSize: 0
; MemoryBound: 0
; FloatMode: 240
; IeeeMode: 1
; LDSByteSize: 0 bytes/workgroup (compile time only)
; SGPRBlocks: 0
; VGPRBlocks: 0
; NumSGPRsForWavesPerEU: 1
; NumVGPRsForWavesPerEU: 1
; Occupancy: 16
; WaveLimiterHint : 0
; COMPUTE_PGM_RSRC2:SCRATCH_EN: 0
; COMPUTE_PGM_RSRC2:USER_SGPR: 15
; COMPUTE_PGM_RSRC2:TRAP_HANDLER: 0
; COMPUTE_PGM_RSRC2:TGID_X_EN: 1
; COMPUTE_PGM_RSRC2:TGID_Y_EN: 0
; COMPUTE_PGM_RSRC2:TGID_Z_EN: 0
; COMPUTE_PGM_RSRC2:TIDIG_COMP_CNT: 0
	.section	.text._ZN7rocprim17ROCPRIM_400000_NS6detail17trampoline_kernelINS0_14default_configENS1_22reduce_config_selectorIbEEZNS1_11reduce_implILb1ES3_N6hipcub16HIPCUB_304000_NS22TransformInputIteratorIb7NonZeroIfEPflEEPllNS8_6detail34convert_binary_result_type_wrapperINS8_3SumESD_lEEEE10hipError_tPvRmT1_T2_T3_mT4_P12ihipStream_tbEUlT_E1_NS1_11comp_targetILNS1_3genE3ELNS1_11target_archE908ELNS1_3gpuE7ELNS1_3repE0EEENS1_30default_config_static_selectorELNS0_4arch9wavefront6targetE0EEEvSM_,"axG",@progbits,_ZN7rocprim17ROCPRIM_400000_NS6detail17trampoline_kernelINS0_14default_configENS1_22reduce_config_selectorIbEEZNS1_11reduce_implILb1ES3_N6hipcub16HIPCUB_304000_NS22TransformInputIteratorIb7NonZeroIfEPflEEPllNS8_6detail34convert_binary_result_type_wrapperINS8_3SumESD_lEEEE10hipError_tPvRmT1_T2_T3_mT4_P12ihipStream_tbEUlT_E1_NS1_11comp_targetILNS1_3genE3ELNS1_11target_archE908ELNS1_3gpuE7ELNS1_3repE0EEENS1_30default_config_static_selectorELNS0_4arch9wavefront6targetE0EEEvSM_,comdat
	.protected	_ZN7rocprim17ROCPRIM_400000_NS6detail17trampoline_kernelINS0_14default_configENS1_22reduce_config_selectorIbEEZNS1_11reduce_implILb1ES3_N6hipcub16HIPCUB_304000_NS22TransformInputIteratorIb7NonZeroIfEPflEEPllNS8_6detail34convert_binary_result_type_wrapperINS8_3SumESD_lEEEE10hipError_tPvRmT1_T2_T3_mT4_P12ihipStream_tbEUlT_E1_NS1_11comp_targetILNS1_3genE3ELNS1_11target_archE908ELNS1_3gpuE7ELNS1_3repE0EEENS1_30default_config_static_selectorELNS0_4arch9wavefront6targetE0EEEvSM_ ; -- Begin function _ZN7rocprim17ROCPRIM_400000_NS6detail17trampoline_kernelINS0_14default_configENS1_22reduce_config_selectorIbEEZNS1_11reduce_implILb1ES3_N6hipcub16HIPCUB_304000_NS22TransformInputIteratorIb7NonZeroIfEPflEEPllNS8_6detail34convert_binary_result_type_wrapperINS8_3SumESD_lEEEE10hipError_tPvRmT1_T2_T3_mT4_P12ihipStream_tbEUlT_E1_NS1_11comp_targetILNS1_3genE3ELNS1_11target_archE908ELNS1_3gpuE7ELNS1_3repE0EEENS1_30default_config_static_selectorELNS0_4arch9wavefront6targetE0EEEvSM_
	.globl	_ZN7rocprim17ROCPRIM_400000_NS6detail17trampoline_kernelINS0_14default_configENS1_22reduce_config_selectorIbEEZNS1_11reduce_implILb1ES3_N6hipcub16HIPCUB_304000_NS22TransformInputIteratorIb7NonZeroIfEPflEEPllNS8_6detail34convert_binary_result_type_wrapperINS8_3SumESD_lEEEE10hipError_tPvRmT1_T2_T3_mT4_P12ihipStream_tbEUlT_E1_NS1_11comp_targetILNS1_3genE3ELNS1_11target_archE908ELNS1_3gpuE7ELNS1_3repE0EEENS1_30default_config_static_selectorELNS0_4arch9wavefront6targetE0EEEvSM_
	.p2align	8
	.type	_ZN7rocprim17ROCPRIM_400000_NS6detail17trampoline_kernelINS0_14default_configENS1_22reduce_config_selectorIbEEZNS1_11reduce_implILb1ES3_N6hipcub16HIPCUB_304000_NS22TransformInputIteratorIb7NonZeroIfEPflEEPllNS8_6detail34convert_binary_result_type_wrapperINS8_3SumESD_lEEEE10hipError_tPvRmT1_T2_T3_mT4_P12ihipStream_tbEUlT_E1_NS1_11comp_targetILNS1_3genE3ELNS1_11target_archE908ELNS1_3gpuE7ELNS1_3repE0EEENS1_30default_config_static_selectorELNS0_4arch9wavefront6targetE0EEEvSM_,@function
_ZN7rocprim17ROCPRIM_400000_NS6detail17trampoline_kernelINS0_14default_configENS1_22reduce_config_selectorIbEEZNS1_11reduce_implILb1ES3_N6hipcub16HIPCUB_304000_NS22TransformInputIteratorIb7NonZeroIfEPflEEPllNS8_6detail34convert_binary_result_type_wrapperINS8_3SumESD_lEEEE10hipError_tPvRmT1_T2_T3_mT4_P12ihipStream_tbEUlT_E1_NS1_11comp_targetILNS1_3genE3ELNS1_11target_archE908ELNS1_3gpuE7ELNS1_3repE0EEENS1_30default_config_static_selectorELNS0_4arch9wavefront6targetE0EEEvSM_: ; @_ZN7rocprim17ROCPRIM_400000_NS6detail17trampoline_kernelINS0_14default_configENS1_22reduce_config_selectorIbEEZNS1_11reduce_implILb1ES3_N6hipcub16HIPCUB_304000_NS22TransformInputIteratorIb7NonZeroIfEPflEEPllNS8_6detail34convert_binary_result_type_wrapperINS8_3SumESD_lEEEE10hipError_tPvRmT1_T2_T3_mT4_P12ihipStream_tbEUlT_E1_NS1_11comp_targetILNS1_3genE3ELNS1_11target_archE908ELNS1_3gpuE7ELNS1_3repE0EEENS1_30default_config_static_selectorELNS0_4arch9wavefront6targetE0EEEvSM_
; %bb.0:
	.section	.rodata,"a",@progbits
	.p2align	6, 0x0
	.amdhsa_kernel _ZN7rocprim17ROCPRIM_400000_NS6detail17trampoline_kernelINS0_14default_configENS1_22reduce_config_selectorIbEEZNS1_11reduce_implILb1ES3_N6hipcub16HIPCUB_304000_NS22TransformInputIteratorIb7NonZeroIfEPflEEPllNS8_6detail34convert_binary_result_type_wrapperINS8_3SumESD_lEEEE10hipError_tPvRmT1_T2_T3_mT4_P12ihipStream_tbEUlT_E1_NS1_11comp_targetILNS1_3genE3ELNS1_11target_archE908ELNS1_3gpuE7ELNS1_3repE0EEENS1_30default_config_static_selectorELNS0_4arch9wavefront6targetE0EEEvSM_
		.amdhsa_group_segment_fixed_size 0
		.amdhsa_private_segment_fixed_size 0
		.amdhsa_kernarg_size 56
		.amdhsa_user_sgpr_count 15
		.amdhsa_user_sgpr_dispatch_ptr 0
		.amdhsa_user_sgpr_queue_ptr 0
		.amdhsa_user_sgpr_kernarg_segment_ptr 1
		.amdhsa_user_sgpr_dispatch_id 0
		.amdhsa_user_sgpr_private_segment_size 0
		.amdhsa_wavefront_size32 1
		.amdhsa_uses_dynamic_stack 0
		.amdhsa_enable_private_segment 0
		.amdhsa_system_sgpr_workgroup_id_x 1
		.amdhsa_system_sgpr_workgroup_id_y 0
		.amdhsa_system_sgpr_workgroup_id_z 0
		.amdhsa_system_sgpr_workgroup_info 0
		.amdhsa_system_vgpr_workitem_id 0
		.amdhsa_next_free_vgpr 1
		.amdhsa_next_free_sgpr 1
		.amdhsa_reserve_vcc 0
		.amdhsa_float_round_mode_32 0
		.amdhsa_float_round_mode_16_64 0
		.amdhsa_float_denorm_mode_32 3
		.amdhsa_float_denorm_mode_16_64 3
		.amdhsa_dx10_clamp 1
		.amdhsa_ieee_mode 1
		.amdhsa_fp16_overflow 0
		.amdhsa_workgroup_processor_mode 1
		.amdhsa_memory_ordered 1
		.amdhsa_forward_progress 0
		.amdhsa_shared_vgpr_count 0
		.amdhsa_exception_fp_ieee_invalid_op 0
		.amdhsa_exception_fp_denorm_src 0
		.amdhsa_exception_fp_ieee_div_zero 0
		.amdhsa_exception_fp_ieee_overflow 0
		.amdhsa_exception_fp_ieee_underflow 0
		.amdhsa_exception_fp_ieee_inexact 0
		.amdhsa_exception_int_div_zero 0
	.end_amdhsa_kernel
	.section	.text._ZN7rocprim17ROCPRIM_400000_NS6detail17trampoline_kernelINS0_14default_configENS1_22reduce_config_selectorIbEEZNS1_11reduce_implILb1ES3_N6hipcub16HIPCUB_304000_NS22TransformInputIteratorIb7NonZeroIfEPflEEPllNS8_6detail34convert_binary_result_type_wrapperINS8_3SumESD_lEEEE10hipError_tPvRmT1_T2_T3_mT4_P12ihipStream_tbEUlT_E1_NS1_11comp_targetILNS1_3genE3ELNS1_11target_archE908ELNS1_3gpuE7ELNS1_3repE0EEENS1_30default_config_static_selectorELNS0_4arch9wavefront6targetE0EEEvSM_,"axG",@progbits,_ZN7rocprim17ROCPRIM_400000_NS6detail17trampoline_kernelINS0_14default_configENS1_22reduce_config_selectorIbEEZNS1_11reduce_implILb1ES3_N6hipcub16HIPCUB_304000_NS22TransformInputIteratorIb7NonZeroIfEPflEEPllNS8_6detail34convert_binary_result_type_wrapperINS8_3SumESD_lEEEE10hipError_tPvRmT1_T2_T3_mT4_P12ihipStream_tbEUlT_E1_NS1_11comp_targetILNS1_3genE3ELNS1_11target_archE908ELNS1_3gpuE7ELNS1_3repE0EEENS1_30default_config_static_selectorELNS0_4arch9wavefront6targetE0EEEvSM_,comdat
.Lfunc_end247:
	.size	_ZN7rocprim17ROCPRIM_400000_NS6detail17trampoline_kernelINS0_14default_configENS1_22reduce_config_selectorIbEEZNS1_11reduce_implILb1ES3_N6hipcub16HIPCUB_304000_NS22TransformInputIteratorIb7NonZeroIfEPflEEPllNS8_6detail34convert_binary_result_type_wrapperINS8_3SumESD_lEEEE10hipError_tPvRmT1_T2_T3_mT4_P12ihipStream_tbEUlT_E1_NS1_11comp_targetILNS1_3genE3ELNS1_11target_archE908ELNS1_3gpuE7ELNS1_3repE0EEENS1_30default_config_static_selectorELNS0_4arch9wavefront6targetE0EEEvSM_, .Lfunc_end247-_ZN7rocprim17ROCPRIM_400000_NS6detail17trampoline_kernelINS0_14default_configENS1_22reduce_config_selectorIbEEZNS1_11reduce_implILb1ES3_N6hipcub16HIPCUB_304000_NS22TransformInputIteratorIb7NonZeroIfEPflEEPllNS8_6detail34convert_binary_result_type_wrapperINS8_3SumESD_lEEEE10hipError_tPvRmT1_T2_T3_mT4_P12ihipStream_tbEUlT_E1_NS1_11comp_targetILNS1_3genE3ELNS1_11target_archE908ELNS1_3gpuE7ELNS1_3repE0EEENS1_30default_config_static_selectorELNS0_4arch9wavefront6targetE0EEEvSM_
                                        ; -- End function
	.section	.AMDGPU.csdata,"",@progbits
; Kernel info:
; codeLenInByte = 0
; NumSgprs: 0
; NumVgprs: 0
; ScratchSize: 0
; MemoryBound: 0
; FloatMode: 240
; IeeeMode: 1
; LDSByteSize: 0 bytes/workgroup (compile time only)
; SGPRBlocks: 0
; VGPRBlocks: 0
; NumSGPRsForWavesPerEU: 1
; NumVGPRsForWavesPerEU: 1
; Occupancy: 16
; WaveLimiterHint : 0
; COMPUTE_PGM_RSRC2:SCRATCH_EN: 0
; COMPUTE_PGM_RSRC2:USER_SGPR: 15
; COMPUTE_PGM_RSRC2:TRAP_HANDLER: 0
; COMPUTE_PGM_RSRC2:TGID_X_EN: 1
; COMPUTE_PGM_RSRC2:TGID_Y_EN: 0
; COMPUTE_PGM_RSRC2:TGID_Z_EN: 0
; COMPUTE_PGM_RSRC2:TIDIG_COMP_CNT: 0
	.section	.text._ZN7rocprim17ROCPRIM_400000_NS6detail17trampoline_kernelINS0_14default_configENS1_22reduce_config_selectorIbEEZNS1_11reduce_implILb1ES3_N6hipcub16HIPCUB_304000_NS22TransformInputIteratorIb7NonZeroIfEPflEEPllNS8_6detail34convert_binary_result_type_wrapperINS8_3SumESD_lEEEE10hipError_tPvRmT1_T2_T3_mT4_P12ihipStream_tbEUlT_E1_NS1_11comp_targetILNS1_3genE2ELNS1_11target_archE906ELNS1_3gpuE6ELNS1_3repE0EEENS1_30default_config_static_selectorELNS0_4arch9wavefront6targetE0EEEvSM_,"axG",@progbits,_ZN7rocprim17ROCPRIM_400000_NS6detail17trampoline_kernelINS0_14default_configENS1_22reduce_config_selectorIbEEZNS1_11reduce_implILb1ES3_N6hipcub16HIPCUB_304000_NS22TransformInputIteratorIb7NonZeroIfEPflEEPllNS8_6detail34convert_binary_result_type_wrapperINS8_3SumESD_lEEEE10hipError_tPvRmT1_T2_T3_mT4_P12ihipStream_tbEUlT_E1_NS1_11comp_targetILNS1_3genE2ELNS1_11target_archE906ELNS1_3gpuE6ELNS1_3repE0EEENS1_30default_config_static_selectorELNS0_4arch9wavefront6targetE0EEEvSM_,comdat
	.protected	_ZN7rocprim17ROCPRIM_400000_NS6detail17trampoline_kernelINS0_14default_configENS1_22reduce_config_selectorIbEEZNS1_11reduce_implILb1ES3_N6hipcub16HIPCUB_304000_NS22TransformInputIteratorIb7NonZeroIfEPflEEPllNS8_6detail34convert_binary_result_type_wrapperINS8_3SumESD_lEEEE10hipError_tPvRmT1_T2_T3_mT4_P12ihipStream_tbEUlT_E1_NS1_11comp_targetILNS1_3genE2ELNS1_11target_archE906ELNS1_3gpuE6ELNS1_3repE0EEENS1_30default_config_static_selectorELNS0_4arch9wavefront6targetE0EEEvSM_ ; -- Begin function _ZN7rocprim17ROCPRIM_400000_NS6detail17trampoline_kernelINS0_14default_configENS1_22reduce_config_selectorIbEEZNS1_11reduce_implILb1ES3_N6hipcub16HIPCUB_304000_NS22TransformInputIteratorIb7NonZeroIfEPflEEPllNS8_6detail34convert_binary_result_type_wrapperINS8_3SumESD_lEEEE10hipError_tPvRmT1_T2_T3_mT4_P12ihipStream_tbEUlT_E1_NS1_11comp_targetILNS1_3genE2ELNS1_11target_archE906ELNS1_3gpuE6ELNS1_3repE0EEENS1_30default_config_static_selectorELNS0_4arch9wavefront6targetE0EEEvSM_
	.globl	_ZN7rocprim17ROCPRIM_400000_NS6detail17trampoline_kernelINS0_14default_configENS1_22reduce_config_selectorIbEEZNS1_11reduce_implILb1ES3_N6hipcub16HIPCUB_304000_NS22TransformInputIteratorIb7NonZeroIfEPflEEPllNS8_6detail34convert_binary_result_type_wrapperINS8_3SumESD_lEEEE10hipError_tPvRmT1_T2_T3_mT4_P12ihipStream_tbEUlT_E1_NS1_11comp_targetILNS1_3genE2ELNS1_11target_archE906ELNS1_3gpuE6ELNS1_3repE0EEENS1_30default_config_static_selectorELNS0_4arch9wavefront6targetE0EEEvSM_
	.p2align	8
	.type	_ZN7rocprim17ROCPRIM_400000_NS6detail17trampoline_kernelINS0_14default_configENS1_22reduce_config_selectorIbEEZNS1_11reduce_implILb1ES3_N6hipcub16HIPCUB_304000_NS22TransformInputIteratorIb7NonZeroIfEPflEEPllNS8_6detail34convert_binary_result_type_wrapperINS8_3SumESD_lEEEE10hipError_tPvRmT1_T2_T3_mT4_P12ihipStream_tbEUlT_E1_NS1_11comp_targetILNS1_3genE2ELNS1_11target_archE906ELNS1_3gpuE6ELNS1_3repE0EEENS1_30default_config_static_selectorELNS0_4arch9wavefront6targetE0EEEvSM_,@function
_ZN7rocprim17ROCPRIM_400000_NS6detail17trampoline_kernelINS0_14default_configENS1_22reduce_config_selectorIbEEZNS1_11reduce_implILb1ES3_N6hipcub16HIPCUB_304000_NS22TransformInputIteratorIb7NonZeroIfEPflEEPllNS8_6detail34convert_binary_result_type_wrapperINS8_3SumESD_lEEEE10hipError_tPvRmT1_T2_T3_mT4_P12ihipStream_tbEUlT_E1_NS1_11comp_targetILNS1_3genE2ELNS1_11target_archE906ELNS1_3gpuE6ELNS1_3repE0EEENS1_30default_config_static_selectorELNS0_4arch9wavefront6targetE0EEEvSM_: ; @_ZN7rocprim17ROCPRIM_400000_NS6detail17trampoline_kernelINS0_14default_configENS1_22reduce_config_selectorIbEEZNS1_11reduce_implILb1ES3_N6hipcub16HIPCUB_304000_NS22TransformInputIteratorIb7NonZeroIfEPflEEPllNS8_6detail34convert_binary_result_type_wrapperINS8_3SumESD_lEEEE10hipError_tPvRmT1_T2_T3_mT4_P12ihipStream_tbEUlT_E1_NS1_11comp_targetILNS1_3genE2ELNS1_11target_archE906ELNS1_3gpuE6ELNS1_3repE0EEENS1_30default_config_static_selectorELNS0_4arch9wavefront6targetE0EEEvSM_
; %bb.0:
	.section	.rodata,"a",@progbits
	.p2align	6, 0x0
	.amdhsa_kernel _ZN7rocprim17ROCPRIM_400000_NS6detail17trampoline_kernelINS0_14default_configENS1_22reduce_config_selectorIbEEZNS1_11reduce_implILb1ES3_N6hipcub16HIPCUB_304000_NS22TransformInputIteratorIb7NonZeroIfEPflEEPllNS8_6detail34convert_binary_result_type_wrapperINS8_3SumESD_lEEEE10hipError_tPvRmT1_T2_T3_mT4_P12ihipStream_tbEUlT_E1_NS1_11comp_targetILNS1_3genE2ELNS1_11target_archE906ELNS1_3gpuE6ELNS1_3repE0EEENS1_30default_config_static_selectorELNS0_4arch9wavefront6targetE0EEEvSM_
		.amdhsa_group_segment_fixed_size 0
		.amdhsa_private_segment_fixed_size 0
		.amdhsa_kernarg_size 56
		.amdhsa_user_sgpr_count 15
		.amdhsa_user_sgpr_dispatch_ptr 0
		.amdhsa_user_sgpr_queue_ptr 0
		.amdhsa_user_sgpr_kernarg_segment_ptr 1
		.amdhsa_user_sgpr_dispatch_id 0
		.amdhsa_user_sgpr_private_segment_size 0
		.amdhsa_wavefront_size32 1
		.amdhsa_uses_dynamic_stack 0
		.amdhsa_enable_private_segment 0
		.amdhsa_system_sgpr_workgroup_id_x 1
		.amdhsa_system_sgpr_workgroup_id_y 0
		.amdhsa_system_sgpr_workgroup_id_z 0
		.amdhsa_system_sgpr_workgroup_info 0
		.amdhsa_system_vgpr_workitem_id 0
		.amdhsa_next_free_vgpr 1
		.amdhsa_next_free_sgpr 1
		.amdhsa_reserve_vcc 0
		.amdhsa_float_round_mode_32 0
		.amdhsa_float_round_mode_16_64 0
		.amdhsa_float_denorm_mode_32 3
		.amdhsa_float_denorm_mode_16_64 3
		.amdhsa_dx10_clamp 1
		.amdhsa_ieee_mode 1
		.amdhsa_fp16_overflow 0
		.amdhsa_workgroup_processor_mode 1
		.amdhsa_memory_ordered 1
		.amdhsa_forward_progress 0
		.amdhsa_shared_vgpr_count 0
		.amdhsa_exception_fp_ieee_invalid_op 0
		.amdhsa_exception_fp_denorm_src 0
		.amdhsa_exception_fp_ieee_div_zero 0
		.amdhsa_exception_fp_ieee_overflow 0
		.amdhsa_exception_fp_ieee_underflow 0
		.amdhsa_exception_fp_ieee_inexact 0
		.amdhsa_exception_int_div_zero 0
	.end_amdhsa_kernel
	.section	.text._ZN7rocprim17ROCPRIM_400000_NS6detail17trampoline_kernelINS0_14default_configENS1_22reduce_config_selectorIbEEZNS1_11reduce_implILb1ES3_N6hipcub16HIPCUB_304000_NS22TransformInputIteratorIb7NonZeroIfEPflEEPllNS8_6detail34convert_binary_result_type_wrapperINS8_3SumESD_lEEEE10hipError_tPvRmT1_T2_T3_mT4_P12ihipStream_tbEUlT_E1_NS1_11comp_targetILNS1_3genE2ELNS1_11target_archE906ELNS1_3gpuE6ELNS1_3repE0EEENS1_30default_config_static_selectorELNS0_4arch9wavefront6targetE0EEEvSM_,"axG",@progbits,_ZN7rocprim17ROCPRIM_400000_NS6detail17trampoline_kernelINS0_14default_configENS1_22reduce_config_selectorIbEEZNS1_11reduce_implILb1ES3_N6hipcub16HIPCUB_304000_NS22TransformInputIteratorIb7NonZeroIfEPflEEPllNS8_6detail34convert_binary_result_type_wrapperINS8_3SumESD_lEEEE10hipError_tPvRmT1_T2_T3_mT4_P12ihipStream_tbEUlT_E1_NS1_11comp_targetILNS1_3genE2ELNS1_11target_archE906ELNS1_3gpuE6ELNS1_3repE0EEENS1_30default_config_static_selectorELNS0_4arch9wavefront6targetE0EEEvSM_,comdat
.Lfunc_end248:
	.size	_ZN7rocprim17ROCPRIM_400000_NS6detail17trampoline_kernelINS0_14default_configENS1_22reduce_config_selectorIbEEZNS1_11reduce_implILb1ES3_N6hipcub16HIPCUB_304000_NS22TransformInputIteratorIb7NonZeroIfEPflEEPllNS8_6detail34convert_binary_result_type_wrapperINS8_3SumESD_lEEEE10hipError_tPvRmT1_T2_T3_mT4_P12ihipStream_tbEUlT_E1_NS1_11comp_targetILNS1_3genE2ELNS1_11target_archE906ELNS1_3gpuE6ELNS1_3repE0EEENS1_30default_config_static_selectorELNS0_4arch9wavefront6targetE0EEEvSM_, .Lfunc_end248-_ZN7rocprim17ROCPRIM_400000_NS6detail17trampoline_kernelINS0_14default_configENS1_22reduce_config_selectorIbEEZNS1_11reduce_implILb1ES3_N6hipcub16HIPCUB_304000_NS22TransformInputIteratorIb7NonZeroIfEPflEEPllNS8_6detail34convert_binary_result_type_wrapperINS8_3SumESD_lEEEE10hipError_tPvRmT1_T2_T3_mT4_P12ihipStream_tbEUlT_E1_NS1_11comp_targetILNS1_3genE2ELNS1_11target_archE906ELNS1_3gpuE6ELNS1_3repE0EEENS1_30default_config_static_selectorELNS0_4arch9wavefront6targetE0EEEvSM_
                                        ; -- End function
	.section	.AMDGPU.csdata,"",@progbits
; Kernel info:
; codeLenInByte = 0
; NumSgprs: 0
; NumVgprs: 0
; ScratchSize: 0
; MemoryBound: 0
; FloatMode: 240
; IeeeMode: 1
; LDSByteSize: 0 bytes/workgroup (compile time only)
; SGPRBlocks: 0
; VGPRBlocks: 0
; NumSGPRsForWavesPerEU: 1
; NumVGPRsForWavesPerEU: 1
; Occupancy: 16
; WaveLimiterHint : 0
; COMPUTE_PGM_RSRC2:SCRATCH_EN: 0
; COMPUTE_PGM_RSRC2:USER_SGPR: 15
; COMPUTE_PGM_RSRC2:TRAP_HANDLER: 0
; COMPUTE_PGM_RSRC2:TGID_X_EN: 1
; COMPUTE_PGM_RSRC2:TGID_Y_EN: 0
; COMPUTE_PGM_RSRC2:TGID_Z_EN: 0
; COMPUTE_PGM_RSRC2:TIDIG_COMP_CNT: 0
	.section	.text._ZN7rocprim17ROCPRIM_400000_NS6detail17trampoline_kernelINS0_14default_configENS1_22reduce_config_selectorIbEEZNS1_11reduce_implILb1ES3_N6hipcub16HIPCUB_304000_NS22TransformInputIteratorIb7NonZeroIfEPflEEPllNS8_6detail34convert_binary_result_type_wrapperINS8_3SumESD_lEEEE10hipError_tPvRmT1_T2_T3_mT4_P12ihipStream_tbEUlT_E1_NS1_11comp_targetILNS1_3genE10ELNS1_11target_archE1201ELNS1_3gpuE5ELNS1_3repE0EEENS1_30default_config_static_selectorELNS0_4arch9wavefront6targetE0EEEvSM_,"axG",@progbits,_ZN7rocprim17ROCPRIM_400000_NS6detail17trampoline_kernelINS0_14default_configENS1_22reduce_config_selectorIbEEZNS1_11reduce_implILb1ES3_N6hipcub16HIPCUB_304000_NS22TransformInputIteratorIb7NonZeroIfEPflEEPllNS8_6detail34convert_binary_result_type_wrapperINS8_3SumESD_lEEEE10hipError_tPvRmT1_T2_T3_mT4_P12ihipStream_tbEUlT_E1_NS1_11comp_targetILNS1_3genE10ELNS1_11target_archE1201ELNS1_3gpuE5ELNS1_3repE0EEENS1_30default_config_static_selectorELNS0_4arch9wavefront6targetE0EEEvSM_,comdat
	.protected	_ZN7rocprim17ROCPRIM_400000_NS6detail17trampoline_kernelINS0_14default_configENS1_22reduce_config_selectorIbEEZNS1_11reduce_implILb1ES3_N6hipcub16HIPCUB_304000_NS22TransformInputIteratorIb7NonZeroIfEPflEEPllNS8_6detail34convert_binary_result_type_wrapperINS8_3SumESD_lEEEE10hipError_tPvRmT1_T2_T3_mT4_P12ihipStream_tbEUlT_E1_NS1_11comp_targetILNS1_3genE10ELNS1_11target_archE1201ELNS1_3gpuE5ELNS1_3repE0EEENS1_30default_config_static_selectorELNS0_4arch9wavefront6targetE0EEEvSM_ ; -- Begin function _ZN7rocprim17ROCPRIM_400000_NS6detail17trampoline_kernelINS0_14default_configENS1_22reduce_config_selectorIbEEZNS1_11reduce_implILb1ES3_N6hipcub16HIPCUB_304000_NS22TransformInputIteratorIb7NonZeroIfEPflEEPllNS8_6detail34convert_binary_result_type_wrapperINS8_3SumESD_lEEEE10hipError_tPvRmT1_T2_T3_mT4_P12ihipStream_tbEUlT_E1_NS1_11comp_targetILNS1_3genE10ELNS1_11target_archE1201ELNS1_3gpuE5ELNS1_3repE0EEENS1_30default_config_static_selectorELNS0_4arch9wavefront6targetE0EEEvSM_
	.globl	_ZN7rocprim17ROCPRIM_400000_NS6detail17trampoline_kernelINS0_14default_configENS1_22reduce_config_selectorIbEEZNS1_11reduce_implILb1ES3_N6hipcub16HIPCUB_304000_NS22TransformInputIteratorIb7NonZeroIfEPflEEPllNS8_6detail34convert_binary_result_type_wrapperINS8_3SumESD_lEEEE10hipError_tPvRmT1_T2_T3_mT4_P12ihipStream_tbEUlT_E1_NS1_11comp_targetILNS1_3genE10ELNS1_11target_archE1201ELNS1_3gpuE5ELNS1_3repE0EEENS1_30default_config_static_selectorELNS0_4arch9wavefront6targetE0EEEvSM_
	.p2align	8
	.type	_ZN7rocprim17ROCPRIM_400000_NS6detail17trampoline_kernelINS0_14default_configENS1_22reduce_config_selectorIbEEZNS1_11reduce_implILb1ES3_N6hipcub16HIPCUB_304000_NS22TransformInputIteratorIb7NonZeroIfEPflEEPllNS8_6detail34convert_binary_result_type_wrapperINS8_3SumESD_lEEEE10hipError_tPvRmT1_T2_T3_mT4_P12ihipStream_tbEUlT_E1_NS1_11comp_targetILNS1_3genE10ELNS1_11target_archE1201ELNS1_3gpuE5ELNS1_3repE0EEENS1_30default_config_static_selectorELNS0_4arch9wavefront6targetE0EEEvSM_,@function
_ZN7rocprim17ROCPRIM_400000_NS6detail17trampoline_kernelINS0_14default_configENS1_22reduce_config_selectorIbEEZNS1_11reduce_implILb1ES3_N6hipcub16HIPCUB_304000_NS22TransformInputIteratorIb7NonZeroIfEPflEEPllNS8_6detail34convert_binary_result_type_wrapperINS8_3SumESD_lEEEE10hipError_tPvRmT1_T2_T3_mT4_P12ihipStream_tbEUlT_E1_NS1_11comp_targetILNS1_3genE10ELNS1_11target_archE1201ELNS1_3gpuE5ELNS1_3repE0EEENS1_30default_config_static_selectorELNS0_4arch9wavefront6targetE0EEEvSM_: ; @_ZN7rocprim17ROCPRIM_400000_NS6detail17trampoline_kernelINS0_14default_configENS1_22reduce_config_selectorIbEEZNS1_11reduce_implILb1ES3_N6hipcub16HIPCUB_304000_NS22TransformInputIteratorIb7NonZeroIfEPflEEPllNS8_6detail34convert_binary_result_type_wrapperINS8_3SumESD_lEEEE10hipError_tPvRmT1_T2_T3_mT4_P12ihipStream_tbEUlT_E1_NS1_11comp_targetILNS1_3genE10ELNS1_11target_archE1201ELNS1_3gpuE5ELNS1_3repE0EEENS1_30default_config_static_selectorELNS0_4arch9wavefront6targetE0EEEvSM_
; %bb.0:
	.section	.rodata,"a",@progbits
	.p2align	6, 0x0
	.amdhsa_kernel _ZN7rocprim17ROCPRIM_400000_NS6detail17trampoline_kernelINS0_14default_configENS1_22reduce_config_selectorIbEEZNS1_11reduce_implILb1ES3_N6hipcub16HIPCUB_304000_NS22TransformInputIteratorIb7NonZeroIfEPflEEPllNS8_6detail34convert_binary_result_type_wrapperINS8_3SumESD_lEEEE10hipError_tPvRmT1_T2_T3_mT4_P12ihipStream_tbEUlT_E1_NS1_11comp_targetILNS1_3genE10ELNS1_11target_archE1201ELNS1_3gpuE5ELNS1_3repE0EEENS1_30default_config_static_selectorELNS0_4arch9wavefront6targetE0EEEvSM_
		.amdhsa_group_segment_fixed_size 0
		.amdhsa_private_segment_fixed_size 0
		.amdhsa_kernarg_size 56
		.amdhsa_user_sgpr_count 15
		.amdhsa_user_sgpr_dispatch_ptr 0
		.amdhsa_user_sgpr_queue_ptr 0
		.amdhsa_user_sgpr_kernarg_segment_ptr 1
		.amdhsa_user_sgpr_dispatch_id 0
		.amdhsa_user_sgpr_private_segment_size 0
		.amdhsa_wavefront_size32 1
		.amdhsa_uses_dynamic_stack 0
		.amdhsa_enable_private_segment 0
		.amdhsa_system_sgpr_workgroup_id_x 1
		.amdhsa_system_sgpr_workgroup_id_y 0
		.amdhsa_system_sgpr_workgroup_id_z 0
		.amdhsa_system_sgpr_workgroup_info 0
		.amdhsa_system_vgpr_workitem_id 0
		.amdhsa_next_free_vgpr 1
		.amdhsa_next_free_sgpr 1
		.amdhsa_reserve_vcc 0
		.amdhsa_float_round_mode_32 0
		.amdhsa_float_round_mode_16_64 0
		.amdhsa_float_denorm_mode_32 3
		.amdhsa_float_denorm_mode_16_64 3
		.amdhsa_dx10_clamp 1
		.amdhsa_ieee_mode 1
		.amdhsa_fp16_overflow 0
		.amdhsa_workgroup_processor_mode 1
		.amdhsa_memory_ordered 1
		.amdhsa_forward_progress 0
		.amdhsa_shared_vgpr_count 0
		.amdhsa_exception_fp_ieee_invalid_op 0
		.amdhsa_exception_fp_denorm_src 0
		.amdhsa_exception_fp_ieee_div_zero 0
		.amdhsa_exception_fp_ieee_overflow 0
		.amdhsa_exception_fp_ieee_underflow 0
		.amdhsa_exception_fp_ieee_inexact 0
		.amdhsa_exception_int_div_zero 0
	.end_amdhsa_kernel
	.section	.text._ZN7rocprim17ROCPRIM_400000_NS6detail17trampoline_kernelINS0_14default_configENS1_22reduce_config_selectorIbEEZNS1_11reduce_implILb1ES3_N6hipcub16HIPCUB_304000_NS22TransformInputIteratorIb7NonZeroIfEPflEEPllNS8_6detail34convert_binary_result_type_wrapperINS8_3SumESD_lEEEE10hipError_tPvRmT1_T2_T3_mT4_P12ihipStream_tbEUlT_E1_NS1_11comp_targetILNS1_3genE10ELNS1_11target_archE1201ELNS1_3gpuE5ELNS1_3repE0EEENS1_30default_config_static_selectorELNS0_4arch9wavefront6targetE0EEEvSM_,"axG",@progbits,_ZN7rocprim17ROCPRIM_400000_NS6detail17trampoline_kernelINS0_14default_configENS1_22reduce_config_selectorIbEEZNS1_11reduce_implILb1ES3_N6hipcub16HIPCUB_304000_NS22TransformInputIteratorIb7NonZeroIfEPflEEPllNS8_6detail34convert_binary_result_type_wrapperINS8_3SumESD_lEEEE10hipError_tPvRmT1_T2_T3_mT4_P12ihipStream_tbEUlT_E1_NS1_11comp_targetILNS1_3genE10ELNS1_11target_archE1201ELNS1_3gpuE5ELNS1_3repE0EEENS1_30default_config_static_selectorELNS0_4arch9wavefront6targetE0EEEvSM_,comdat
.Lfunc_end249:
	.size	_ZN7rocprim17ROCPRIM_400000_NS6detail17trampoline_kernelINS0_14default_configENS1_22reduce_config_selectorIbEEZNS1_11reduce_implILb1ES3_N6hipcub16HIPCUB_304000_NS22TransformInputIteratorIb7NonZeroIfEPflEEPllNS8_6detail34convert_binary_result_type_wrapperINS8_3SumESD_lEEEE10hipError_tPvRmT1_T2_T3_mT4_P12ihipStream_tbEUlT_E1_NS1_11comp_targetILNS1_3genE10ELNS1_11target_archE1201ELNS1_3gpuE5ELNS1_3repE0EEENS1_30default_config_static_selectorELNS0_4arch9wavefront6targetE0EEEvSM_, .Lfunc_end249-_ZN7rocprim17ROCPRIM_400000_NS6detail17trampoline_kernelINS0_14default_configENS1_22reduce_config_selectorIbEEZNS1_11reduce_implILb1ES3_N6hipcub16HIPCUB_304000_NS22TransformInputIteratorIb7NonZeroIfEPflEEPllNS8_6detail34convert_binary_result_type_wrapperINS8_3SumESD_lEEEE10hipError_tPvRmT1_T2_T3_mT4_P12ihipStream_tbEUlT_E1_NS1_11comp_targetILNS1_3genE10ELNS1_11target_archE1201ELNS1_3gpuE5ELNS1_3repE0EEENS1_30default_config_static_selectorELNS0_4arch9wavefront6targetE0EEEvSM_
                                        ; -- End function
	.section	.AMDGPU.csdata,"",@progbits
; Kernel info:
; codeLenInByte = 0
; NumSgprs: 0
; NumVgprs: 0
; ScratchSize: 0
; MemoryBound: 0
; FloatMode: 240
; IeeeMode: 1
; LDSByteSize: 0 bytes/workgroup (compile time only)
; SGPRBlocks: 0
; VGPRBlocks: 0
; NumSGPRsForWavesPerEU: 1
; NumVGPRsForWavesPerEU: 1
; Occupancy: 16
; WaveLimiterHint : 0
; COMPUTE_PGM_RSRC2:SCRATCH_EN: 0
; COMPUTE_PGM_RSRC2:USER_SGPR: 15
; COMPUTE_PGM_RSRC2:TRAP_HANDLER: 0
; COMPUTE_PGM_RSRC2:TGID_X_EN: 1
; COMPUTE_PGM_RSRC2:TGID_Y_EN: 0
; COMPUTE_PGM_RSRC2:TGID_Z_EN: 0
; COMPUTE_PGM_RSRC2:TIDIG_COMP_CNT: 0
	.section	.text._ZN7rocprim17ROCPRIM_400000_NS6detail17trampoline_kernelINS0_14default_configENS1_22reduce_config_selectorIbEEZNS1_11reduce_implILb1ES3_N6hipcub16HIPCUB_304000_NS22TransformInputIteratorIb7NonZeroIfEPflEEPllNS8_6detail34convert_binary_result_type_wrapperINS8_3SumESD_lEEEE10hipError_tPvRmT1_T2_T3_mT4_P12ihipStream_tbEUlT_E1_NS1_11comp_targetILNS1_3genE10ELNS1_11target_archE1200ELNS1_3gpuE4ELNS1_3repE0EEENS1_30default_config_static_selectorELNS0_4arch9wavefront6targetE0EEEvSM_,"axG",@progbits,_ZN7rocprim17ROCPRIM_400000_NS6detail17trampoline_kernelINS0_14default_configENS1_22reduce_config_selectorIbEEZNS1_11reduce_implILb1ES3_N6hipcub16HIPCUB_304000_NS22TransformInputIteratorIb7NonZeroIfEPflEEPllNS8_6detail34convert_binary_result_type_wrapperINS8_3SumESD_lEEEE10hipError_tPvRmT1_T2_T3_mT4_P12ihipStream_tbEUlT_E1_NS1_11comp_targetILNS1_3genE10ELNS1_11target_archE1200ELNS1_3gpuE4ELNS1_3repE0EEENS1_30default_config_static_selectorELNS0_4arch9wavefront6targetE0EEEvSM_,comdat
	.protected	_ZN7rocprim17ROCPRIM_400000_NS6detail17trampoline_kernelINS0_14default_configENS1_22reduce_config_selectorIbEEZNS1_11reduce_implILb1ES3_N6hipcub16HIPCUB_304000_NS22TransformInputIteratorIb7NonZeroIfEPflEEPllNS8_6detail34convert_binary_result_type_wrapperINS8_3SumESD_lEEEE10hipError_tPvRmT1_T2_T3_mT4_P12ihipStream_tbEUlT_E1_NS1_11comp_targetILNS1_3genE10ELNS1_11target_archE1200ELNS1_3gpuE4ELNS1_3repE0EEENS1_30default_config_static_selectorELNS0_4arch9wavefront6targetE0EEEvSM_ ; -- Begin function _ZN7rocprim17ROCPRIM_400000_NS6detail17trampoline_kernelINS0_14default_configENS1_22reduce_config_selectorIbEEZNS1_11reduce_implILb1ES3_N6hipcub16HIPCUB_304000_NS22TransformInputIteratorIb7NonZeroIfEPflEEPllNS8_6detail34convert_binary_result_type_wrapperINS8_3SumESD_lEEEE10hipError_tPvRmT1_T2_T3_mT4_P12ihipStream_tbEUlT_E1_NS1_11comp_targetILNS1_3genE10ELNS1_11target_archE1200ELNS1_3gpuE4ELNS1_3repE0EEENS1_30default_config_static_selectorELNS0_4arch9wavefront6targetE0EEEvSM_
	.globl	_ZN7rocprim17ROCPRIM_400000_NS6detail17trampoline_kernelINS0_14default_configENS1_22reduce_config_selectorIbEEZNS1_11reduce_implILb1ES3_N6hipcub16HIPCUB_304000_NS22TransformInputIteratorIb7NonZeroIfEPflEEPllNS8_6detail34convert_binary_result_type_wrapperINS8_3SumESD_lEEEE10hipError_tPvRmT1_T2_T3_mT4_P12ihipStream_tbEUlT_E1_NS1_11comp_targetILNS1_3genE10ELNS1_11target_archE1200ELNS1_3gpuE4ELNS1_3repE0EEENS1_30default_config_static_selectorELNS0_4arch9wavefront6targetE0EEEvSM_
	.p2align	8
	.type	_ZN7rocprim17ROCPRIM_400000_NS6detail17trampoline_kernelINS0_14default_configENS1_22reduce_config_selectorIbEEZNS1_11reduce_implILb1ES3_N6hipcub16HIPCUB_304000_NS22TransformInputIteratorIb7NonZeroIfEPflEEPllNS8_6detail34convert_binary_result_type_wrapperINS8_3SumESD_lEEEE10hipError_tPvRmT1_T2_T3_mT4_P12ihipStream_tbEUlT_E1_NS1_11comp_targetILNS1_3genE10ELNS1_11target_archE1200ELNS1_3gpuE4ELNS1_3repE0EEENS1_30default_config_static_selectorELNS0_4arch9wavefront6targetE0EEEvSM_,@function
_ZN7rocprim17ROCPRIM_400000_NS6detail17trampoline_kernelINS0_14default_configENS1_22reduce_config_selectorIbEEZNS1_11reduce_implILb1ES3_N6hipcub16HIPCUB_304000_NS22TransformInputIteratorIb7NonZeroIfEPflEEPllNS8_6detail34convert_binary_result_type_wrapperINS8_3SumESD_lEEEE10hipError_tPvRmT1_T2_T3_mT4_P12ihipStream_tbEUlT_E1_NS1_11comp_targetILNS1_3genE10ELNS1_11target_archE1200ELNS1_3gpuE4ELNS1_3repE0EEENS1_30default_config_static_selectorELNS0_4arch9wavefront6targetE0EEEvSM_: ; @_ZN7rocprim17ROCPRIM_400000_NS6detail17trampoline_kernelINS0_14default_configENS1_22reduce_config_selectorIbEEZNS1_11reduce_implILb1ES3_N6hipcub16HIPCUB_304000_NS22TransformInputIteratorIb7NonZeroIfEPflEEPllNS8_6detail34convert_binary_result_type_wrapperINS8_3SumESD_lEEEE10hipError_tPvRmT1_T2_T3_mT4_P12ihipStream_tbEUlT_E1_NS1_11comp_targetILNS1_3genE10ELNS1_11target_archE1200ELNS1_3gpuE4ELNS1_3repE0EEENS1_30default_config_static_selectorELNS0_4arch9wavefront6targetE0EEEvSM_
; %bb.0:
	.section	.rodata,"a",@progbits
	.p2align	6, 0x0
	.amdhsa_kernel _ZN7rocprim17ROCPRIM_400000_NS6detail17trampoline_kernelINS0_14default_configENS1_22reduce_config_selectorIbEEZNS1_11reduce_implILb1ES3_N6hipcub16HIPCUB_304000_NS22TransformInputIteratorIb7NonZeroIfEPflEEPllNS8_6detail34convert_binary_result_type_wrapperINS8_3SumESD_lEEEE10hipError_tPvRmT1_T2_T3_mT4_P12ihipStream_tbEUlT_E1_NS1_11comp_targetILNS1_3genE10ELNS1_11target_archE1200ELNS1_3gpuE4ELNS1_3repE0EEENS1_30default_config_static_selectorELNS0_4arch9wavefront6targetE0EEEvSM_
		.amdhsa_group_segment_fixed_size 0
		.amdhsa_private_segment_fixed_size 0
		.amdhsa_kernarg_size 56
		.amdhsa_user_sgpr_count 15
		.amdhsa_user_sgpr_dispatch_ptr 0
		.amdhsa_user_sgpr_queue_ptr 0
		.amdhsa_user_sgpr_kernarg_segment_ptr 1
		.amdhsa_user_sgpr_dispatch_id 0
		.amdhsa_user_sgpr_private_segment_size 0
		.amdhsa_wavefront_size32 1
		.amdhsa_uses_dynamic_stack 0
		.amdhsa_enable_private_segment 0
		.amdhsa_system_sgpr_workgroup_id_x 1
		.amdhsa_system_sgpr_workgroup_id_y 0
		.amdhsa_system_sgpr_workgroup_id_z 0
		.amdhsa_system_sgpr_workgroup_info 0
		.amdhsa_system_vgpr_workitem_id 0
		.amdhsa_next_free_vgpr 1
		.amdhsa_next_free_sgpr 1
		.amdhsa_reserve_vcc 0
		.amdhsa_float_round_mode_32 0
		.amdhsa_float_round_mode_16_64 0
		.amdhsa_float_denorm_mode_32 3
		.amdhsa_float_denorm_mode_16_64 3
		.amdhsa_dx10_clamp 1
		.amdhsa_ieee_mode 1
		.amdhsa_fp16_overflow 0
		.amdhsa_workgroup_processor_mode 1
		.amdhsa_memory_ordered 1
		.amdhsa_forward_progress 0
		.amdhsa_shared_vgpr_count 0
		.amdhsa_exception_fp_ieee_invalid_op 0
		.amdhsa_exception_fp_denorm_src 0
		.amdhsa_exception_fp_ieee_div_zero 0
		.amdhsa_exception_fp_ieee_overflow 0
		.amdhsa_exception_fp_ieee_underflow 0
		.amdhsa_exception_fp_ieee_inexact 0
		.amdhsa_exception_int_div_zero 0
	.end_amdhsa_kernel
	.section	.text._ZN7rocprim17ROCPRIM_400000_NS6detail17trampoline_kernelINS0_14default_configENS1_22reduce_config_selectorIbEEZNS1_11reduce_implILb1ES3_N6hipcub16HIPCUB_304000_NS22TransformInputIteratorIb7NonZeroIfEPflEEPllNS8_6detail34convert_binary_result_type_wrapperINS8_3SumESD_lEEEE10hipError_tPvRmT1_T2_T3_mT4_P12ihipStream_tbEUlT_E1_NS1_11comp_targetILNS1_3genE10ELNS1_11target_archE1200ELNS1_3gpuE4ELNS1_3repE0EEENS1_30default_config_static_selectorELNS0_4arch9wavefront6targetE0EEEvSM_,"axG",@progbits,_ZN7rocprim17ROCPRIM_400000_NS6detail17trampoline_kernelINS0_14default_configENS1_22reduce_config_selectorIbEEZNS1_11reduce_implILb1ES3_N6hipcub16HIPCUB_304000_NS22TransformInputIteratorIb7NonZeroIfEPflEEPllNS8_6detail34convert_binary_result_type_wrapperINS8_3SumESD_lEEEE10hipError_tPvRmT1_T2_T3_mT4_P12ihipStream_tbEUlT_E1_NS1_11comp_targetILNS1_3genE10ELNS1_11target_archE1200ELNS1_3gpuE4ELNS1_3repE0EEENS1_30default_config_static_selectorELNS0_4arch9wavefront6targetE0EEEvSM_,comdat
.Lfunc_end250:
	.size	_ZN7rocprim17ROCPRIM_400000_NS6detail17trampoline_kernelINS0_14default_configENS1_22reduce_config_selectorIbEEZNS1_11reduce_implILb1ES3_N6hipcub16HIPCUB_304000_NS22TransformInputIteratorIb7NonZeroIfEPflEEPllNS8_6detail34convert_binary_result_type_wrapperINS8_3SumESD_lEEEE10hipError_tPvRmT1_T2_T3_mT4_P12ihipStream_tbEUlT_E1_NS1_11comp_targetILNS1_3genE10ELNS1_11target_archE1200ELNS1_3gpuE4ELNS1_3repE0EEENS1_30default_config_static_selectorELNS0_4arch9wavefront6targetE0EEEvSM_, .Lfunc_end250-_ZN7rocprim17ROCPRIM_400000_NS6detail17trampoline_kernelINS0_14default_configENS1_22reduce_config_selectorIbEEZNS1_11reduce_implILb1ES3_N6hipcub16HIPCUB_304000_NS22TransformInputIteratorIb7NonZeroIfEPflEEPllNS8_6detail34convert_binary_result_type_wrapperINS8_3SumESD_lEEEE10hipError_tPvRmT1_T2_T3_mT4_P12ihipStream_tbEUlT_E1_NS1_11comp_targetILNS1_3genE10ELNS1_11target_archE1200ELNS1_3gpuE4ELNS1_3repE0EEENS1_30default_config_static_selectorELNS0_4arch9wavefront6targetE0EEEvSM_
                                        ; -- End function
	.section	.AMDGPU.csdata,"",@progbits
; Kernel info:
; codeLenInByte = 0
; NumSgprs: 0
; NumVgprs: 0
; ScratchSize: 0
; MemoryBound: 0
; FloatMode: 240
; IeeeMode: 1
; LDSByteSize: 0 bytes/workgroup (compile time only)
; SGPRBlocks: 0
; VGPRBlocks: 0
; NumSGPRsForWavesPerEU: 1
; NumVGPRsForWavesPerEU: 1
; Occupancy: 16
; WaveLimiterHint : 0
; COMPUTE_PGM_RSRC2:SCRATCH_EN: 0
; COMPUTE_PGM_RSRC2:USER_SGPR: 15
; COMPUTE_PGM_RSRC2:TRAP_HANDLER: 0
; COMPUTE_PGM_RSRC2:TGID_X_EN: 1
; COMPUTE_PGM_RSRC2:TGID_Y_EN: 0
; COMPUTE_PGM_RSRC2:TGID_Z_EN: 0
; COMPUTE_PGM_RSRC2:TIDIG_COMP_CNT: 0
	.section	.text._ZN7rocprim17ROCPRIM_400000_NS6detail17trampoline_kernelINS0_14default_configENS1_22reduce_config_selectorIbEEZNS1_11reduce_implILb1ES3_N6hipcub16HIPCUB_304000_NS22TransformInputIteratorIb7NonZeroIfEPflEEPllNS8_6detail34convert_binary_result_type_wrapperINS8_3SumESD_lEEEE10hipError_tPvRmT1_T2_T3_mT4_P12ihipStream_tbEUlT_E1_NS1_11comp_targetILNS1_3genE9ELNS1_11target_archE1100ELNS1_3gpuE3ELNS1_3repE0EEENS1_30default_config_static_selectorELNS0_4arch9wavefront6targetE0EEEvSM_,"axG",@progbits,_ZN7rocprim17ROCPRIM_400000_NS6detail17trampoline_kernelINS0_14default_configENS1_22reduce_config_selectorIbEEZNS1_11reduce_implILb1ES3_N6hipcub16HIPCUB_304000_NS22TransformInputIteratorIb7NonZeroIfEPflEEPllNS8_6detail34convert_binary_result_type_wrapperINS8_3SumESD_lEEEE10hipError_tPvRmT1_T2_T3_mT4_P12ihipStream_tbEUlT_E1_NS1_11comp_targetILNS1_3genE9ELNS1_11target_archE1100ELNS1_3gpuE3ELNS1_3repE0EEENS1_30default_config_static_selectorELNS0_4arch9wavefront6targetE0EEEvSM_,comdat
	.protected	_ZN7rocprim17ROCPRIM_400000_NS6detail17trampoline_kernelINS0_14default_configENS1_22reduce_config_selectorIbEEZNS1_11reduce_implILb1ES3_N6hipcub16HIPCUB_304000_NS22TransformInputIteratorIb7NonZeroIfEPflEEPllNS8_6detail34convert_binary_result_type_wrapperINS8_3SumESD_lEEEE10hipError_tPvRmT1_T2_T3_mT4_P12ihipStream_tbEUlT_E1_NS1_11comp_targetILNS1_3genE9ELNS1_11target_archE1100ELNS1_3gpuE3ELNS1_3repE0EEENS1_30default_config_static_selectorELNS0_4arch9wavefront6targetE0EEEvSM_ ; -- Begin function _ZN7rocprim17ROCPRIM_400000_NS6detail17trampoline_kernelINS0_14default_configENS1_22reduce_config_selectorIbEEZNS1_11reduce_implILb1ES3_N6hipcub16HIPCUB_304000_NS22TransformInputIteratorIb7NonZeroIfEPflEEPllNS8_6detail34convert_binary_result_type_wrapperINS8_3SumESD_lEEEE10hipError_tPvRmT1_T2_T3_mT4_P12ihipStream_tbEUlT_E1_NS1_11comp_targetILNS1_3genE9ELNS1_11target_archE1100ELNS1_3gpuE3ELNS1_3repE0EEENS1_30default_config_static_selectorELNS0_4arch9wavefront6targetE0EEEvSM_
	.globl	_ZN7rocprim17ROCPRIM_400000_NS6detail17trampoline_kernelINS0_14default_configENS1_22reduce_config_selectorIbEEZNS1_11reduce_implILb1ES3_N6hipcub16HIPCUB_304000_NS22TransformInputIteratorIb7NonZeroIfEPflEEPllNS8_6detail34convert_binary_result_type_wrapperINS8_3SumESD_lEEEE10hipError_tPvRmT1_T2_T3_mT4_P12ihipStream_tbEUlT_E1_NS1_11comp_targetILNS1_3genE9ELNS1_11target_archE1100ELNS1_3gpuE3ELNS1_3repE0EEENS1_30default_config_static_selectorELNS0_4arch9wavefront6targetE0EEEvSM_
	.p2align	8
	.type	_ZN7rocprim17ROCPRIM_400000_NS6detail17trampoline_kernelINS0_14default_configENS1_22reduce_config_selectorIbEEZNS1_11reduce_implILb1ES3_N6hipcub16HIPCUB_304000_NS22TransformInputIteratorIb7NonZeroIfEPflEEPllNS8_6detail34convert_binary_result_type_wrapperINS8_3SumESD_lEEEE10hipError_tPvRmT1_T2_T3_mT4_P12ihipStream_tbEUlT_E1_NS1_11comp_targetILNS1_3genE9ELNS1_11target_archE1100ELNS1_3gpuE3ELNS1_3repE0EEENS1_30default_config_static_selectorELNS0_4arch9wavefront6targetE0EEEvSM_,@function
_ZN7rocprim17ROCPRIM_400000_NS6detail17trampoline_kernelINS0_14default_configENS1_22reduce_config_selectorIbEEZNS1_11reduce_implILb1ES3_N6hipcub16HIPCUB_304000_NS22TransformInputIteratorIb7NonZeroIfEPflEEPllNS8_6detail34convert_binary_result_type_wrapperINS8_3SumESD_lEEEE10hipError_tPvRmT1_T2_T3_mT4_P12ihipStream_tbEUlT_E1_NS1_11comp_targetILNS1_3genE9ELNS1_11target_archE1100ELNS1_3gpuE3ELNS1_3repE0EEENS1_30default_config_static_selectorELNS0_4arch9wavefront6targetE0EEEvSM_: ; @_ZN7rocprim17ROCPRIM_400000_NS6detail17trampoline_kernelINS0_14default_configENS1_22reduce_config_selectorIbEEZNS1_11reduce_implILb1ES3_N6hipcub16HIPCUB_304000_NS22TransformInputIteratorIb7NonZeroIfEPflEEPllNS8_6detail34convert_binary_result_type_wrapperINS8_3SumESD_lEEEE10hipError_tPvRmT1_T2_T3_mT4_P12ihipStream_tbEUlT_E1_NS1_11comp_targetILNS1_3genE9ELNS1_11target_archE1100ELNS1_3gpuE3ELNS1_3repE0EEENS1_30default_config_static_selectorELNS0_4arch9wavefront6targetE0EEEvSM_
; %bb.0:
	s_clause 0x2
	s_load_b32 s26, s[0:1], 0x4
	s_load_b64 s[24:25], s[0:1], 0x8
	s_load_b128 s[20:23], s[0:1], 0x18
	s_mov_b32 s18, s15
	s_waitcnt lgkmcnt(0)
	s_cmp_lt_i32 s26, 16
	s_cbranch_scc1 .LBB251_11
; %bb.1:
	s_cmp_gt_i32 s26, 63
	s_cbranch_scc0 .LBB251_12
; %bb.2:
	s_cmpk_gt_i32 s26, 0x7f
	s_cbranch_scc0 .LBB251_13
; %bb.3:
	s_mov_b32 s3, 0
	s_cmpk_eq_i32 s26, 0x80
	s_mov_b32 s2, 0
                                        ; implicit-def: $vgpr1_vgpr2
	s_cbranch_scc0 .LBB251_14
; %bb.4:
	s_mov_b32 s19, 0
	s_lshl_b32 s6, s18, 14
	s_mov_b32 s7, s19
	s_lshr_b64 s[8:9], s[20:21], 14
	s_lshl_b64 s[4:5], s[6:7], 2
	s_delay_alu instid0(SALU_CYCLE_1)
	s_add_u32 s4, s24, s4
	s_addc_u32 s5, s25, s5
	s_cmp_lg_u64 s[8:9], s[18:19]
	s_cbranch_scc0 .LBB251_22
; %bb.5:
	v_lshlrev_b32_e32 v5, 2, v0
	s_clause 0x5
	global_load_b32 v11, v5, s[4:5]
	global_load_b32 v14, v5, s[4:5] offset:512
	global_load_b32 v8, v5, s[4:5] offset:1024
	;; [unrolled: 1-line block ×5, first 2 shown]
	v_add_co_u32 v61, s2, s4, v5
	s_delay_alu instid0(VALU_DEP_1)
	v_add_co_ci_u32_e64 v62, null, s5, 0, s2
	global_load_b32 v3, v5, s[4:5] offset:3072
	v_add_co_u32 v16, vcc_lo, v61, 0x2000
	v_add_co_ci_u32_e32 v17, vcc_lo, 0, v62, vcc_lo
	s_clause 0x1
	global_load_b32 v23, v5, s[4:5] offset:3584
	global_load_b32 v20, v[16:17], off offset:-4096
	v_add_co_u32 v5, vcc_lo, 0x1000, v61
	v_add_co_ci_u32_e32 v6, vcc_lo, 0, v62, vcc_lo
	v_add_co_u32 v25, vcc_lo, 0x2000, v61
	s_clause 0x7
	global_load_b32 v24, v[5:6], off offset:512
	global_load_b32 v21, v[5:6], off offset:1024
	;; [unrolled: 1-line block ×7, first 2 shown]
	global_load_b32 v16, v[16:17], off
	v_add_co_ci_u32_e32 v26, vcc_lo, 0, v62, vcc_lo
	s_clause 0x5
	global_load_b32 v19, v[25:26], off offset:512
	global_load_b32 v17, v[25:26], off offset:1024
	global_load_b32 v13, v[25:26], off offset:1536
	global_load_b32 v10, v[25:26], off offset:2048
	global_load_b32 v7, v[25:26], off offset:2560
	global_load_b32 v5, v[25:26], off offset:3072
	v_add_co_u32 v31, vcc_lo, v61, 0x4000
	v_add_co_ci_u32_e32 v32, vcc_lo, 0, v62, vcc_lo
	s_clause 0x1
	global_load_b32 v27, v[25:26], off offset:3584
	global_load_b32 v25, v[31:32], off offset:-4096
	v_add_co_u32 v33, vcc_lo, 0x3000, v61
	v_add_co_ci_u32_e32 v34, vcc_lo, 0, v62, vcc_lo
	s_clause 0x6
	global_load_b32 v28, v[33:34], off offset:512
	global_load_b32 v26, v[33:34], off offset:1024
	;; [unrolled: 1-line block ×7, first 2 shown]
	v_add_co_u32 v35, vcc_lo, 0x4000, v61
	v_add_co_ci_u32_e32 v36, vcc_lo, 0, v62, vcc_lo
	v_add_co_u32 v37, vcc_lo, 0x5000, v61
	v_add_co_ci_u32_e32 v38, vcc_lo, 0, v62, vcc_lo
	s_clause 0x7
	global_load_b32 v66, v[35:36], off offset:512
	global_load_b32 v67, v[35:36], off offset:1024
	;; [unrolled: 1-line block ×3, first 2 shown]
	global_load_b32 v65, v[31:32], off
	global_load_b32 v69, v[35:36], off offset:2048
	global_load_b32 v70, v[35:36], off offset:2560
	;; [unrolled: 1-line block ×4, first 2 shown]
	v_add_co_u32 v39, vcc_lo, v61, 0x6000
	v_add_co_ci_u32_e32 v40, vcc_lo, 0, v62, vcc_lo
	v_add_co_u32 v41, vcc_lo, 0x6000, v61
	v_add_co_ci_u32_e32 v42, vcc_lo, 0, v62, vcc_lo
	global_load_b32 v73, v[39:40], off offset:-4096
	v_add_co_u32 v43, vcc_lo, 0x7000, v61
	v_add_co_ci_u32_e32 v44, vcc_lo, 0, v62, vcc_lo
	v_add_co_u32 v33, vcc_lo, v61, 0x8000
	v_add_co_ci_u32_e32 v34, vcc_lo, 0, v62, vcc_lo
	;; [unrolled: 2-line block ×13, first 2 shown]
	s_clause 0x1f
	global_load_b32 v74, v[37:38], off offset:512
	global_load_b32 v75, v[37:38], off offset:1024
	;; [unrolled: 1-line block ×4, first 2 shown]
	global_load_b32 v39, v[39:40], off
	global_load_b32 v40, v[37:38], off offset:2560
	global_load_b32 v78, v[37:38], off offset:3072
	;; [unrolled: 1-line block ×27, first 2 shown]
	s_clause 0x1f
	global_load_b32 v96, v[45:46], off offset:2048
	global_load_b32 v97, v[45:46], off offset:2560
	;; [unrolled: 1-line block ×29, first 2 shown]
	global_load_b32 v117, v[33:34], off offset:-4096
	global_load_b32 v33, v[33:34], off
	global_load_b32 v34, v[47:48], off offset:-4096
	s_clause 0x16
	global_load_b32 v47, v[47:48], off
	global_load_b32 v48, v[53:54], off offset:-4096
	global_load_b32 v53, v[53:54], off
	global_load_b32 v54, v[59:60], off offset:-4096
	global_load_b32 v59, v[59:60], off
	global_load_b32 v60, v[57:58], off offset:2560
	global_load_b32 v118, v[57:58], off offset:3072
	;; [unrolled: 1-line block ×10, first 2 shown]
	global_load_b32 v36, v[61:62], off
	global_load_b32 v124, v[61:62], off offset:512
	global_load_b32 v125, v[61:62], off offset:1024
	;; [unrolled: 1-line block ×7, first 2 shown]
	s_waitcnt vmcnt(62)
	v_cmp_neq_f32_e32 vcc_lo, 0, v11
	v_cndmask_b32_e64 v11, 0, 1, vcc_lo
	v_cmp_neq_f32_e32 vcc_lo, 0, v14
	v_cndmask_b32_e64 v14, 0, 1, vcc_lo
	v_cmp_neq_f32_e32 vcc_lo, 0, v8
	s_delay_alu instid0(VALU_DEP_2)
	v_add_co_u32 v11, s2, v14, v11
	v_cndmask_b32_e64 v8, 0, 1, vcc_lo
	v_cmp_neq_f32_e32 vcc_lo, 0, v4
	v_add_co_ci_u32_e64 v14, null, 0, 0, s2
	v_cmp_neq_f32_e64 s2, 0, v2
	v_cndmask_b32_e64 v4, 0, 1, vcc_lo
	v_add_co_u32 v8, vcc_lo, v11, v8
	s_delay_alu instid0(VALU_DEP_4) | instskip(NEXT) | instid1(VALU_DEP_4)
	v_add_co_ci_u32_e32 v11, vcc_lo, 0, v14, vcc_lo
	v_cndmask_b32_e64 v2, 0, 1, s2
	s_delay_alu instid0(VALU_DEP_3) | instskip(SKIP_1) | instid1(VALU_DEP_4)
	v_add_co_u32 v4, vcc_lo, v8, v4
	v_cmp_neq_f32_e64 s2, 0, v1
	v_add_co_ci_u32_e32 v8, vcc_lo, 0, v11, vcc_lo
	s_delay_alu instid0(VALU_DEP_3) | instskip(NEXT) | instid1(VALU_DEP_3)
	v_add_co_u32 v2, vcc_lo, v4, v2
	v_cndmask_b32_e64 v1, 0, 1, s2
	v_cmp_neq_f32_e64 s2, 0, v3
	s_delay_alu instid0(VALU_DEP_4) | instskip(NEXT) | instid1(VALU_DEP_3)
	v_add_co_ci_u32_e32 v4, vcc_lo, 0, v8, vcc_lo
	v_add_co_u32 v1, vcc_lo, v2, v1
	s_delay_alu instid0(VALU_DEP_3) | instskip(SKIP_1) | instid1(VALU_DEP_4)
	v_cndmask_b32_e64 v3, 0, 1, s2
	v_cmp_neq_f32_e64 s2, 0, v23
	v_add_co_ci_u32_e32 v4, vcc_lo, 0, v4, vcc_lo
	s_delay_alu instid0(VALU_DEP_3) | instskip(NEXT) | instid1(VALU_DEP_3)
	v_add_co_u32 v1, vcc_lo, v1, v3
	v_cndmask_b32_e64 v2, 0, 1, s2
	v_cmp_neq_f32_e64 s2, 0, v20
	s_delay_alu instid0(VALU_DEP_4) | instskip(NEXT) | instid1(VALU_DEP_3)
	v_add_co_ci_u32_e32 v4, vcc_lo, 0, v4, vcc_lo
	v_add_co_u32 v1, vcc_lo, v1, v2
	s_delay_alu instid0(VALU_DEP_3) | instskip(SKIP_1) | instid1(VALU_DEP_4)
	v_cndmask_b32_e64 v3, 0, 1, s2
	v_cmp_neq_f32_e64 s2, 0, v24
	v_add_co_ci_u32_e32 v4, vcc_lo, 0, v4, vcc_lo
	s_delay_alu instid0(VALU_DEP_3) | instskip(NEXT) | instid1(VALU_DEP_3)
	v_add_co_u32 v1, vcc_lo, v1, v3
	v_cndmask_b32_e64 v2, 0, 1, s2
	v_cmp_neq_f32_e64 s2, 0, v21
	s_delay_alu instid0(VALU_DEP_4) | instskip(NEXT) | instid1(VALU_DEP_3)
	v_add_co_ci_u32_e32 v4, vcc_lo, 0, v4, vcc_lo
	v_add_co_u32 v1, vcc_lo, v1, v2
	s_delay_alu instid0(VALU_DEP_3) | instskip(SKIP_1) | instid1(VALU_DEP_4)
	v_cndmask_b32_e64 v3, 0, 1, s2
	v_cmp_neq_f32_e64 s2, 0, v18
	v_add_co_ci_u32_e32 v4, vcc_lo, 0, v4, vcc_lo
	s_delay_alu instid0(VALU_DEP_3) | instskip(NEXT) | instid1(VALU_DEP_3)
	v_add_co_u32 v1, vcc_lo, v1, v3
	v_cndmask_b32_e64 v2, 0, 1, s2
	v_cmp_neq_f32_e64 s2, 0, v15
	s_delay_alu instid0(VALU_DEP_4) | instskip(NEXT) | instid1(VALU_DEP_3)
	v_add_co_ci_u32_e32 v4, vcc_lo, 0, v4, vcc_lo
	v_add_co_u32 v1, vcc_lo, v1, v2
	s_delay_alu instid0(VALU_DEP_3) | instskip(SKIP_1) | instid1(VALU_DEP_4)
	v_cndmask_b32_e64 v3, 0, 1, s2
	v_cmp_neq_f32_e64 s2, 0, v12
	v_add_co_ci_u32_e32 v4, vcc_lo, 0, v4, vcc_lo
	s_delay_alu instid0(VALU_DEP_3) | instskip(NEXT) | instid1(VALU_DEP_3)
	v_add_co_u32 v1, vcc_lo, v1, v3
	v_cndmask_b32_e64 v2, 0, 1, s2
	v_cmp_neq_f32_e64 s2, 0, v9
	s_delay_alu instid0(VALU_DEP_4) | instskip(NEXT) | instid1(VALU_DEP_3)
	v_add_co_ci_u32_e32 v4, vcc_lo, 0, v4, vcc_lo
	v_add_co_u32 v1, vcc_lo, v1, v2
	s_delay_alu instid0(VALU_DEP_3) | instskip(SKIP_1) | instid1(VALU_DEP_4)
	v_cndmask_b32_e64 v3, 0, 1, s2
	v_cmp_neq_f32_e64 s2, 0, v6
	v_add_co_ci_u32_e32 v4, vcc_lo, 0, v4, vcc_lo
	s_delay_alu instid0(VALU_DEP_3) | instskip(NEXT) | instid1(VALU_DEP_3)
	v_add_co_u32 v1, vcc_lo, v1, v3
	v_cndmask_b32_e64 v2, 0, 1, s2
	v_cmp_neq_f32_e64 s2, 0, v16
	s_delay_alu instid0(VALU_DEP_4) | instskip(NEXT) | instid1(VALU_DEP_3)
	v_add_co_ci_u32_e32 v4, vcc_lo, 0, v4, vcc_lo
	v_add_co_u32 v1, vcc_lo, v1, v2
	s_delay_alu instid0(VALU_DEP_3) | instskip(SKIP_1) | instid1(VALU_DEP_4)
	v_cndmask_b32_e64 v3, 0, 1, s2
	v_cmp_neq_f32_e64 s2, 0, v19
	v_add_co_ci_u32_e32 v4, vcc_lo, 0, v4, vcc_lo
	s_delay_alu instid0(VALU_DEP_3) | instskip(NEXT) | instid1(VALU_DEP_3)
	v_add_co_u32 v1, vcc_lo, v1, v3
	v_cndmask_b32_e64 v2, 0, 1, s2
	v_cmp_neq_f32_e64 s2, 0, v17
	s_delay_alu instid0(VALU_DEP_4) | instskip(NEXT) | instid1(VALU_DEP_3)
	v_add_co_ci_u32_e32 v4, vcc_lo, 0, v4, vcc_lo
	v_add_co_u32 v1, vcc_lo, v1, v2
	s_delay_alu instid0(VALU_DEP_3) | instskip(SKIP_1) | instid1(VALU_DEP_4)
	v_cndmask_b32_e64 v3, 0, 1, s2
	v_cmp_neq_f32_e64 s2, 0, v13
	v_add_co_ci_u32_e32 v4, vcc_lo, 0, v4, vcc_lo
	s_delay_alu instid0(VALU_DEP_3) | instskip(NEXT) | instid1(VALU_DEP_3)
	v_add_co_u32 v1, vcc_lo, v1, v3
	v_cndmask_b32_e64 v2, 0, 1, s2
	v_cmp_neq_f32_e64 s2, 0, v10
	s_delay_alu instid0(VALU_DEP_4) | instskip(NEXT) | instid1(VALU_DEP_3)
	v_add_co_ci_u32_e32 v4, vcc_lo, 0, v4, vcc_lo
	v_add_co_u32 v1, vcc_lo, v1, v2
	s_delay_alu instid0(VALU_DEP_3) | instskip(SKIP_1) | instid1(VALU_DEP_4)
	v_cndmask_b32_e64 v3, 0, 1, s2
	v_cmp_neq_f32_e64 s2, 0, v7
	v_add_co_ci_u32_e32 v4, vcc_lo, 0, v4, vcc_lo
	s_delay_alu instid0(VALU_DEP_3) | instskip(NEXT) | instid1(VALU_DEP_3)
	v_add_co_u32 v1, vcc_lo, v1, v3
	v_cndmask_b32_e64 v2, 0, 1, s2
	v_cmp_neq_f32_e64 s2, 0, v5
	s_delay_alu instid0(VALU_DEP_4) | instskip(NEXT) | instid1(VALU_DEP_3)
	v_add_co_ci_u32_e32 v4, vcc_lo, 0, v4, vcc_lo
	v_add_co_u32 v1, vcc_lo, v1, v2
	s_delay_alu instid0(VALU_DEP_3) | instskip(SKIP_1) | instid1(VALU_DEP_4)
	v_cndmask_b32_e64 v3, 0, 1, s2
	v_cmp_neq_f32_e64 s2, 0, v27
	v_add_co_ci_u32_e32 v4, vcc_lo, 0, v4, vcc_lo
	s_delay_alu instid0(VALU_DEP_3) | instskip(NEXT) | instid1(VALU_DEP_3)
	v_add_co_u32 v1, vcc_lo, v1, v3
	v_cndmask_b32_e64 v2, 0, 1, s2
	v_cmp_neq_f32_e64 s2, 0, v25
	s_delay_alu instid0(VALU_DEP_4) | instskip(NEXT) | instid1(VALU_DEP_3)
	v_add_co_ci_u32_e32 v4, vcc_lo, 0, v4, vcc_lo
	v_add_co_u32 v1, vcc_lo, v1, v2
	s_delay_alu instid0(VALU_DEP_3) | instskip(SKIP_1) | instid1(VALU_DEP_4)
	v_cndmask_b32_e64 v3, 0, 1, s2
	v_cmp_neq_f32_e64 s2, 0, v28
	v_add_co_ci_u32_e32 v4, vcc_lo, 0, v4, vcc_lo
	s_delay_alu instid0(VALU_DEP_3) | instskip(NEXT) | instid1(VALU_DEP_3)
	v_add_co_u32 v1, vcc_lo, v1, v3
	v_cndmask_b32_e64 v2, 0, 1, s2
	v_cmp_neq_f32_e64 s2, 0, v26
	s_delay_alu instid0(VALU_DEP_4) | instskip(NEXT) | instid1(VALU_DEP_3)
	v_add_co_ci_u32_e32 v4, vcc_lo, 0, v4, vcc_lo
	v_add_co_u32 v1, vcc_lo, v1, v2
	s_delay_alu instid0(VALU_DEP_3) | instskip(SKIP_1) | instid1(VALU_DEP_4)
	v_cndmask_b32_e64 v3, 0, 1, s2
	v_cmp_neq_f32_e64 s2, 0, v22
	v_add_co_ci_u32_e32 v4, vcc_lo, 0, v4, vcc_lo
	s_delay_alu instid0(VALU_DEP_3) | instskip(NEXT) | instid1(VALU_DEP_3)
	v_add_co_u32 v1, vcc_lo, v1, v3
	v_cndmask_b32_e64 v2, 0, 1, s2
	v_cmp_neq_f32_e64 s2, 0, v29
	s_delay_alu instid0(VALU_DEP_4) | instskip(NEXT) | instid1(VALU_DEP_3)
	v_add_co_ci_u32_e32 v4, vcc_lo, 0, v4, vcc_lo
	v_add_co_u32 v1, vcc_lo, v1, v2
	s_delay_alu instid0(VALU_DEP_3) | instskip(SKIP_1) | instid1(VALU_DEP_4)
	v_cndmask_b32_e64 v3, 0, 1, s2
	v_cmp_neq_f32_e64 s2, 0, v30
	v_add_co_ci_u32_e32 v4, vcc_lo, 0, v4, vcc_lo
	s_delay_alu instid0(VALU_DEP_3) | instskip(NEXT) | instid1(VALU_DEP_3)
	v_add_co_u32 v1, vcc_lo, v1, v3
	v_cndmask_b32_e64 v2, 0, 1, s2
	v_cmp_neq_f32_e64 s2, 0, v63
	s_delay_alu instid0(VALU_DEP_4) | instskip(NEXT) | instid1(VALU_DEP_3)
	v_add_co_ci_u32_e32 v4, vcc_lo, 0, v4, vcc_lo
	v_add_co_u32 v1, vcc_lo, v1, v2
	s_delay_alu instid0(VALU_DEP_3) | instskip(SKIP_1) | instid1(VALU_DEP_4)
	v_cndmask_b32_e64 v3, 0, 1, s2
	v_cmp_neq_f32_e64 s2, 0, v64
	v_add_co_ci_u32_e32 v4, vcc_lo, 0, v4, vcc_lo
	s_delay_alu instid0(VALU_DEP_3) | instskip(NEXT) | instid1(VALU_DEP_3)
	v_add_co_u32 v1, vcc_lo, v1, v3
	v_cndmask_b32_e64 v2, 0, 1, s2
	v_cmp_neq_f32_e64 s2, 0, v65
	s_delay_alu instid0(VALU_DEP_4) | instskip(NEXT) | instid1(VALU_DEP_3)
	v_add_co_ci_u32_e32 v4, vcc_lo, 0, v4, vcc_lo
	v_add_co_u32 v1, vcc_lo, v1, v2
	s_delay_alu instid0(VALU_DEP_3) | instskip(SKIP_1) | instid1(VALU_DEP_4)
	v_cndmask_b32_e64 v3, 0, 1, s2
	v_cmp_neq_f32_e64 s2, 0, v66
	v_add_co_ci_u32_e32 v4, vcc_lo, 0, v4, vcc_lo
	s_delay_alu instid0(VALU_DEP_3) | instskip(NEXT) | instid1(VALU_DEP_3)
	v_add_co_u32 v1, vcc_lo, v1, v3
	v_cndmask_b32_e64 v2, 0, 1, s2
	v_cmp_neq_f32_e64 s2, 0, v67
	s_delay_alu instid0(VALU_DEP_4) | instskip(NEXT) | instid1(VALU_DEP_3)
	v_add_co_ci_u32_e32 v4, vcc_lo, 0, v4, vcc_lo
	v_add_co_u32 v1, vcc_lo, v1, v2
	s_delay_alu instid0(VALU_DEP_3) | instskip(SKIP_1) | instid1(VALU_DEP_4)
	v_cndmask_b32_e64 v3, 0, 1, s2
	v_cmp_neq_f32_e64 s2, 0, v68
	v_add_co_ci_u32_e32 v4, vcc_lo, 0, v4, vcc_lo
	s_delay_alu instid0(VALU_DEP_3) | instskip(NEXT) | instid1(VALU_DEP_3)
	v_add_co_u32 v1, vcc_lo, v1, v3
	v_cndmask_b32_e64 v2, 0, 1, s2
	v_cmp_neq_f32_e64 s2, 0, v69
	s_delay_alu instid0(VALU_DEP_4) | instskip(NEXT) | instid1(VALU_DEP_3)
	v_add_co_ci_u32_e32 v4, vcc_lo, 0, v4, vcc_lo
	v_add_co_u32 v1, vcc_lo, v1, v2
	s_delay_alu instid0(VALU_DEP_3) | instskip(SKIP_1) | instid1(VALU_DEP_4)
	v_cndmask_b32_e64 v3, 0, 1, s2
	v_cmp_neq_f32_e64 s2, 0, v70
	v_add_co_ci_u32_e32 v4, vcc_lo, 0, v4, vcc_lo
	s_delay_alu instid0(VALU_DEP_3) | instskip(NEXT) | instid1(VALU_DEP_3)
	v_add_co_u32 v1, vcc_lo, v1, v3
	v_cndmask_b32_e64 v2, 0, 1, s2
	v_cmp_neq_f32_e64 s2, 0, v71
	s_delay_alu instid0(VALU_DEP_4) | instskip(NEXT) | instid1(VALU_DEP_3)
	v_add_co_ci_u32_e32 v4, vcc_lo, 0, v4, vcc_lo
	v_add_co_u32 v1, vcc_lo, v1, v2
	s_delay_alu instid0(VALU_DEP_3) | instskip(SKIP_1) | instid1(VALU_DEP_4)
	v_cndmask_b32_e64 v3, 0, 1, s2
	v_cmp_neq_f32_e64 s2, 0, v72
	v_add_co_ci_u32_e32 v4, vcc_lo, 0, v4, vcc_lo
	s_delay_alu instid0(VALU_DEP_3) | instskip(NEXT) | instid1(VALU_DEP_3)
	v_add_co_u32 v1, vcc_lo, v1, v3
	v_cndmask_b32_e64 v2, 0, 1, s2
	v_cmp_neq_f32_e64 s2, 0, v73
	s_delay_alu instid0(VALU_DEP_4) | instskip(NEXT) | instid1(VALU_DEP_3)
	v_add_co_ci_u32_e32 v4, vcc_lo, 0, v4, vcc_lo
	v_add_co_u32 v1, vcc_lo, v1, v2
	s_delay_alu instid0(VALU_DEP_3) | instskip(SKIP_1) | instid1(VALU_DEP_4)
	v_cndmask_b32_e64 v3, 0, 1, s2
	v_cmp_neq_f32_e64 s2, 0, v74
	v_add_co_ci_u32_e32 v4, vcc_lo, 0, v4, vcc_lo
	s_delay_alu instid0(VALU_DEP_3) | instskip(NEXT) | instid1(VALU_DEP_3)
	v_add_co_u32 v1, vcc_lo, v1, v3
	v_cndmask_b32_e64 v2, 0, 1, s2
	v_cmp_neq_f32_e64 s2, 0, v75
	s_delay_alu instid0(VALU_DEP_4) | instskip(NEXT) | instid1(VALU_DEP_3)
	v_add_co_ci_u32_e32 v4, vcc_lo, 0, v4, vcc_lo
	v_add_co_u32 v1, vcc_lo, v1, v2
	s_delay_alu instid0(VALU_DEP_3) | instskip(SKIP_1) | instid1(VALU_DEP_4)
	v_cndmask_b32_e64 v3, 0, 1, s2
	v_cmp_neq_f32_e64 s2, 0, v76
	v_add_co_ci_u32_e32 v4, vcc_lo, 0, v4, vcc_lo
	s_delay_alu instid0(VALU_DEP_3) | instskip(NEXT) | instid1(VALU_DEP_3)
	v_add_co_u32 v1, vcc_lo, v1, v3
	v_cndmask_b32_e64 v2, 0, 1, s2
	v_cmp_neq_f32_e64 s2, 0, v77
	s_delay_alu instid0(VALU_DEP_4) | instskip(NEXT) | instid1(VALU_DEP_3)
	v_add_co_ci_u32_e32 v4, vcc_lo, 0, v4, vcc_lo
	v_add_co_u32 v1, vcc_lo, v1, v2
	s_delay_alu instid0(VALU_DEP_3) | instskip(SKIP_1) | instid1(VALU_DEP_4)
	v_cndmask_b32_e64 v3, 0, 1, s2
	v_cmp_neq_f32_e64 s2, 0, v40
	v_add_co_ci_u32_e32 v4, vcc_lo, 0, v4, vcc_lo
	s_delay_alu instid0(VALU_DEP_3) | instskip(NEXT) | instid1(VALU_DEP_3)
	v_add_co_u32 v1, vcc_lo, v1, v3
	v_cndmask_b32_e64 v2, 0, 1, s2
	v_cmp_neq_f32_e64 s2, 0, v78
	s_delay_alu instid0(VALU_DEP_4) | instskip(NEXT) | instid1(VALU_DEP_3)
	v_add_co_ci_u32_e32 v4, vcc_lo, 0, v4, vcc_lo
	v_add_co_u32 v1, vcc_lo, v1, v2
	s_delay_alu instid0(VALU_DEP_3) | instskip(SKIP_1) | instid1(VALU_DEP_4)
	v_cndmask_b32_e64 v3, 0, 1, s2
	v_cmp_neq_f32_e64 s2, 0, v37
	v_add_co_ci_u32_e32 v4, vcc_lo, 0, v4, vcc_lo
	s_delay_alu instid0(VALU_DEP_3) | instskip(NEXT) | instid1(VALU_DEP_3)
	v_add_co_u32 v1, vcc_lo, v1, v3
	v_cndmask_b32_e64 v2, 0, 1, s2
	v_cmp_neq_f32_e64 s2, 0, v39
	s_delay_alu instid0(VALU_DEP_4) | instskip(NEXT) | instid1(VALU_DEP_3)
	v_add_co_ci_u32_e32 v4, vcc_lo, 0, v4, vcc_lo
	v_add_co_u32 v1, vcc_lo, v1, v2
	s_delay_alu instid0(VALU_DEP_3) | instskip(SKIP_1) | instid1(VALU_DEP_4)
	v_cndmask_b32_e64 v3, 0, 1, s2
	v_cmp_neq_f32_e64 s2, 0, v38
	v_add_co_ci_u32_e32 v4, vcc_lo, 0, v4, vcc_lo
	s_delay_alu instid0(VALU_DEP_3) | instskip(NEXT) | instid1(VALU_DEP_3)
	v_add_co_u32 v1, vcc_lo, v1, v3
	v_cndmask_b32_e64 v2, 0, 1, s2
	v_cmp_neq_f32_e64 s2, 0, v79
	s_delay_alu instid0(VALU_DEP_4) | instskip(NEXT) | instid1(VALU_DEP_3)
	v_add_co_ci_u32_e32 v4, vcc_lo, 0, v4, vcc_lo
	v_add_co_u32 v1, vcc_lo, v1, v2
	s_delay_alu instid0(VALU_DEP_3) | instskip(SKIP_1) | instid1(VALU_DEP_4)
	v_cndmask_b32_e64 v3, 0, 1, s2
	v_cmp_neq_f32_e64 s2, 0, v80
	v_add_co_ci_u32_e32 v4, vcc_lo, 0, v4, vcc_lo
	s_delay_alu instid0(VALU_DEP_3) | instskip(NEXT) | instid1(VALU_DEP_3)
	v_add_co_u32 v1, vcc_lo, v1, v3
	v_cndmask_b32_e64 v2, 0, 1, s2
	v_cmp_neq_f32_e64 s2, 0, v81
	s_delay_alu instid0(VALU_DEP_4) | instskip(NEXT) | instid1(VALU_DEP_3)
	v_add_co_ci_u32_e32 v4, vcc_lo, 0, v4, vcc_lo
	v_add_co_u32 v1, vcc_lo, v1, v2
	s_delay_alu instid0(VALU_DEP_3) | instskip(SKIP_1) | instid1(VALU_DEP_4)
	v_cndmask_b32_e64 v3, 0, 1, s2
	v_cmp_neq_f32_e64 s2, 0, v82
	v_add_co_ci_u32_e32 v4, vcc_lo, 0, v4, vcc_lo
	s_delay_alu instid0(VALU_DEP_3) | instskip(NEXT) | instid1(VALU_DEP_3)
	v_add_co_u32 v1, vcc_lo, v1, v3
	v_cndmask_b32_e64 v2, 0, 1, s2
	v_cmp_neq_f32_e64 s2, 0, v83
	s_delay_alu instid0(VALU_DEP_4) | instskip(NEXT) | instid1(VALU_DEP_3)
	v_add_co_ci_u32_e32 v4, vcc_lo, 0, v4, vcc_lo
	v_add_co_u32 v1, vcc_lo, v1, v2
	s_delay_alu instid0(VALU_DEP_3) | instskip(SKIP_1) | instid1(VALU_DEP_4)
	v_cndmask_b32_e64 v3, 0, 1, s2
	v_cmp_neq_f32_e64 s2, 0, v41
	v_add_co_ci_u32_e32 v4, vcc_lo, 0, v4, vcc_lo
	s_delay_alu instid0(VALU_DEP_3) | instskip(NEXT) | instid1(VALU_DEP_3)
	v_add_co_u32 v1, vcc_lo, v1, v3
	v_cndmask_b32_e64 v2, 0, 1, s2
	s_waitcnt vmcnt(25)
	v_cmp_neq_f32_e64 s2, 0, v117
	v_add_co_ci_u32_e32 v4, vcc_lo, 0, v4, vcc_lo
	s_delay_alu instid0(VALU_DEP_3) | instskip(NEXT) | instid1(VALU_DEP_3)
	v_add_co_u32 v1, vcc_lo, v1, v2
	v_cndmask_b32_e64 v3, 0, 1, s2
	v_cmp_neq_f32_e64 s2, 0, v42
	s_delay_alu instid0(VALU_DEP_4) | instskip(NEXT) | instid1(VALU_DEP_3)
	v_add_co_ci_u32_e32 v4, vcc_lo, 0, v4, vcc_lo
	v_add_co_u32 v1, vcc_lo, v1, v3
	s_delay_alu instid0(VALU_DEP_3) | instskip(SKIP_1) | instid1(VALU_DEP_4)
	v_cndmask_b32_e64 v2, 0, 1, s2
	v_cmp_neq_f32_e64 s2, 0, v84
	v_add_co_ci_u32_e32 v4, vcc_lo, 0, v4, vcc_lo
	s_delay_alu instid0(VALU_DEP_3) | instskip(NEXT) | instid1(VALU_DEP_3)
	v_add_co_u32 v1, vcc_lo, v1, v2
	v_cndmask_b32_e64 v3, 0, 1, s2
	v_cmp_neq_f32_e64 s2, 0, v85
	s_delay_alu instid0(VALU_DEP_4) | instskip(NEXT) | instid1(VALU_DEP_3)
	v_add_co_ci_u32_e32 v4, vcc_lo, 0, v4, vcc_lo
	v_add_co_u32 v1, vcc_lo, v1, v3
	s_delay_alu instid0(VALU_DEP_3) | instskip(SKIP_1) | instid1(VALU_DEP_4)
	v_cndmask_b32_e64 v2, 0, 1, s2
	;; [unrolled: 11-line block ×3, first 2 shown]
	v_cmp_neq_f32_e64 s2, 0, v88
	v_add_co_ci_u32_e32 v4, vcc_lo, 0, v4, vcc_lo
	s_delay_alu instid0(VALU_DEP_3) | instskip(NEXT) | instid1(VALU_DEP_3)
	v_add_co_u32 v1, vcc_lo, v1, v2
	v_cndmask_b32_e64 v3, 0, 1, s2
	v_cmp_neq_f32_e64 s2, 0, v43
	s_delay_alu instid0(VALU_DEP_4) | instskip(NEXT) | instid1(VALU_DEP_3)
	v_add_co_ci_u32_e32 v4, vcc_lo, 0, v4, vcc_lo
	v_add_co_u32 v1, vcc_lo, v1, v3
	s_delay_alu instid0(VALU_DEP_3) | instskip(SKIP_3) | instid1(VALU_DEP_3)
	v_cndmask_b32_e64 v2, 0, 1, s2
	s_waitcnt vmcnt(24)
	v_cmp_neq_f32_e64 s2, 0, v33
	v_add_co_ci_u32_e32 v4, vcc_lo, 0, v4, vcc_lo
	v_add_co_u32 v1, vcc_lo, v1, v2
	s_delay_alu instid0(VALU_DEP_3) | instskip(SKIP_1) | instid1(VALU_DEP_4)
	v_cndmask_b32_e64 v3, 0, 1, s2
	v_cmp_neq_f32_e64 s2, 0, v44
	v_add_co_ci_u32_e32 v4, vcc_lo, 0, v4, vcc_lo
	s_delay_alu instid0(VALU_DEP_3) | instskip(NEXT) | instid1(VALU_DEP_3)
	v_add_co_u32 v1, vcc_lo, v1, v3
	v_cndmask_b32_e64 v2, 0, 1, s2
	v_cmp_neq_f32_e64 s2, 0, v89
	s_delay_alu instid0(VALU_DEP_4) | instskip(NEXT) | instid1(VALU_DEP_3)
	v_add_co_ci_u32_e32 v4, vcc_lo, 0, v4, vcc_lo
	v_add_co_u32 v1, vcc_lo, v1, v2
	s_delay_alu instid0(VALU_DEP_3) | instskip(SKIP_1) | instid1(VALU_DEP_4)
	v_cndmask_b32_e64 v3, 0, 1, s2
	v_cmp_neq_f32_e64 s2, 0, v90
	v_add_co_ci_u32_e32 v4, vcc_lo, 0, v4, vcc_lo
	s_delay_alu instid0(VALU_DEP_3) | instskip(NEXT) | instid1(VALU_DEP_3)
	v_add_co_u32 v1, vcc_lo, v1, v3
	v_cndmask_b32_e64 v2, 0, 1, s2
	v_cmp_neq_f32_e64 s2, 0, v91
	s_delay_alu instid0(VALU_DEP_4) | instskip(NEXT) | instid1(VALU_DEP_3)
	;; [unrolled: 11-line block ×3, first 2 shown]
	v_add_co_ci_u32_e32 v4, vcc_lo, 0, v4, vcc_lo
	v_add_co_u32 v1, vcc_lo, v1, v2
	s_delay_alu instid0(VALU_DEP_3) | instskip(SKIP_1) | instid1(VALU_DEP_4)
	v_cndmask_b32_e64 v3, 0, 1, s2
	v_cmp_neq_f32_e64 s2, 0, v31
	v_add_co_ci_u32_e32 v4, vcc_lo, 0, v4, vcc_lo
	s_delay_alu instid0(VALU_DEP_3) | instskip(NEXT) | instid1(VALU_DEP_3)
	v_add_co_u32 v1, vcc_lo, v1, v3
	v_cndmask_b32_e64 v2, 0, 1, s2
	s_waitcnt vmcnt(23)
	v_cmp_neq_f32_e64 s2, 0, v34
	v_add_co_ci_u32_e32 v4, vcc_lo, 0, v4, vcc_lo
	s_delay_alu instid0(VALU_DEP_3) | instskip(NEXT) | instid1(VALU_DEP_3)
	v_add_co_u32 v1, vcc_lo, v1, v2
	v_cndmask_b32_e64 v3, 0, 1, s2
	v_cmp_neq_f32_e64 s2, 0, v32
	s_delay_alu instid0(VALU_DEP_4) | instskip(NEXT) | instid1(VALU_DEP_3)
	v_add_co_ci_u32_e32 v4, vcc_lo, 0, v4, vcc_lo
	v_add_co_u32 v1, vcc_lo, v1, v3
	s_delay_alu instid0(VALU_DEP_3) | instskip(SKIP_1) | instid1(VALU_DEP_4)
	v_cndmask_b32_e64 v2, 0, 1, s2
	v_cmp_neq_f32_e64 s2, 0, v94
	v_add_co_ci_u32_e32 v4, vcc_lo, 0, v4, vcc_lo
	s_delay_alu instid0(VALU_DEP_3) | instskip(NEXT) | instid1(VALU_DEP_3)
	v_add_co_u32 v1, vcc_lo, v1, v2
	v_cndmask_b32_e64 v3, 0, 1, s2
	v_cmp_neq_f32_e64 s2, 0, v95
	s_delay_alu instid0(VALU_DEP_4) | instskip(NEXT) | instid1(VALU_DEP_3)
	v_add_co_ci_u32_e32 v4, vcc_lo, 0, v4, vcc_lo
	v_add_co_u32 v1, vcc_lo, v1, v3
	s_delay_alu instid0(VALU_DEP_3) | instskip(SKIP_1) | instid1(VALU_DEP_4)
	v_cndmask_b32_e64 v2, 0, 1, s2
	;; [unrolled: 11-line block ×3, first 2 shown]
	v_cmp_neq_f32_e64 s2, 0, v98
	v_add_co_ci_u32_e32 v4, vcc_lo, 0, v4, vcc_lo
	s_delay_alu instid0(VALU_DEP_3) | instskip(NEXT) | instid1(VALU_DEP_3)
	v_add_co_u32 v1, vcc_lo, v1, v2
	v_cndmask_b32_e64 v3, 0, 1, s2
	v_cmp_neq_f32_e64 s2, 0, v45
	s_delay_alu instid0(VALU_DEP_4) | instskip(NEXT) | instid1(VALU_DEP_3)
	v_add_co_ci_u32_e32 v4, vcc_lo, 0, v4, vcc_lo
	v_add_co_u32 v1, vcc_lo, v1, v3
	s_delay_alu instid0(VALU_DEP_3) | instskip(SKIP_3) | instid1(VALU_DEP_3)
	v_cndmask_b32_e64 v2, 0, 1, s2
	s_waitcnt vmcnt(22)
	v_cmp_neq_f32_e64 s2, 0, v47
	v_add_co_ci_u32_e32 v4, vcc_lo, 0, v4, vcc_lo
	v_add_co_u32 v1, vcc_lo, v1, v2
	s_delay_alu instid0(VALU_DEP_3) | instskip(SKIP_1) | instid1(VALU_DEP_4)
	v_cndmask_b32_e64 v3, 0, 1, s2
	v_cmp_neq_f32_e64 s2, 0, v46
	v_add_co_ci_u32_e32 v4, vcc_lo, 0, v4, vcc_lo
	s_delay_alu instid0(VALU_DEP_3) | instskip(NEXT) | instid1(VALU_DEP_3)
	v_add_co_u32 v1, vcc_lo, v1, v3
	v_cndmask_b32_e64 v2, 0, 1, s2
	v_cmp_neq_f32_e64 s2, 0, v99
	s_delay_alu instid0(VALU_DEP_4) | instskip(NEXT) | instid1(VALU_DEP_3)
	v_add_co_ci_u32_e32 v4, vcc_lo, 0, v4, vcc_lo
	v_add_co_u32 v1, vcc_lo, v1, v2
	s_delay_alu instid0(VALU_DEP_3) | instskip(SKIP_1) | instid1(VALU_DEP_4)
	v_cndmask_b32_e64 v3, 0, 1, s2
	v_cmp_neq_f32_e64 s2, 0, v100
	v_add_co_ci_u32_e32 v4, vcc_lo, 0, v4, vcc_lo
	s_delay_alu instid0(VALU_DEP_3) | instskip(NEXT) | instid1(VALU_DEP_3)
	v_add_co_u32 v1, vcc_lo, v1, v3
	v_cndmask_b32_e64 v2, 0, 1, s2
	v_cmp_neq_f32_e64 s2, 0, v101
	s_delay_alu instid0(VALU_DEP_4) | instskip(NEXT) | instid1(VALU_DEP_3)
	;; [unrolled: 11-line block ×3, first 2 shown]
	v_add_co_ci_u32_e32 v4, vcc_lo, 0, v4, vcc_lo
	v_add_co_u32 v1, vcc_lo, v1, v2
	s_delay_alu instid0(VALU_DEP_3) | instskip(SKIP_1) | instid1(VALU_DEP_4)
	v_cndmask_b32_e64 v3, 0, 1, s2
	v_cmp_neq_f32_e64 s2, 0, v49
	v_add_co_ci_u32_e32 v4, vcc_lo, 0, v4, vcc_lo
	s_delay_alu instid0(VALU_DEP_3) | instskip(NEXT) | instid1(VALU_DEP_3)
	v_add_co_u32 v1, vcc_lo, v1, v3
	v_cndmask_b32_e64 v2, 0, 1, s2
	s_waitcnt vmcnt(21)
	v_cmp_neq_f32_e64 s2, 0, v48
	v_add_co_ci_u32_e32 v4, vcc_lo, 0, v4, vcc_lo
	s_delay_alu instid0(VALU_DEP_3) | instskip(NEXT) | instid1(VALU_DEP_3)
	v_add_co_u32 v1, vcc_lo, v1, v2
	v_cndmask_b32_e64 v3, 0, 1, s2
	v_cmp_neq_f32_e64 s2, 0, v50
	s_delay_alu instid0(VALU_DEP_4) | instskip(NEXT) | instid1(VALU_DEP_3)
	v_add_co_ci_u32_e32 v4, vcc_lo, 0, v4, vcc_lo
	v_add_co_u32 v1, vcc_lo, v1, v3
	s_delay_alu instid0(VALU_DEP_3) | instskip(SKIP_1) | instid1(VALU_DEP_4)
	v_cndmask_b32_e64 v2, 0, 1, s2
	v_cmp_neq_f32_e64 s2, 0, v104
	v_add_co_ci_u32_e32 v4, vcc_lo, 0, v4, vcc_lo
	s_delay_alu instid0(VALU_DEP_3) | instskip(NEXT) | instid1(VALU_DEP_3)
	v_add_co_u32 v1, vcc_lo, v1, v2
	v_cndmask_b32_e64 v3, 0, 1, s2
	v_cmp_neq_f32_e64 s2, 0, v105
	s_delay_alu instid0(VALU_DEP_4) | instskip(NEXT) | instid1(VALU_DEP_3)
	v_add_co_ci_u32_e32 v4, vcc_lo, 0, v4, vcc_lo
	v_add_co_u32 v1, vcc_lo, v1, v3
	s_delay_alu instid0(VALU_DEP_3) | instskip(SKIP_1) | instid1(VALU_DEP_4)
	v_cndmask_b32_e64 v2, 0, 1, s2
	;; [unrolled: 11-line block ×3, first 2 shown]
	v_cmp_neq_f32_e64 s2, 0, v108
	v_add_co_ci_u32_e32 v4, vcc_lo, 0, v4, vcc_lo
	s_delay_alu instid0(VALU_DEP_3) | instskip(NEXT) | instid1(VALU_DEP_3)
	v_add_co_u32 v1, vcc_lo, v1, v2
	v_cndmask_b32_e64 v3, 0, 1, s2
	v_cmp_neq_f32_e64 s2, 0, v51
	s_delay_alu instid0(VALU_DEP_4) | instskip(NEXT) | instid1(VALU_DEP_3)
	v_add_co_ci_u32_e32 v4, vcc_lo, 0, v4, vcc_lo
	v_add_co_u32 v1, vcc_lo, v1, v3
	s_delay_alu instid0(VALU_DEP_3) | instskip(SKIP_3) | instid1(VALU_DEP_3)
	v_cndmask_b32_e64 v2, 0, 1, s2
	s_waitcnt vmcnt(20)
	v_cmp_neq_f32_e64 s2, 0, v53
	v_add_co_ci_u32_e32 v4, vcc_lo, 0, v4, vcc_lo
	v_add_co_u32 v1, vcc_lo, v1, v2
	s_delay_alu instid0(VALU_DEP_3) | instskip(SKIP_1) | instid1(VALU_DEP_4)
	v_cndmask_b32_e64 v3, 0, 1, s2
	v_cmp_neq_f32_e64 s2, 0, v52
	v_add_co_ci_u32_e32 v4, vcc_lo, 0, v4, vcc_lo
	s_delay_alu instid0(VALU_DEP_3) | instskip(NEXT) | instid1(VALU_DEP_3)
	v_add_co_u32 v1, vcc_lo, v1, v3
	v_cndmask_b32_e64 v2, 0, 1, s2
	v_cmp_neq_f32_e64 s2, 0, v109
	s_delay_alu instid0(VALU_DEP_4) | instskip(NEXT) | instid1(VALU_DEP_3)
	v_add_co_ci_u32_e32 v4, vcc_lo, 0, v4, vcc_lo
	v_add_co_u32 v1, vcc_lo, v1, v2
	s_delay_alu instid0(VALU_DEP_3) | instskip(SKIP_1) | instid1(VALU_DEP_4)
	v_cndmask_b32_e64 v3, 0, 1, s2
	v_cmp_neq_f32_e64 s2, 0, v110
	v_add_co_ci_u32_e32 v4, vcc_lo, 0, v4, vcc_lo
	s_delay_alu instid0(VALU_DEP_3) | instskip(NEXT) | instid1(VALU_DEP_3)
	v_add_co_u32 v1, vcc_lo, v1, v3
	v_cndmask_b32_e64 v2, 0, 1, s2
	v_cmp_neq_f32_e64 s2, 0, v111
	s_delay_alu instid0(VALU_DEP_4) | instskip(NEXT) | instid1(VALU_DEP_3)
	;; [unrolled: 11-line block ×3, first 2 shown]
	v_add_co_ci_u32_e32 v4, vcc_lo, 0, v4, vcc_lo
	v_add_co_u32 v1, vcc_lo, v1, v2
	s_delay_alu instid0(VALU_DEP_3) | instskip(SKIP_1) | instid1(VALU_DEP_4)
	v_cndmask_b32_e64 v3, 0, 1, s2
	v_cmp_neq_f32_e64 s2, 0, v55
	v_add_co_ci_u32_e32 v4, vcc_lo, 0, v4, vcc_lo
	s_delay_alu instid0(VALU_DEP_3) | instskip(NEXT) | instid1(VALU_DEP_3)
	v_add_co_u32 v1, vcc_lo, v1, v3
	v_cndmask_b32_e64 v2, 0, 1, s2
	s_waitcnt vmcnt(19)
	v_cmp_neq_f32_e64 s2, 0, v54
	v_add_co_ci_u32_e32 v4, vcc_lo, 0, v4, vcc_lo
	s_delay_alu instid0(VALU_DEP_3) | instskip(NEXT) | instid1(VALU_DEP_3)
	v_add_co_u32 v1, vcc_lo, v1, v2
	v_cndmask_b32_e64 v3, 0, 1, s2
	v_cmp_neq_f32_e64 s2, 0, v56
	s_delay_alu instid0(VALU_DEP_4) | instskip(NEXT) | instid1(VALU_DEP_3)
	v_add_co_ci_u32_e32 v4, vcc_lo, 0, v4, vcc_lo
	v_add_co_u32 v1, vcc_lo, v1, v3
	s_delay_alu instid0(VALU_DEP_3) | instskip(SKIP_1) | instid1(VALU_DEP_4)
	v_cndmask_b32_e64 v2, 0, 1, s2
	v_cmp_neq_f32_e64 s2, 0, v114
	v_add_co_ci_u32_e32 v4, vcc_lo, 0, v4, vcc_lo
	s_delay_alu instid0(VALU_DEP_3) | instskip(NEXT) | instid1(VALU_DEP_3)
	v_add_co_u32 v1, vcc_lo, v1, v2
	v_cndmask_b32_e64 v3, 0, 1, s2
	v_cmp_neq_f32_e64 s2, 0, v115
	s_delay_alu instid0(VALU_DEP_4) | instskip(NEXT) | instid1(VALU_DEP_3)
	v_add_co_ci_u32_e32 v4, vcc_lo, 0, v4, vcc_lo
	v_add_co_u32 v1, vcc_lo, v1, v3
	s_delay_alu instid0(VALU_DEP_3) | instskip(SKIP_1) | instid1(VALU_DEP_4)
	v_cndmask_b32_e64 v2, 0, 1, s2
	v_cmp_neq_f32_e64 s2, 0, v116
	v_add_co_ci_u32_e32 v4, vcc_lo, 0, v4, vcc_lo
	s_delay_alu instid0(VALU_DEP_3) | instskip(NEXT) | instid1(VALU_DEP_3)
	v_add_co_u32 v1, vcc_lo, v1, v2
	v_cndmask_b32_e64 v3, 0, 1, s2
	s_waitcnt vmcnt(17)
	v_cmp_neq_f32_e64 s2, 0, v60
	v_add_co_ci_u32_e32 v4, vcc_lo, 0, v4, vcc_lo
	s_delay_alu instid0(VALU_DEP_3) | instskip(NEXT) | instid1(VALU_DEP_3)
	v_add_co_u32 v1, vcc_lo, v1, v3
	v_cndmask_b32_e64 v2, 0, 1, s2
	s_waitcnt vmcnt(16)
	;; [unrolled: 6-line block ×3, first 2 shown]
	v_cmp_neq_f32_e64 s2, 0, v57
	v_add_co_ci_u32_e32 v4, vcc_lo, 0, v4, vcc_lo
	s_delay_alu instid0(VALU_DEP_3) | instskip(NEXT) | instid1(VALU_DEP_3)
	v_add_co_u32 v1, vcc_lo, v1, v3
	v_cndmask_b32_e64 v2, 0, 1, s2
	v_cmp_neq_f32_e64 s2, 0, v59
	s_delay_alu instid0(VALU_DEP_4) | instskip(NEXT) | instid1(VALU_DEP_3)
	v_add_co_ci_u32_e32 v4, vcc_lo, 0, v4, vcc_lo
	v_add_co_u32 v1, vcc_lo, v1, v2
	s_delay_alu instid0(VALU_DEP_3) | instskip(SKIP_3) | instid1(VALU_DEP_3)
	v_cndmask_b32_e64 v3, 0, 1, s2
	s_waitcnt vmcnt(14)
	v_cmp_neq_f32_e64 s2, 0, v58
	v_add_co_ci_u32_e32 v4, vcc_lo, 0, v4, vcc_lo
	v_add_co_u32 v1, vcc_lo, v1, v3
	s_delay_alu instid0(VALU_DEP_3) | instskip(SKIP_3) | instid1(VALU_DEP_3)
	v_cndmask_b32_e64 v2, 0, 1, s2
	s_waitcnt vmcnt(13)
	v_cmp_neq_f32_e64 s2, 0, v119
	;; [unrolled: 6-line block ×15, first 2 shown]
	v_add_co_ci_u32_e32 v4, vcc_lo, 0, v4, vcc_lo
	v_add_co_u32 v1, vcc_lo, v1, v3
	s_delay_alu instid0(VALU_DEP_3) | instskip(NEXT) | instid1(VALU_DEP_3)
	v_cndmask_b32_e64 v2, 0, 1, s2
	v_add_co_ci_u32_e32 v3, vcc_lo, 0, v4, vcc_lo
	v_mov_b32_e32 v4, 0
	s_mov_b32 s2, exec_lo
	s_delay_alu instid0(VALU_DEP_3) | instskip(NEXT) | instid1(VALU_DEP_3)
	v_add_co_u32 v1, vcc_lo, v1, v2
	v_add_co_ci_u32_e32 v2, vcc_lo, 0, v3, vcc_lo
	s_delay_alu instid0(VALU_DEP_2) | instskip(NEXT) | instid1(VALU_DEP_1)
	v_mov_b32_dpp v3, v1 quad_perm:[1,0,3,2] row_mask:0xf bank_mask:0xf
	v_add_co_u32 v1, vcc_lo, v1, v3
	v_mov_b32_dpp v3, v4 quad_perm:[1,0,3,2] row_mask:0xf bank_mask:0xf
	s_delay_alu instid0(VALU_DEP_4) | instskip(NEXT) | instid1(VALU_DEP_3)
	v_add_co_ci_u32_e32 v2, vcc_lo, 0, v2, vcc_lo
	v_mov_b32_dpp v5, v1 quad_perm:[2,3,0,1] row_mask:0xf bank_mask:0xf
	v_add_co_u32 v1, vcc_lo, 0, v1
	s_delay_alu instid0(VALU_DEP_3) | instskip(NEXT) | instid1(VALU_DEP_2)
	v_add_co_ci_u32_e32 v2, vcc_lo, v3, v2, vcc_lo
	v_add_co_u32 v1, vcc_lo, v1, v5
	s_delay_alu instid0(VALU_DEP_2) | instskip(SKIP_1) | instid1(VALU_DEP_3)
	v_mov_b32_dpp v3, v2 quad_perm:[2,3,0,1] row_mask:0xf bank_mask:0xf
	v_add_co_ci_u32_e32 v2, vcc_lo, 0, v2, vcc_lo
	v_mov_b32_dpp v5, v1 row_ror:4 row_mask:0xf bank_mask:0xf
	v_add_co_u32 v1, vcc_lo, v1, 0
	s_delay_alu instid0(VALU_DEP_3) | instskip(NEXT) | instid1(VALU_DEP_2)
	v_add_co_ci_u32_e32 v2, vcc_lo, v2, v3, vcc_lo
	v_add_co_u32 v1, vcc_lo, v1, v5
	s_delay_alu instid0(VALU_DEP_2) | instskip(SKIP_1) | instid1(VALU_DEP_3)
	v_mov_b32_dpp v3, v2 row_ror:4 row_mask:0xf bank_mask:0xf
	v_add_co_ci_u32_e32 v2, vcc_lo, 0, v2, vcc_lo
	v_mov_b32_dpp v5, v1 row_ror:8 row_mask:0xf bank_mask:0xf
	v_add_co_u32 v1, vcc_lo, v1, 0
	s_delay_alu instid0(VALU_DEP_3) | instskip(NEXT) | instid1(VALU_DEP_2)
	v_add_co_ci_u32_e32 v2, vcc_lo, v2, v3, vcc_lo
	v_add_co_u32 v1, vcc_lo, v1, v5
	s_delay_alu instid0(VALU_DEP_2)
	v_mov_b32_dpp v3, v2 row_ror:8 row_mask:0xf bank_mask:0xf
	v_add_co_ci_u32_e32 v2, vcc_lo, 0, v2, vcc_lo
	ds_swizzle_b32 v5, v1 offset:swizzle(BROADCAST,32,15)
	v_add_co_u32 v1, vcc_lo, v1, 0
	v_add_co_ci_u32_e32 v2, vcc_lo, v2, v3, vcc_lo
	ds_swizzle_b32 v3, v2 offset:swizzle(BROADCAST,32,15)
	s_waitcnt lgkmcnt(1)
	v_add_co_u32 v1, vcc_lo, v1, v5
	v_add_co_ci_u32_e32 v2, vcc_lo, 0, v2, vcc_lo
	ds_bpermute_b32 v1, v4, v1 offset:124
	s_waitcnt lgkmcnt(1)
	v_add_nc_u32_e32 v2, v3, v2
	v_mbcnt_lo_u32_b32 v3, -1, 0
	ds_bpermute_b32 v2, v4, v2 offset:124
	v_cmpx_eq_u32_e32 0, v3
	s_cbranch_execz .LBB251_7
; %bb.6:
	v_lshrrev_b32_e32 v4, 2, v0
	s_delay_alu instid0(VALU_DEP_1)
	v_and_b32_e32 v4, 24, v4
	s_waitcnt lgkmcnt(0)
	ds_store_b64 v4, v[1:2]
.LBB251_7:
	s_or_b32 exec_lo, exec_lo, s2
	s_delay_alu instid0(SALU_CYCLE_1)
	s_mov_b32 s2, exec_lo
	s_waitcnt lgkmcnt(0)
	s_barrier
	buffer_gl0_inv
	v_cmpx_gt_u32_e32 32, v0
	s_cbranch_execz .LBB251_9
; %bb.8:
	v_and_b32_e32 v4, 3, v3
	s_delay_alu instid0(VALU_DEP_1) | instskip(SKIP_4) | instid1(VALU_DEP_2)
	v_lshlrev_b32_e32 v1, 3, v4
	v_cmp_ne_u32_e32 vcc_lo, 3, v4
	ds_load_b64 v[1:2], v1
	v_add_co_ci_u32_e32 v5, vcc_lo, 0, v3, vcc_lo
	v_cmp_gt_u32_e32 vcc_lo, 2, v4
	v_lshlrev_b32_e32 v5, 2, v5
	v_cndmask_b32_e64 v4, 0, 1, vcc_lo
	s_delay_alu instid0(VALU_DEP_1) | instskip(NEXT) | instid1(VALU_DEP_1)
	v_lshlrev_b32_e32 v4, 1, v4
	v_add_lshl_u32 v3, v4, v3, 2
	s_waitcnt lgkmcnt(0)
	ds_bpermute_b32 v6, v5, v1
	ds_bpermute_b32 v5, v5, v2
	s_waitcnt lgkmcnt(1)
	v_add_co_u32 v1, vcc_lo, v1, v6
	v_add_co_ci_u32_e32 v2, vcc_lo, 0, v2, vcc_lo
	ds_bpermute_b32 v4, v3, v1
	v_add_co_u32 v1, vcc_lo, 0, v1
	s_waitcnt lgkmcnt(1)
	v_add_co_ci_u32_e32 v2, vcc_lo, v5, v2, vcc_lo
	ds_bpermute_b32 v3, v3, v2
	s_waitcnt lgkmcnt(1)
	v_add_co_u32 v1, vcc_lo, v1, v4
	v_add_co_ci_u32_e32 v2, vcc_lo, 0, v2, vcc_lo
	s_delay_alu instid0(VALU_DEP_2) | instskip(SKIP_1) | instid1(VALU_DEP_2)
	v_add_co_u32 v1, vcc_lo, v1, 0
	s_waitcnt lgkmcnt(0)
	v_add_co_ci_u32_e32 v2, vcc_lo, v2, v3, vcc_lo
.LBB251_9:
	s_or_b32 exec_lo, exec_lo, s2
.LBB251_10:
	v_cmp_eq_u32_e64 s2, 0, v0
	s_and_b32 vcc_lo, exec_lo, s3
	s_cbranch_vccnz .LBB251_15
	s_branch .LBB251_448
.LBB251_11:
	s_mov_b32 s2, 0
                                        ; implicit-def: $vgpr1_vgpr2
	s_cbranch_execnz .LBB251_606
	s_branch .LBB251_758
.LBB251_12:
	s_mov_b32 s2, 0
                                        ; implicit-def: $vgpr1_vgpr2
	s_cbranch_execnz .LBB251_449
	s_branch .LBB251_605
.LBB251_13:
	s_mov_b32 s3, -1
	s_mov_b32 s2, 0
                                        ; implicit-def: $vgpr1_vgpr2
.LBB251_14:
	s_and_b32 vcc_lo, exec_lo, s3
	s_cbranch_vccz .LBB251_448
.LBB251_15:
	s_cmp_eq_u32 s26, 64
                                        ; implicit-def: $vgpr1_vgpr2
	s_cbranch_scc0 .LBB251_448
; %bb.16:
	s_mov_b32 s19, 0
	s_lshl_b32 s6, s18, 13
	s_mov_b32 s7, s19
	s_lshr_b64 s[8:9], s[20:21], 13
	s_lshl_b64 s[2:3], s[6:7], 2
	s_delay_alu instid0(SALU_CYCLE_1)
	s_add_u32 s4, s24, s2
	s_addc_u32 s5, s25, s3
	s_cmp_lg_u64 s[8:9], s[18:19]
	s_cbranch_scc0 .LBB251_298
; %bb.17:
	s_waitcnt lgkmcnt(0)
	v_lshlrev_b32_e32 v3, 2, v0
	s_clause 0x5
	global_load_b32 v5, v3, s[4:5]
	global_load_b32 v6, v3, s[4:5] offset:512
	global_load_b32 v7, v3, s[4:5] offset:1024
	;; [unrolled: 1-line block ×5, first 2 shown]
	v_add_co_u32 v11, s2, s4, v3
	s_delay_alu instid0(VALU_DEP_1)
	v_add_co_ci_u32_e64 v12, null, s5, 0, s2
	global_load_b32 v13, v3, s[4:5] offset:3072
	v_add_co_u32 v1, vcc_lo, v11, 0x2000
	v_add_co_ci_u32_e32 v2, vcc_lo, 0, v12, vcc_lo
	s_clause 0x1
	global_load_b32 v14, v3, s[4:5] offset:3584
	global_load_b32 v15, v[1:2], off offset:-4096
	v_add_co_u32 v3, vcc_lo, 0x1000, v11
	v_add_co_ci_u32_e32 v4, vcc_lo, 0, v12, vcc_lo
	s_clause 0x7
	global_load_b32 v16, v[3:4], off offset:512
	global_load_b32 v17, v[3:4], off offset:1024
	global_load_b32 v18, v[3:4], off offset:1536
	global_load_b32 v19, v[3:4], off offset:2048
	global_load_b32 v20, v[3:4], off offset:2560
	global_load_b32 v21, v[3:4], off offset:3072
	global_load_b32 v22, v[3:4], off offset:3584
	global_load_b32 v23, v[1:2], off
	v_add_co_u32 v1, vcc_lo, 0x2000, v11
	v_add_co_ci_u32_e32 v2, vcc_lo, 0, v12, vcc_lo
	s_clause 0x5
	global_load_b32 v24, v[1:2], off offset:512
	global_load_b32 v25, v[1:2], off offset:1024
	;; [unrolled: 1-line block ×6, first 2 shown]
	v_add_co_u32 v3, vcc_lo, v11, 0x4000
	v_add_co_ci_u32_e32 v4, vcc_lo, 0, v12, vcc_lo
	s_clause 0x1
	global_load_b32 v30, v[1:2], off offset:3584
	global_load_b32 v31, v[3:4], off offset:-4096
	v_add_co_u32 v1, vcc_lo, 0x3000, v11
	v_add_co_ci_u32_e32 v2, vcc_lo, 0, v12, vcc_lo
	s_clause 0x7
	global_load_b32 v32, v[1:2], off offset:512
	global_load_b32 v33, v[1:2], off offset:1024
	;; [unrolled: 1-line block ×7, first 2 shown]
	global_load_b32 v39, v[3:4], off
	v_add_co_u32 v1, vcc_lo, 0x4000, v11
	v_add_co_ci_u32_e32 v2, vcc_lo, 0, v12, vcc_lo
	s_clause 0x5
	global_load_b32 v40, v[1:2], off offset:512
	global_load_b32 v41, v[1:2], off offset:1024
	;; [unrolled: 1-line block ×6, first 2 shown]
	v_add_co_u32 v3, vcc_lo, v11, 0x6000
	v_add_co_ci_u32_e32 v4, vcc_lo, 0, v12, vcc_lo
	s_clause 0x1
	global_load_b32 v46, v[1:2], off offset:3584
	global_load_b32 v47, v[3:4], off offset:-4096
	v_add_co_u32 v1, vcc_lo, 0x5000, v11
	v_add_co_ci_u32_e32 v2, vcc_lo, 0, v12, vcc_lo
	s_clause 0x7
	global_load_b32 v48, v[1:2], off offset:512
	global_load_b32 v49, v[1:2], off offset:1024
	;; [unrolled: 1-line block ×7, first 2 shown]
	global_load_b32 v55, v[3:4], off
	v_add_co_u32 v1, vcc_lo, 0x6000, v11
	v_add_co_ci_u32_e32 v2, vcc_lo, 0, v12, vcc_lo
	s_clause 0x3
	global_load_b32 v56, v[1:2], off offset:512
	global_load_b32 v57, v[1:2], off offset:1024
	;; [unrolled: 1-line block ×4, first 2 shown]
	v_add_co_u32 v3, vcc_lo, 0x7000, v11
	v_add_co_ci_u32_e32 v4, vcc_lo, 0, v12, vcc_lo
	s_clause 0xa
	global_load_b32 v11, v[1:2], off offset:2560
	global_load_b32 v12, v[1:2], off offset:3072
	global_load_b32 v1, v[1:2], off offset:3584
	global_load_b32 v2, v[3:4], off
	global_load_b32 v60, v[3:4], off offset:512
	global_load_b32 v61, v[3:4], off offset:1024
	;; [unrolled: 1-line block ×7, first 2 shown]
	s_waitcnt vmcnt(62)
	v_cmp_neq_f32_e32 vcc_lo, 0, v5
	v_cndmask_b32_e64 v5, 0, 1, vcc_lo
	v_cmp_neq_f32_e32 vcc_lo, 0, v6
	v_cndmask_b32_e64 v6, 0, 1, vcc_lo
	s_waitcnt vmcnt(61)
	v_cmp_neq_f32_e32 vcc_lo, 0, v7
	s_delay_alu instid0(VALU_DEP_2)
	v_add_co_u32 v5, s2, v6, v5
	v_cndmask_b32_e64 v4, 0, 1, vcc_lo
	s_waitcnt vmcnt(60)
	v_cmp_neq_f32_e32 vcc_lo, 0, v8
	v_add_co_ci_u32_e64 v7, null, 0, 0, s2
	s_waitcnt vmcnt(59)
	v_cmp_neq_f32_e64 s2, 0, v9
	v_cndmask_b32_e64 v6, 0, 1, vcc_lo
	v_add_co_u32 v4, vcc_lo, v5, v4
	v_add_co_ci_u32_e32 v7, vcc_lo, 0, v7, vcc_lo
	s_delay_alu instid0(VALU_DEP_4) | instskip(NEXT) | instid1(VALU_DEP_3)
	v_cndmask_b32_e64 v5, 0, 1, s2
	v_add_co_u32 v4, vcc_lo, v4, v6
	s_waitcnt vmcnt(58)
	v_cmp_neq_f32_e64 s2, 0, v10
	v_add_co_ci_u32_e32 v7, vcc_lo, 0, v7, vcc_lo
	s_delay_alu instid0(VALU_DEP_3) | instskip(NEXT) | instid1(VALU_DEP_3)
	v_add_co_u32 v4, vcc_lo, v4, v5
	v_cndmask_b32_e64 v6, 0, 1, s2
	s_waitcnt vmcnt(57)
	v_cmp_neq_f32_e64 s2, 0, v13
	v_add_co_ci_u32_e32 v7, vcc_lo, 0, v7, vcc_lo
	s_delay_alu instid0(VALU_DEP_3) | instskip(NEXT) | instid1(VALU_DEP_3)
	v_add_co_u32 v4, vcc_lo, v4, v6
	v_cndmask_b32_e64 v5, 0, 1, s2
	s_waitcnt vmcnt(56)
	v_cmp_neq_f32_e64 s2, 0, v14
	v_add_co_ci_u32_e32 v7, vcc_lo, 0, v7, vcc_lo
	s_delay_alu instid0(VALU_DEP_3) | instskip(NEXT) | instid1(VALU_DEP_3)
	v_add_co_u32 v4, vcc_lo, v4, v5
	v_cndmask_b32_e64 v6, 0, 1, s2
	s_waitcnt vmcnt(55)
	v_cmp_neq_f32_e64 s2, 0, v15
	v_add_co_ci_u32_e32 v7, vcc_lo, 0, v7, vcc_lo
	s_delay_alu instid0(VALU_DEP_3) | instskip(NEXT) | instid1(VALU_DEP_3)
	v_add_co_u32 v4, vcc_lo, v4, v6
	v_cndmask_b32_e64 v5, 0, 1, s2
	s_waitcnt vmcnt(54)
	v_cmp_neq_f32_e64 s2, 0, v16
	v_add_co_ci_u32_e32 v7, vcc_lo, 0, v7, vcc_lo
	s_delay_alu instid0(VALU_DEP_3) | instskip(NEXT) | instid1(VALU_DEP_3)
	v_add_co_u32 v4, vcc_lo, v4, v5
	v_cndmask_b32_e64 v6, 0, 1, s2
	s_waitcnt vmcnt(53)
	v_cmp_neq_f32_e64 s2, 0, v17
	v_add_co_ci_u32_e32 v7, vcc_lo, 0, v7, vcc_lo
	s_delay_alu instid0(VALU_DEP_3) | instskip(NEXT) | instid1(VALU_DEP_3)
	v_add_co_u32 v4, vcc_lo, v4, v6
	v_cndmask_b32_e64 v5, 0, 1, s2
	s_waitcnt vmcnt(52)
	v_cmp_neq_f32_e64 s2, 0, v18
	v_add_co_ci_u32_e32 v7, vcc_lo, 0, v7, vcc_lo
	s_delay_alu instid0(VALU_DEP_3) | instskip(NEXT) | instid1(VALU_DEP_3)
	v_add_co_u32 v4, vcc_lo, v4, v5
	v_cndmask_b32_e64 v6, 0, 1, s2
	s_waitcnt vmcnt(51)
	v_cmp_neq_f32_e64 s2, 0, v19
	v_add_co_ci_u32_e32 v7, vcc_lo, 0, v7, vcc_lo
	s_delay_alu instid0(VALU_DEP_3) | instskip(NEXT) | instid1(VALU_DEP_3)
	v_add_co_u32 v4, vcc_lo, v4, v6
	v_cndmask_b32_e64 v5, 0, 1, s2
	s_waitcnt vmcnt(50)
	v_cmp_neq_f32_e64 s2, 0, v20
	v_add_co_ci_u32_e32 v7, vcc_lo, 0, v7, vcc_lo
	s_delay_alu instid0(VALU_DEP_3) | instskip(NEXT) | instid1(VALU_DEP_3)
	v_add_co_u32 v4, vcc_lo, v4, v5
	v_cndmask_b32_e64 v6, 0, 1, s2
	s_waitcnt vmcnt(49)
	v_cmp_neq_f32_e64 s2, 0, v21
	v_add_co_ci_u32_e32 v7, vcc_lo, 0, v7, vcc_lo
	s_delay_alu instid0(VALU_DEP_3) | instskip(NEXT) | instid1(VALU_DEP_3)
	v_add_co_u32 v4, vcc_lo, v4, v6
	v_cndmask_b32_e64 v5, 0, 1, s2
	s_waitcnt vmcnt(48)
	v_cmp_neq_f32_e64 s2, 0, v22
	v_add_co_ci_u32_e32 v7, vcc_lo, 0, v7, vcc_lo
	s_delay_alu instid0(VALU_DEP_3) | instskip(NEXT) | instid1(VALU_DEP_3)
	v_add_co_u32 v4, vcc_lo, v4, v5
	v_cndmask_b32_e64 v6, 0, 1, s2
	s_waitcnt vmcnt(47)
	v_cmp_neq_f32_e64 s2, 0, v23
	v_add_co_ci_u32_e32 v7, vcc_lo, 0, v7, vcc_lo
	s_delay_alu instid0(VALU_DEP_3) | instskip(NEXT) | instid1(VALU_DEP_3)
	v_add_co_u32 v4, vcc_lo, v4, v6
	v_cndmask_b32_e64 v5, 0, 1, s2
	s_waitcnt vmcnt(46)
	v_cmp_neq_f32_e64 s2, 0, v24
	v_add_co_ci_u32_e32 v7, vcc_lo, 0, v7, vcc_lo
	s_delay_alu instid0(VALU_DEP_3) | instskip(NEXT) | instid1(VALU_DEP_3)
	v_add_co_u32 v4, vcc_lo, v4, v5
	v_cndmask_b32_e64 v6, 0, 1, s2
	s_waitcnt vmcnt(45)
	v_cmp_neq_f32_e64 s2, 0, v25
	v_add_co_ci_u32_e32 v7, vcc_lo, 0, v7, vcc_lo
	s_delay_alu instid0(VALU_DEP_3) | instskip(NEXT) | instid1(VALU_DEP_3)
	v_add_co_u32 v4, vcc_lo, v4, v6
	v_cndmask_b32_e64 v5, 0, 1, s2
	s_waitcnt vmcnt(44)
	v_cmp_neq_f32_e64 s2, 0, v26
	v_add_co_ci_u32_e32 v7, vcc_lo, 0, v7, vcc_lo
	s_delay_alu instid0(VALU_DEP_3) | instskip(NEXT) | instid1(VALU_DEP_3)
	v_add_co_u32 v4, vcc_lo, v4, v5
	v_cndmask_b32_e64 v6, 0, 1, s2
	s_waitcnt vmcnt(43)
	v_cmp_neq_f32_e64 s2, 0, v27
	v_add_co_ci_u32_e32 v7, vcc_lo, 0, v7, vcc_lo
	s_delay_alu instid0(VALU_DEP_3) | instskip(NEXT) | instid1(VALU_DEP_3)
	v_add_co_u32 v4, vcc_lo, v4, v6
	v_cndmask_b32_e64 v5, 0, 1, s2
	s_waitcnt vmcnt(42)
	v_cmp_neq_f32_e64 s2, 0, v28
	v_add_co_ci_u32_e32 v7, vcc_lo, 0, v7, vcc_lo
	s_delay_alu instid0(VALU_DEP_3) | instskip(NEXT) | instid1(VALU_DEP_3)
	v_add_co_u32 v4, vcc_lo, v4, v5
	v_cndmask_b32_e64 v6, 0, 1, s2
	s_waitcnt vmcnt(41)
	v_cmp_neq_f32_e64 s2, 0, v29
	v_add_co_ci_u32_e32 v7, vcc_lo, 0, v7, vcc_lo
	s_delay_alu instid0(VALU_DEP_3) | instskip(NEXT) | instid1(VALU_DEP_3)
	v_add_co_u32 v4, vcc_lo, v4, v6
	v_cndmask_b32_e64 v5, 0, 1, s2
	s_waitcnt vmcnt(40)
	v_cmp_neq_f32_e64 s2, 0, v30
	v_add_co_ci_u32_e32 v7, vcc_lo, 0, v7, vcc_lo
	s_delay_alu instid0(VALU_DEP_3) | instskip(NEXT) | instid1(VALU_DEP_3)
	v_add_co_u32 v4, vcc_lo, v4, v5
	v_cndmask_b32_e64 v6, 0, 1, s2
	s_waitcnt vmcnt(39)
	v_cmp_neq_f32_e64 s2, 0, v31
	v_add_co_ci_u32_e32 v7, vcc_lo, 0, v7, vcc_lo
	s_delay_alu instid0(VALU_DEP_3) | instskip(NEXT) | instid1(VALU_DEP_3)
	v_add_co_u32 v4, vcc_lo, v4, v6
	v_cndmask_b32_e64 v5, 0, 1, s2
	s_waitcnt vmcnt(38)
	v_cmp_neq_f32_e64 s2, 0, v32
	v_add_co_ci_u32_e32 v7, vcc_lo, 0, v7, vcc_lo
	s_delay_alu instid0(VALU_DEP_3) | instskip(NEXT) | instid1(VALU_DEP_3)
	v_add_co_u32 v4, vcc_lo, v4, v5
	v_cndmask_b32_e64 v6, 0, 1, s2
	s_waitcnt vmcnt(37)
	v_cmp_neq_f32_e64 s2, 0, v33
	v_add_co_ci_u32_e32 v7, vcc_lo, 0, v7, vcc_lo
	s_delay_alu instid0(VALU_DEP_3) | instskip(NEXT) | instid1(VALU_DEP_3)
	v_add_co_u32 v4, vcc_lo, v4, v6
	v_cndmask_b32_e64 v5, 0, 1, s2
	s_waitcnt vmcnt(36)
	v_cmp_neq_f32_e64 s2, 0, v34
	v_add_co_ci_u32_e32 v7, vcc_lo, 0, v7, vcc_lo
	s_delay_alu instid0(VALU_DEP_3) | instskip(NEXT) | instid1(VALU_DEP_3)
	v_add_co_u32 v4, vcc_lo, v4, v5
	v_cndmask_b32_e64 v6, 0, 1, s2
	s_waitcnt vmcnt(35)
	v_cmp_neq_f32_e64 s2, 0, v35
	v_add_co_ci_u32_e32 v7, vcc_lo, 0, v7, vcc_lo
	s_delay_alu instid0(VALU_DEP_3) | instskip(NEXT) | instid1(VALU_DEP_3)
	v_add_co_u32 v4, vcc_lo, v4, v6
	v_cndmask_b32_e64 v5, 0, 1, s2
	s_waitcnt vmcnt(34)
	v_cmp_neq_f32_e64 s2, 0, v36
	v_add_co_ci_u32_e32 v7, vcc_lo, 0, v7, vcc_lo
	s_delay_alu instid0(VALU_DEP_3) | instskip(NEXT) | instid1(VALU_DEP_3)
	v_add_co_u32 v4, vcc_lo, v4, v5
	v_cndmask_b32_e64 v6, 0, 1, s2
	s_waitcnt vmcnt(33)
	v_cmp_neq_f32_e64 s2, 0, v37
	v_add_co_ci_u32_e32 v7, vcc_lo, 0, v7, vcc_lo
	s_delay_alu instid0(VALU_DEP_3) | instskip(NEXT) | instid1(VALU_DEP_3)
	v_add_co_u32 v4, vcc_lo, v4, v6
	v_cndmask_b32_e64 v5, 0, 1, s2
	s_waitcnt vmcnt(32)
	v_cmp_neq_f32_e64 s2, 0, v38
	v_add_co_ci_u32_e32 v7, vcc_lo, 0, v7, vcc_lo
	s_delay_alu instid0(VALU_DEP_3) | instskip(NEXT) | instid1(VALU_DEP_3)
	v_add_co_u32 v4, vcc_lo, v4, v5
	v_cndmask_b32_e64 v6, 0, 1, s2
	s_waitcnt vmcnt(31)
	v_cmp_neq_f32_e64 s2, 0, v39
	v_add_co_ci_u32_e32 v7, vcc_lo, 0, v7, vcc_lo
	s_delay_alu instid0(VALU_DEP_3) | instskip(NEXT) | instid1(VALU_DEP_3)
	v_add_co_u32 v4, vcc_lo, v4, v6
	v_cndmask_b32_e64 v5, 0, 1, s2
	s_waitcnt vmcnt(30)
	v_cmp_neq_f32_e64 s2, 0, v40
	v_add_co_ci_u32_e32 v7, vcc_lo, 0, v7, vcc_lo
	s_delay_alu instid0(VALU_DEP_3) | instskip(NEXT) | instid1(VALU_DEP_3)
	v_add_co_u32 v4, vcc_lo, v4, v5
	v_cndmask_b32_e64 v6, 0, 1, s2
	s_waitcnt vmcnt(29)
	v_cmp_neq_f32_e64 s2, 0, v41
	v_add_co_ci_u32_e32 v7, vcc_lo, 0, v7, vcc_lo
	s_delay_alu instid0(VALU_DEP_3) | instskip(NEXT) | instid1(VALU_DEP_3)
	v_add_co_u32 v4, vcc_lo, v4, v6
	v_cndmask_b32_e64 v5, 0, 1, s2
	s_waitcnt vmcnt(28)
	v_cmp_neq_f32_e64 s2, 0, v42
	v_add_co_ci_u32_e32 v7, vcc_lo, 0, v7, vcc_lo
	s_delay_alu instid0(VALU_DEP_3) | instskip(NEXT) | instid1(VALU_DEP_3)
	v_add_co_u32 v4, vcc_lo, v4, v5
	v_cndmask_b32_e64 v6, 0, 1, s2
	s_waitcnt vmcnt(27)
	v_cmp_neq_f32_e64 s2, 0, v43
	v_add_co_ci_u32_e32 v7, vcc_lo, 0, v7, vcc_lo
	s_delay_alu instid0(VALU_DEP_3) | instskip(NEXT) | instid1(VALU_DEP_3)
	v_add_co_u32 v4, vcc_lo, v4, v6
	v_cndmask_b32_e64 v5, 0, 1, s2
	s_waitcnt vmcnt(26)
	v_cmp_neq_f32_e64 s2, 0, v44
	v_add_co_ci_u32_e32 v7, vcc_lo, 0, v7, vcc_lo
	s_delay_alu instid0(VALU_DEP_3) | instskip(NEXT) | instid1(VALU_DEP_3)
	v_add_co_u32 v4, vcc_lo, v4, v5
	v_cndmask_b32_e64 v6, 0, 1, s2
	s_waitcnt vmcnt(25)
	v_cmp_neq_f32_e64 s2, 0, v45
	v_add_co_ci_u32_e32 v7, vcc_lo, 0, v7, vcc_lo
	s_delay_alu instid0(VALU_DEP_3) | instskip(NEXT) | instid1(VALU_DEP_3)
	v_add_co_u32 v4, vcc_lo, v4, v6
	v_cndmask_b32_e64 v5, 0, 1, s2
	s_waitcnt vmcnt(24)
	v_cmp_neq_f32_e64 s2, 0, v46
	v_add_co_ci_u32_e32 v7, vcc_lo, 0, v7, vcc_lo
	s_delay_alu instid0(VALU_DEP_3) | instskip(NEXT) | instid1(VALU_DEP_3)
	v_add_co_u32 v4, vcc_lo, v4, v5
	v_cndmask_b32_e64 v6, 0, 1, s2
	s_waitcnt vmcnt(23)
	v_cmp_neq_f32_e64 s2, 0, v47
	v_add_co_ci_u32_e32 v7, vcc_lo, 0, v7, vcc_lo
	s_delay_alu instid0(VALU_DEP_3) | instskip(NEXT) | instid1(VALU_DEP_3)
	v_add_co_u32 v4, vcc_lo, v4, v6
	v_cndmask_b32_e64 v5, 0, 1, s2
	s_waitcnt vmcnt(22)
	v_cmp_neq_f32_e64 s2, 0, v48
	v_add_co_ci_u32_e32 v7, vcc_lo, 0, v7, vcc_lo
	s_delay_alu instid0(VALU_DEP_3) | instskip(NEXT) | instid1(VALU_DEP_3)
	v_add_co_u32 v4, vcc_lo, v4, v5
	v_cndmask_b32_e64 v6, 0, 1, s2
	s_waitcnt vmcnt(21)
	v_cmp_neq_f32_e64 s2, 0, v49
	v_add_co_ci_u32_e32 v7, vcc_lo, 0, v7, vcc_lo
	s_delay_alu instid0(VALU_DEP_3) | instskip(NEXT) | instid1(VALU_DEP_3)
	v_add_co_u32 v4, vcc_lo, v4, v6
	v_cndmask_b32_e64 v5, 0, 1, s2
	s_waitcnt vmcnt(20)
	v_cmp_neq_f32_e64 s2, 0, v50
	v_add_co_ci_u32_e32 v7, vcc_lo, 0, v7, vcc_lo
	s_delay_alu instid0(VALU_DEP_3) | instskip(NEXT) | instid1(VALU_DEP_3)
	v_add_co_u32 v4, vcc_lo, v4, v5
	v_cndmask_b32_e64 v6, 0, 1, s2
	s_waitcnt vmcnt(19)
	v_cmp_neq_f32_e64 s2, 0, v51
	v_add_co_ci_u32_e32 v7, vcc_lo, 0, v7, vcc_lo
	s_delay_alu instid0(VALU_DEP_3) | instskip(NEXT) | instid1(VALU_DEP_3)
	v_add_co_u32 v4, vcc_lo, v4, v6
	v_cndmask_b32_e64 v5, 0, 1, s2
	s_waitcnt vmcnt(18)
	v_cmp_neq_f32_e64 s2, 0, v52
	v_add_co_ci_u32_e32 v7, vcc_lo, 0, v7, vcc_lo
	s_delay_alu instid0(VALU_DEP_3) | instskip(NEXT) | instid1(VALU_DEP_3)
	v_add_co_u32 v4, vcc_lo, v4, v5
	v_cndmask_b32_e64 v6, 0, 1, s2
	s_waitcnt vmcnt(17)
	v_cmp_neq_f32_e64 s2, 0, v53
	v_add_co_ci_u32_e32 v7, vcc_lo, 0, v7, vcc_lo
	s_delay_alu instid0(VALU_DEP_3) | instskip(NEXT) | instid1(VALU_DEP_3)
	v_add_co_u32 v4, vcc_lo, v4, v6
	v_cndmask_b32_e64 v5, 0, 1, s2
	s_waitcnt vmcnt(16)
	v_cmp_neq_f32_e64 s2, 0, v54
	v_add_co_ci_u32_e32 v7, vcc_lo, 0, v7, vcc_lo
	s_delay_alu instid0(VALU_DEP_3) | instskip(NEXT) | instid1(VALU_DEP_3)
	v_add_co_u32 v4, vcc_lo, v4, v5
	v_cndmask_b32_e64 v6, 0, 1, s2
	s_waitcnt vmcnt(15)
	v_cmp_neq_f32_e64 s2, 0, v55
	v_add_co_ci_u32_e32 v7, vcc_lo, 0, v7, vcc_lo
	s_delay_alu instid0(VALU_DEP_3) | instskip(NEXT) | instid1(VALU_DEP_3)
	v_add_co_u32 v4, vcc_lo, v4, v6
	v_cndmask_b32_e64 v5, 0, 1, s2
	s_waitcnt vmcnt(14)
	v_cmp_neq_f32_e64 s2, 0, v56
	v_add_co_ci_u32_e32 v7, vcc_lo, 0, v7, vcc_lo
	s_delay_alu instid0(VALU_DEP_3) | instskip(NEXT) | instid1(VALU_DEP_3)
	v_add_co_u32 v4, vcc_lo, v4, v5
	v_cndmask_b32_e64 v6, 0, 1, s2
	s_waitcnt vmcnt(13)
	v_cmp_neq_f32_e64 s2, 0, v57
	v_add_co_ci_u32_e32 v7, vcc_lo, 0, v7, vcc_lo
	s_delay_alu instid0(VALU_DEP_3) | instskip(NEXT) | instid1(VALU_DEP_3)
	v_add_co_u32 v4, vcc_lo, v4, v6
	v_cndmask_b32_e64 v5, 0, 1, s2
	s_waitcnt vmcnt(12)
	v_cmp_neq_f32_e64 s2, 0, v58
	v_add_co_ci_u32_e32 v7, vcc_lo, 0, v7, vcc_lo
	s_delay_alu instid0(VALU_DEP_3) | instskip(NEXT) | instid1(VALU_DEP_3)
	v_add_co_u32 v4, vcc_lo, v4, v5
	v_cndmask_b32_e64 v6, 0, 1, s2
	s_waitcnt vmcnt(11)
	v_cmp_neq_f32_e64 s2, 0, v59
	v_add_co_ci_u32_e32 v7, vcc_lo, 0, v7, vcc_lo
	s_delay_alu instid0(VALU_DEP_3) | instskip(NEXT) | instid1(VALU_DEP_3)
	v_add_co_u32 v4, vcc_lo, v4, v6
	v_cndmask_b32_e64 v5, 0, 1, s2
	s_waitcnt vmcnt(10)
	v_cmp_neq_f32_e64 s2, 0, v11
	v_add_co_ci_u32_e32 v7, vcc_lo, 0, v7, vcc_lo
	s_delay_alu instid0(VALU_DEP_3) | instskip(NEXT) | instid1(VALU_DEP_3)
	v_add_co_u32 v4, vcc_lo, v4, v5
	v_cndmask_b32_e64 v6, 0, 1, s2
	s_waitcnt vmcnt(9)
	v_cmp_neq_f32_e64 s2, 0, v12
	v_add_co_ci_u32_e32 v7, vcc_lo, 0, v7, vcc_lo
	s_delay_alu instid0(VALU_DEP_3) | instskip(NEXT) | instid1(VALU_DEP_3)
	v_add_co_u32 v4, vcc_lo, v4, v6
	v_cndmask_b32_e64 v5, 0, 1, s2
	s_waitcnt vmcnt(8)
	v_cmp_neq_f32_e64 s2, 0, v1
	v_add_co_ci_u32_e32 v6, vcc_lo, 0, v7, vcc_lo
	s_delay_alu instid0(VALU_DEP_3) | instskip(NEXT) | instid1(VALU_DEP_3)
	v_add_co_u32 v4, vcc_lo, v4, v5
	v_cndmask_b32_e64 v1, 0, 1, s2
	s_waitcnt vmcnt(7)
	v_cmp_neq_f32_e64 s2, 0, v2
	v_add_co_ci_u32_e32 v5, vcc_lo, 0, v6, vcc_lo
	s_delay_alu instid0(VALU_DEP_3) | instskip(NEXT) | instid1(VALU_DEP_3)
	v_add_co_u32 v1, vcc_lo, v4, v1
	v_cndmask_b32_e64 v2, 0, 1, s2
	s_waitcnt vmcnt(6)
	v_cmp_neq_f32_e64 s2, 0, v60
	v_add_co_ci_u32_e32 v5, vcc_lo, 0, v5, vcc_lo
	s_delay_alu instid0(VALU_DEP_3) | instskip(NEXT) | instid1(VALU_DEP_3)
	v_add_co_u32 v1, vcc_lo, v1, v2
	v_cndmask_b32_e64 v4, 0, 1, s2
	s_waitcnt vmcnt(5)
	v_cmp_neq_f32_e64 s2, 0, v61
	v_add_co_ci_u32_e32 v5, vcc_lo, 0, v5, vcc_lo
	s_delay_alu instid0(VALU_DEP_3) | instskip(NEXT) | instid1(VALU_DEP_3)
	v_add_co_u32 v1, vcc_lo, v1, v4
	v_cndmask_b32_e64 v2, 0, 1, s2
	s_waitcnt vmcnt(4)
	v_cmp_neq_f32_e64 s2, 0, v62
	v_add_co_ci_u32_e32 v5, vcc_lo, 0, v5, vcc_lo
	s_delay_alu instid0(VALU_DEP_3) | instskip(NEXT) | instid1(VALU_DEP_3)
	v_add_co_u32 v1, vcc_lo, v1, v2
	v_cndmask_b32_e64 v4, 0, 1, s2
	s_waitcnt vmcnt(3)
	v_cmp_neq_f32_e64 s2, 0, v63
	v_add_co_ci_u32_e32 v5, vcc_lo, 0, v5, vcc_lo
	s_delay_alu instid0(VALU_DEP_3) | instskip(NEXT) | instid1(VALU_DEP_3)
	v_add_co_u32 v1, vcc_lo, v1, v4
	v_cndmask_b32_e64 v2, 0, 1, s2
	s_waitcnt vmcnt(2)
	v_cmp_neq_f32_e64 s2, 0, v64
	v_add_co_ci_u32_e32 v5, vcc_lo, 0, v5, vcc_lo
	s_delay_alu instid0(VALU_DEP_3) | instskip(NEXT) | instid1(VALU_DEP_3)
	v_add_co_u32 v1, vcc_lo, v1, v2
	v_cndmask_b32_e64 v4, 0, 1, s2
	s_waitcnt vmcnt(1)
	v_cmp_neq_f32_e64 s2, 0, v65
	v_add_co_ci_u32_e32 v5, vcc_lo, 0, v5, vcc_lo
	s_delay_alu instid0(VALU_DEP_3) | instskip(NEXT) | instid1(VALU_DEP_3)
	v_add_co_u32 v1, vcc_lo, v1, v4
	v_cndmask_b32_e64 v2, 0, 1, s2
	s_waitcnt vmcnt(0)
	v_cmp_neq_f32_e64 s2, 0, v3
	v_add_co_ci_u32_e32 v4, vcc_lo, 0, v5, vcc_lo
	s_delay_alu instid0(VALU_DEP_3) | instskip(NEXT) | instid1(VALU_DEP_3)
	v_add_co_u32 v1, vcc_lo, v1, v2
	v_cndmask_b32_e64 v3, 0, 1, s2
	s_delay_alu instid0(VALU_DEP_3) | instskip(SKIP_2) | instid1(VALU_DEP_3)
	v_add_co_ci_u32_e32 v2, vcc_lo, 0, v4, vcc_lo
	v_mov_b32_e32 v4, 0
	s_mov_b32 s2, exec_lo
	v_add_co_u32 v1, vcc_lo, v1, v3
	s_delay_alu instid0(VALU_DEP_3) | instskip(NEXT) | instid1(VALU_DEP_2)
	v_add_co_ci_u32_e32 v2, vcc_lo, 0, v2, vcc_lo
	v_mov_b32_dpp v3, v1 quad_perm:[1,0,3,2] row_mask:0xf bank_mask:0xf
	s_delay_alu instid0(VALU_DEP_1) | instskip(SKIP_1) | instid1(VALU_DEP_4)
	v_add_co_u32 v1, vcc_lo, v1, v3
	v_mov_b32_dpp v3, v4 quad_perm:[1,0,3,2] row_mask:0xf bank_mask:0xf
	v_add_co_ci_u32_e32 v2, vcc_lo, 0, v2, vcc_lo
	s_delay_alu instid0(VALU_DEP_3) | instskip(SKIP_1) | instid1(VALU_DEP_3)
	v_mov_b32_dpp v5, v1 quad_perm:[2,3,0,1] row_mask:0xf bank_mask:0xf
	v_add_co_u32 v1, vcc_lo, 0, v1
	v_add_co_ci_u32_e32 v2, vcc_lo, v3, v2, vcc_lo
	s_delay_alu instid0(VALU_DEP_2) | instskip(NEXT) | instid1(VALU_DEP_2)
	v_add_co_u32 v1, vcc_lo, v1, v5
	v_mov_b32_dpp v3, v2 quad_perm:[2,3,0,1] row_mask:0xf bank_mask:0xf
	v_add_co_ci_u32_e32 v2, vcc_lo, 0, v2, vcc_lo
	s_delay_alu instid0(VALU_DEP_3) | instskip(SKIP_1) | instid1(VALU_DEP_3)
	v_mov_b32_dpp v5, v1 row_ror:4 row_mask:0xf bank_mask:0xf
	v_add_co_u32 v1, vcc_lo, v1, 0
	v_add_co_ci_u32_e32 v2, vcc_lo, v2, v3, vcc_lo
	s_delay_alu instid0(VALU_DEP_2) | instskip(NEXT) | instid1(VALU_DEP_2)
	v_add_co_u32 v1, vcc_lo, v1, v5
	v_mov_b32_dpp v3, v2 row_ror:4 row_mask:0xf bank_mask:0xf
	v_add_co_ci_u32_e32 v2, vcc_lo, 0, v2, vcc_lo
	s_delay_alu instid0(VALU_DEP_3) | instskip(SKIP_1) | instid1(VALU_DEP_3)
	v_mov_b32_dpp v5, v1 row_ror:8 row_mask:0xf bank_mask:0xf
	v_add_co_u32 v1, vcc_lo, v1, 0
	v_add_co_ci_u32_e32 v2, vcc_lo, v2, v3, vcc_lo
	s_delay_alu instid0(VALU_DEP_2) | instskip(NEXT) | instid1(VALU_DEP_2)
	v_add_co_u32 v1, vcc_lo, v1, v5
	v_mov_b32_dpp v3, v2 row_ror:8 row_mask:0xf bank_mask:0xf
	v_add_co_ci_u32_e32 v2, vcc_lo, 0, v2, vcc_lo
	ds_swizzle_b32 v5, v1 offset:swizzle(BROADCAST,32,15)
	v_add_co_u32 v1, vcc_lo, v1, 0
	v_add_co_ci_u32_e32 v2, vcc_lo, v2, v3, vcc_lo
	ds_swizzle_b32 v3, v2 offset:swizzle(BROADCAST,32,15)
	s_waitcnt lgkmcnt(1)
	v_add_co_u32 v1, vcc_lo, v1, v5
	v_add_co_ci_u32_e32 v2, vcc_lo, 0, v2, vcc_lo
	ds_bpermute_b32 v1, v4, v1 offset:124
	s_waitcnt lgkmcnt(1)
	v_add_nc_u32_e32 v2, v3, v2
	v_mbcnt_lo_u32_b32 v3, -1, 0
	ds_bpermute_b32 v2, v4, v2 offset:124
	v_cmpx_eq_u32_e32 0, v3
	s_cbranch_execz .LBB251_19
; %bb.18:
	v_lshrrev_b32_e32 v4, 2, v0
	s_delay_alu instid0(VALU_DEP_1)
	v_and_b32_e32 v4, 24, v4
	s_waitcnt lgkmcnt(0)
	ds_store_b64 v4, v[1:2] offset:192
.LBB251_19:
	s_or_b32 exec_lo, exec_lo, s2
	s_delay_alu instid0(SALU_CYCLE_1)
	s_mov_b32 s2, exec_lo
	s_waitcnt lgkmcnt(0)
	s_barrier
	buffer_gl0_inv
	v_cmpx_gt_u32_e32 32, v0
	s_cbranch_execz .LBB251_21
; %bb.20:
	v_and_b32_e32 v4, 3, v3
	s_delay_alu instid0(VALU_DEP_1) | instskip(SKIP_4) | instid1(VALU_DEP_2)
	v_lshlrev_b32_e32 v1, 3, v4
	v_cmp_ne_u32_e32 vcc_lo, 3, v4
	ds_load_b64 v[1:2], v1 offset:192
	v_add_co_ci_u32_e32 v5, vcc_lo, 0, v3, vcc_lo
	v_cmp_gt_u32_e32 vcc_lo, 2, v4
	v_lshlrev_b32_e32 v5, 2, v5
	v_cndmask_b32_e64 v4, 0, 1, vcc_lo
	s_delay_alu instid0(VALU_DEP_1) | instskip(NEXT) | instid1(VALU_DEP_1)
	v_lshlrev_b32_e32 v4, 1, v4
	v_add_lshl_u32 v3, v4, v3, 2
	s_waitcnt lgkmcnt(0)
	ds_bpermute_b32 v6, v5, v1
	ds_bpermute_b32 v5, v5, v2
	s_waitcnt lgkmcnt(1)
	v_add_co_u32 v1, vcc_lo, v1, v6
	v_add_co_ci_u32_e32 v2, vcc_lo, 0, v2, vcc_lo
	ds_bpermute_b32 v4, v3, v1
	v_add_co_u32 v1, vcc_lo, 0, v1
	s_waitcnt lgkmcnt(1)
	v_add_co_ci_u32_e32 v2, vcc_lo, v5, v2, vcc_lo
	ds_bpermute_b32 v3, v3, v2
	s_waitcnt lgkmcnt(1)
	v_add_co_u32 v1, vcc_lo, v1, v4
	v_add_co_ci_u32_e32 v2, vcc_lo, 0, v2, vcc_lo
	s_delay_alu instid0(VALU_DEP_2) | instskip(SKIP_1) | instid1(VALU_DEP_2)
	v_add_co_u32 v1, vcc_lo, v1, 0
	s_waitcnt lgkmcnt(0)
	v_add_co_ci_u32_e32 v2, vcc_lo, v2, v3, vcc_lo
.LBB251_21:
	s_or_b32 exec_lo, exec_lo, s2
	s_mov_b32 s2, 0
	s_branch .LBB251_299
.LBB251_22:
                                        ; implicit-def: $vgpr1_vgpr2
	s_cbranch_execz .LBB251_10
; %bb.23:
	s_sub_i32 s2, s20, s6
	s_mov_b32 s6, exec_lo
                                        ; implicit-def: $vgpr1_vgpr2
                                        ; kill: killed $vgpr1_vgpr2
	v_cmpx_gt_u32_e64 s2, v0
	s_cbranch_execz .LBB251_25
; %bb.24:
	s_mov_b32 s7, 0
	s_delay_alu instid0(SALU_CYCLE_1)
	v_dual_mov_b32 v2, s7 :: v_dual_lshlrev_b32 v1, 2, v0
	global_load_b32 v1, v1, s[4:5]
	s_waitcnt vmcnt(0)
	v_cmp_neq_f32_e32 vcc_lo, 0, v1
	v_cndmask_b32_e64 v1, 0, 1, vcc_lo
	scratch_store_b64 off, v[1:2], off offset:8 ; 8-byte Folded Spill
.LBB251_25:
	s_or_b32 exec_lo, exec_lo, s6
	v_mov_b32_e32 v3, 0
	v_or_b32_e32 v1, 0x80, v0
	v_mov_b32_e32 v4, 0
	s_delay_alu instid0(VALU_DEP_2) | instskip(NEXT) | instid1(VALU_DEP_2)
	v_cmp_gt_u32_e32 vcc_lo, s2, v1
	v_dual_mov_b32 v1, v3 :: v_dual_mov_b32 v2, v4
	s_and_saveexec_b32 s6, vcc_lo
	s_cbranch_execz .LBB251_27
; %bb.26:
	s_mov_b32 s7, 0
	s_delay_alu instid0(SALU_CYCLE_1)
	v_dual_mov_b32 v2, s7 :: v_dual_lshlrev_b32 v1, 2, v0
	global_load_b32 v1, v1, s[4:5] offset:512
	s_waitcnt vmcnt(0)
	v_cmp_neq_f32_e32 vcc_lo, 0, v1
	v_cndmask_b32_e64 v1, 0, 1, vcc_lo
.LBB251_27:
	s_or_b32 exec_lo, exec_lo, s6
	v_or_b32_e32 v5, 0x100, v0
	s_mov_b32 s6, exec_lo
	s_delay_alu instid0(VALU_DEP_1)
	v_cmpx_gt_u32_e64 s2, v5
	s_cbranch_execz .LBB251_29
; %bb.28:
	s_mov_b32 s7, 0
	s_delay_alu instid0(SALU_CYCLE_1)
	v_dual_mov_b32 v4, s7 :: v_dual_lshlrev_b32 v3, 2, v0
	global_load_b32 v3, v3, s[4:5] offset:1024
	s_waitcnt vmcnt(0)
	v_cmp_neq_f32_e32 vcc_lo, 0, v3
	v_cndmask_b32_e64 v3, 0, 1, vcc_lo
.LBB251_29:
	s_or_b32 exec_lo, exec_lo, s6
	v_mov_b32_e32 v7, 0
	v_mov_b32_e32 v8, 0
	v_or_b32_e32 v5, 0x180, v0
	s_mov_b32 s6, exec_lo
	s_delay_alu instid0(VALU_DEP_2) | instskip(NEXT) | instid1(VALU_DEP_2)
	v_dual_mov_b32 v14, v8 :: v_dual_mov_b32 v13, v7
	v_cmpx_gt_u32_e64 s2, v5
	s_cbranch_execz .LBB251_31
; %bb.30:
	s_mov_b32 s7, 0
	s_delay_alu instid0(SALU_CYCLE_1)
	v_dual_mov_b32 v14, s7 :: v_dual_lshlrev_b32 v5, 2, v0
	global_load_b32 v5, v5, s[4:5] offset:1536
	s_waitcnt vmcnt(0)
	v_cmp_neq_f32_e32 vcc_lo, 0, v5
	v_cndmask_b32_e64 v13, 0, 1, vcc_lo
.LBB251_31:
	s_or_b32 exec_lo, exec_lo, s6
	v_or_b32_e32 v5, 0x200, v0
	s_mov_b32 s6, exec_lo
	s_delay_alu instid0(VALU_DEP_1)
	v_cmpx_gt_u32_e64 s2, v5
	s_cbranch_execz .LBB251_33
; %bb.32:
	s_mov_b32 s7, 0
	s_delay_alu instid0(SALU_CYCLE_1)
	v_dual_mov_b32 v8, s7 :: v_dual_lshlrev_b32 v5, 2, v0
	global_load_b32 v5, v5, s[4:5] offset:2048
	s_waitcnt vmcnt(0)
	v_cmp_neq_f32_e32 vcc_lo, 0, v5
	v_cndmask_b32_e64 v7, 0, 1, vcc_lo
.LBB251_33:
	s_or_b32 exec_lo, exec_lo, s6
	v_mov_b32_e32 v11, 0
	v_or_b32_e32 v5, 0x280, v0
	v_mov_b32_e32 v12, 0
	s_mov_b32 s6, exec_lo
	scratch_store_b64 off, v[11:12], off    ; 8-byte Folded Spill
	v_cmpx_gt_u32_e64 s2, v5
	s_cbranch_execz .LBB251_35
; %bb.34:
	s_mov_b32 s7, 0
	s_delay_alu instid0(SALU_CYCLE_1)
	v_dual_mov_b32 v6, s7 :: v_dual_lshlrev_b32 v5, 2, v0
	global_load_b32 v5, v5, s[4:5] offset:2560
	s_waitcnt vmcnt(0)
	v_cmp_neq_f32_e32 vcc_lo, 0, v5
	v_cndmask_b32_e64 v5, 0, 1, vcc_lo
	scratch_store_b64 off, v[5:6], off      ; 8-byte Folded Spill
.LBB251_35:
	s_or_b32 exec_lo, exec_lo, s6
	v_or_b32_e32 v5, 0x300, v0
	s_mov_b32 s6, exec_lo
	s_delay_alu instid0(VALU_DEP_1)
	v_cmpx_gt_u32_e64 s2, v5
	s_cbranch_execz .LBB251_37
; %bb.36:
	s_mov_b32 s7, 0
	s_delay_alu instid0(SALU_CYCLE_1)
	v_dual_mov_b32 v12, s7 :: v_dual_lshlrev_b32 v5, 2, v0
	global_load_b32 v5, v5, s[4:5] offset:3072
	s_waitcnt vmcnt(0)
	v_cmp_neq_f32_e32 vcc_lo, 0, v5
	v_cndmask_b32_e64 v11, 0, 1, vcc_lo
.LBB251_37:
	s_or_b32 exec_lo, exec_lo, s6
	v_mov_b32_e32 v15, 0
	v_mov_b32_e32 v16, 0
	v_or_b32_e32 v5, 0x380, v0
	s_mov_b32 s6, exec_lo
	s_delay_alu instid0(VALU_DEP_2) | instskip(NEXT) | instid1(VALU_DEP_2)
	v_dual_mov_b32 v18, v16 :: v_dual_mov_b32 v17, v15
	v_cmpx_gt_u32_e64 s2, v5
	s_cbranch_execz .LBB251_39
; %bb.38:
	s_mov_b32 s7, 0
	s_delay_alu instid0(SALU_CYCLE_1)
	v_dual_mov_b32 v18, s7 :: v_dual_lshlrev_b32 v5, 2, v0
	global_load_b32 v5, v5, s[4:5] offset:3584
	s_waitcnt vmcnt(0)
	v_cmp_neq_f32_e32 vcc_lo, 0, v5
	v_cndmask_b32_e64 v17, 0, 1, vcc_lo
.LBB251_39:
	s_or_b32 exec_lo, exec_lo, s6
	v_or_b32_e32 v5, 0x400, v0
	s_mov_b32 s6, exec_lo
	s_delay_alu instid0(VALU_DEP_1)
	v_cmpx_gt_u32_e64 s2, v5
	s_cbranch_execz .LBB251_41
; %bb.40:
	s_mov_b32 s7, 0
	s_delay_alu instid0(SALU_CYCLE_1)
	v_dual_mov_b32 v16, s7 :: v_dual_lshlrev_b32 v5, 2, v5
	global_load_b32 v5, v5, s[4:5]
	s_waitcnt vmcnt(0)
	v_cmp_neq_f32_e32 vcc_lo, 0, v5
	v_cndmask_b32_e64 v15, 0, 1, vcc_lo
.LBB251_41:
	s_or_b32 exec_lo, exec_lo, s6
	v_mov_b32_e32 v19, 0
	v_mov_b32_e32 v20, 0
	v_or_b32_e32 v5, 0x480, v0
	s_mov_b32 s6, exec_lo
	s_delay_alu instid0(VALU_DEP_2) | instskip(NEXT) | instid1(VALU_DEP_2)
	v_dual_mov_b32 v22, v20 :: v_dual_mov_b32 v21, v19
	v_cmpx_gt_u32_e64 s2, v5
	s_cbranch_execz .LBB251_43
; %bb.42:
	s_mov_b32 s7, 0
	s_delay_alu instid0(SALU_CYCLE_1)
	v_dual_mov_b32 v22, s7 :: v_dual_lshlrev_b32 v5, 2, v5
	global_load_b32 v5, v5, s[4:5]
	s_waitcnt vmcnt(0)
	v_cmp_neq_f32_e32 vcc_lo, 0, v5
	v_cndmask_b32_e64 v21, 0, 1, vcc_lo
.LBB251_43:
	s_or_b32 exec_lo, exec_lo, s6
	v_or_b32_e32 v5, 0x500, v0
	s_mov_b32 s6, exec_lo
	s_delay_alu instid0(VALU_DEP_1)
	v_cmpx_gt_u32_e64 s2, v5
	s_cbranch_execz .LBB251_45
; %bb.44:
	s_mov_b32 s7, 0
	s_delay_alu instid0(SALU_CYCLE_1)
	v_dual_mov_b32 v20, s7 :: v_dual_lshlrev_b32 v5, 2, v5
	global_load_b32 v5, v5, s[4:5]
	s_waitcnt vmcnt(0)
	v_cmp_neq_f32_e32 vcc_lo, 0, v5
	v_cndmask_b32_e64 v19, 0, 1, vcc_lo
.LBB251_45:
	s_or_b32 exec_lo, exec_lo, s6
	v_mov_b32_e32 v23, 0
	v_mov_b32_e32 v24, 0
	v_or_b32_e32 v5, 0x580, v0
	s_mov_b32 s6, exec_lo
	s_delay_alu instid0(VALU_DEP_2) | instskip(NEXT) | instid1(VALU_DEP_2)
	v_dual_mov_b32 v26, v24 :: v_dual_mov_b32 v25, v23
	v_cmpx_gt_u32_e64 s2, v5
	s_cbranch_execz .LBB251_47
; %bb.46:
	s_mov_b32 s7, 0
	s_delay_alu instid0(SALU_CYCLE_1)
	v_dual_mov_b32 v26, s7 :: v_dual_lshlrev_b32 v5, 2, v5
	global_load_b32 v5, v5, s[4:5]
	s_waitcnt vmcnt(0)
	v_cmp_neq_f32_e32 vcc_lo, 0, v5
	v_cndmask_b32_e64 v25, 0, 1, vcc_lo
.LBB251_47:
	s_or_b32 exec_lo, exec_lo, s6
	v_or_b32_e32 v5, 0x600, v0
	s_mov_b32 s6, exec_lo
	s_delay_alu instid0(VALU_DEP_1)
	v_cmpx_gt_u32_e64 s2, v5
	s_cbranch_execz .LBB251_49
; %bb.48:
	s_mov_b32 s7, 0
	s_delay_alu instid0(SALU_CYCLE_1)
	v_dual_mov_b32 v24, s7 :: v_dual_lshlrev_b32 v5, 2, v5
	global_load_b32 v5, v5, s[4:5]
	s_waitcnt vmcnt(0)
	v_cmp_neq_f32_e32 vcc_lo, 0, v5
	v_cndmask_b32_e64 v23, 0, 1, vcc_lo
.LBB251_49:
	s_or_b32 exec_lo, exec_lo, s6
	v_mov_b32_e32 v27, 0
	v_mov_b32_e32 v28, 0
	v_or_b32_e32 v5, 0x680, v0
	s_mov_b32 s6, exec_lo
	s_delay_alu instid0(VALU_DEP_2) | instskip(NEXT) | instid1(VALU_DEP_2)
	v_dual_mov_b32 v30, v28 :: v_dual_mov_b32 v29, v27
	v_cmpx_gt_u32_e64 s2, v5
	s_cbranch_execz .LBB251_51
; %bb.50:
	s_mov_b32 s7, 0
	s_delay_alu instid0(SALU_CYCLE_1)
	v_dual_mov_b32 v30, s7 :: v_dual_lshlrev_b32 v5, 2, v5
	global_load_b32 v5, v5, s[4:5]
	s_waitcnt vmcnt(0)
	v_cmp_neq_f32_e32 vcc_lo, 0, v5
	v_cndmask_b32_e64 v29, 0, 1, vcc_lo
.LBB251_51:
	s_or_b32 exec_lo, exec_lo, s6
	v_or_b32_e32 v5, 0x700, v0
	s_mov_b32 s6, exec_lo
	s_delay_alu instid0(VALU_DEP_1)
	v_cmpx_gt_u32_e64 s2, v5
	s_cbranch_execz .LBB251_53
; %bb.52:
	s_mov_b32 s7, 0
	s_delay_alu instid0(SALU_CYCLE_1)
	v_dual_mov_b32 v28, s7 :: v_dual_lshlrev_b32 v5, 2, v5
	global_load_b32 v5, v5, s[4:5]
	s_waitcnt vmcnt(0)
	v_cmp_neq_f32_e32 vcc_lo, 0, v5
	v_cndmask_b32_e64 v27, 0, 1, vcc_lo
.LBB251_53:
	s_or_b32 exec_lo, exec_lo, s6
	v_mov_b32_e32 v31, 0
	v_mov_b32_e32 v32, 0
	v_or_b32_e32 v5, 0x780, v0
	s_mov_b32 s6, exec_lo
	s_delay_alu instid0(VALU_DEP_2) | instskip(NEXT) | instid1(VALU_DEP_2)
	v_dual_mov_b32 v34, v32 :: v_dual_mov_b32 v33, v31
	v_cmpx_gt_u32_e64 s2, v5
	s_cbranch_execz .LBB251_55
; %bb.54:
	s_mov_b32 s7, 0
	s_delay_alu instid0(SALU_CYCLE_1)
	v_dual_mov_b32 v34, s7 :: v_dual_lshlrev_b32 v5, 2, v5
	global_load_b32 v5, v5, s[4:5]
	s_waitcnt vmcnt(0)
	v_cmp_neq_f32_e32 vcc_lo, 0, v5
	v_cndmask_b32_e64 v33, 0, 1, vcc_lo
.LBB251_55:
	s_or_b32 exec_lo, exec_lo, s6
	v_or_b32_e32 v5, 0x800, v0
	s_mov_b32 s6, exec_lo
	s_delay_alu instid0(VALU_DEP_1)
	v_cmpx_gt_u32_e64 s2, v5
	s_cbranch_execz .LBB251_57
; %bb.56:
	s_mov_b32 s7, 0
	s_delay_alu instid0(SALU_CYCLE_1)
	v_dual_mov_b32 v32, s7 :: v_dual_lshlrev_b32 v5, 2, v5
	global_load_b32 v5, v5, s[4:5]
	s_waitcnt vmcnt(0)
	v_cmp_neq_f32_e32 vcc_lo, 0, v5
	v_cndmask_b32_e64 v31, 0, 1, vcc_lo
.LBB251_57:
	s_or_b32 exec_lo, exec_lo, s6
	v_mov_b32_e32 v35, 0
	v_mov_b32_e32 v36, 0
	v_or_b32_e32 v5, 0x880, v0
	s_mov_b32 s6, exec_lo
	s_delay_alu instid0(VALU_DEP_2) | instskip(NEXT) | instid1(VALU_DEP_2)
	v_dual_mov_b32 v38, v36 :: v_dual_mov_b32 v37, v35
	v_cmpx_gt_u32_e64 s2, v5
	s_cbranch_execz .LBB251_59
; %bb.58:
	s_mov_b32 s7, 0
	s_delay_alu instid0(SALU_CYCLE_1)
	v_dual_mov_b32 v38, s7 :: v_dual_lshlrev_b32 v5, 2, v5
	global_load_b32 v5, v5, s[4:5]
	s_waitcnt vmcnt(0)
	v_cmp_neq_f32_e32 vcc_lo, 0, v5
	v_cndmask_b32_e64 v37, 0, 1, vcc_lo
.LBB251_59:
	s_or_b32 exec_lo, exec_lo, s6
	v_or_b32_e32 v5, 0x900, v0
	s_mov_b32 s6, exec_lo
	s_delay_alu instid0(VALU_DEP_1)
	v_cmpx_gt_u32_e64 s2, v5
	s_cbranch_execz .LBB251_61
; %bb.60:
	s_mov_b32 s7, 0
	s_delay_alu instid0(SALU_CYCLE_1)
	v_dual_mov_b32 v36, s7 :: v_dual_lshlrev_b32 v5, 2, v5
	global_load_b32 v5, v5, s[4:5]
	s_waitcnt vmcnt(0)
	v_cmp_neq_f32_e32 vcc_lo, 0, v5
	v_cndmask_b32_e64 v35, 0, 1, vcc_lo
.LBB251_61:
	s_or_b32 exec_lo, exec_lo, s6
	v_mov_b32_e32 v39, 0
	v_mov_b32_e32 v40, 0
	v_or_b32_e32 v5, 0x980, v0
	s_mov_b32 s6, exec_lo
	s_delay_alu instid0(VALU_DEP_2) | instskip(NEXT) | instid1(VALU_DEP_2)
	v_dual_mov_b32 v42, v40 :: v_dual_mov_b32 v41, v39
	v_cmpx_gt_u32_e64 s2, v5
	s_cbranch_execz .LBB251_63
; %bb.62:
	s_mov_b32 s7, 0
	s_delay_alu instid0(SALU_CYCLE_1)
	v_dual_mov_b32 v42, s7 :: v_dual_lshlrev_b32 v5, 2, v5
	global_load_b32 v5, v5, s[4:5]
	s_waitcnt vmcnt(0)
	v_cmp_neq_f32_e32 vcc_lo, 0, v5
	v_cndmask_b32_e64 v41, 0, 1, vcc_lo
.LBB251_63:
	s_or_b32 exec_lo, exec_lo, s6
	v_or_b32_e32 v5, 0xa00, v0
	s_mov_b32 s6, exec_lo
	s_delay_alu instid0(VALU_DEP_1)
	v_cmpx_gt_u32_e64 s2, v5
	s_cbranch_execz .LBB251_65
; %bb.64:
	s_mov_b32 s7, 0
	s_delay_alu instid0(SALU_CYCLE_1)
	v_dual_mov_b32 v40, s7 :: v_dual_lshlrev_b32 v5, 2, v5
	global_load_b32 v5, v5, s[4:5]
	s_waitcnt vmcnt(0)
	v_cmp_neq_f32_e32 vcc_lo, 0, v5
	v_cndmask_b32_e64 v39, 0, 1, vcc_lo
.LBB251_65:
	s_or_b32 exec_lo, exec_lo, s6
	v_mov_b32_e32 v43, 0
	v_mov_b32_e32 v44, 0
	v_or_b32_e32 v5, 0xa80, v0
	s_mov_b32 s6, exec_lo
	s_delay_alu instid0(VALU_DEP_2) | instskip(NEXT) | instid1(VALU_DEP_2)
	v_dual_mov_b32 v46, v44 :: v_dual_mov_b32 v45, v43
	v_cmpx_gt_u32_e64 s2, v5
	s_cbranch_execz .LBB251_67
; %bb.66:
	s_mov_b32 s7, 0
	s_delay_alu instid0(SALU_CYCLE_1)
	v_dual_mov_b32 v46, s7 :: v_dual_lshlrev_b32 v5, 2, v5
	global_load_b32 v5, v5, s[4:5]
	s_waitcnt vmcnt(0)
	v_cmp_neq_f32_e32 vcc_lo, 0, v5
	v_cndmask_b32_e64 v45, 0, 1, vcc_lo
.LBB251_67:
	s_or_b32 exec_lo, exec_lo, s6
	v_or_b32_e32 v5, 0xb00, v0
	s_mov_b32 s6, exec_lo
	s_delay_alu instid0(VALU_DEP_1)
	v_cmpx_gt_u32_e64 s2, v5
	s_cbranch_execz .LBB251_69
; %bb.68:
	s_mov_b32 s7, 0
	s_delay_alu instid0(SALU_CYCLE_1)
	v_dual_mov_b32 v44, s7 :: v_dual_lshlrev_b32 v5, 2, v5
	global_load_b32 v5, v5, s[4:5]
	s_waitcnt vmcnt(0)
	v_cmp_neq_f32_e32 vcc_lo, 0, v5
	v_cndmask_b32_e64 v43, 0, 1, vcc_lo
.LBB251_69:
	s_or_b32 exec_lo, exec_lo, s6
	v_mov_b32_e32 v47, 0
	v_mov_b32_e32 v48, 0
	v_or_b32_e32 v5, 0xb80, v0
	s_mov_b32 s6, exec_lo
	s_delay_alu instid0(VALU_DEP_2) | instskip(NEXT) | instid1(VALU_DEP_2)
	v_dual_mov_b32 v50, v48 :: v_dual_mov_b32 v49, v47
	v_cmpx_gt_u32_e64 s2, v5
	s_cbranch_execz .LBB251_71
; %bb.70:
	s_mov_b32 s7, 0
	s_delay_alu instid0(SALU_CYCLE_1)
	v_dual_mov_b32 v50, s7 :: v_dual_lshlrev_b32 v5, 2, v5
	global_load_b32 v5, v5, s[4:5]
	s_waitcnt vmcnt(0)
	v_cmp_neq_f32_e32 vcc_lo, 0, v5
	v_cndmask_b32_e64 v49, 0, 1, vcc_lo
.LBB251_71:
	s_or_b32 exec_lo, exec_lo, s6
	v_or_b32_e32 v5, 0xc00, v0
	s_mov_b32 s6, exec_lo
	s_delay_alu instid0(VALU_DEP_1)
	v_cmpx_gt_u32_e64 s2, v5
	s_cbranch_execz .LBB251_73
; %bb.72:
	s_mov_b32 s7, 0
	s_delay_alu instid0(SALU_CYCLE_1)
	v_dual_mov_b32 v48, s7 :: v_dual_lshlrev_b32 v5, 2, v5
	global_load_b32 v5, v5, s[4:5]
	s_waitcnt vmcnt(0)
	v_cmp_neq_f32_e32 vcc_lo, 0, v5
	v_cndmask_b32_e64 v47, 0, 1, vcc_lo
.LBB251_73:
	s_or_b32 exec_lo, exec_lo, s6
	v_mov_b32_e32 v51, 0
	v_mov_b32_e32 v52, 0
	v_or_b32_e32 v5, 0xc80, v0
	s_mov_b32 s6, exec_lo
	s_delay_alu instid0(VALU_DEP_2) | instskip(NEXT) | instid1(VALU_DEP_2)
	v_dual_mov_b32 v54, v52 :: v_dual_mov_b32 v53, v51
	v_cmpx_gt_u32_e64 s2, v5
	s_cbranch_execz .LBB251_75
; %bb.74:
	s_mov_b32 s7, 0
	s_delay_alu instid0(SALU_CYCLE_1)
	v_dual_mov_b32 v54, s7 :: v_dual_lshlrev_b32 v5, 2, v5
	global_load_b32 v5, v5, s[4:5]
	s_waitcnt vmcnt(0)
	v_cmp_neq_f32_e32 vcc_lo, 0, v5
	v_cndmask_b32_e64 v53, 0, 1, vcc_lo
.LBB251_75:
	s_or_b32 exec_lo, exec_lo, s6
	v_or_b32_e32 v5, 0xd00, v0
	s_mov_b32 s6, exec_lo
	s_delay_alu instid0(VALU_DEP_1)
	v_cmpx_gt_u32_e64 s2, v5
	s_cbranch_execz .LBB251_77
; %bb.76:
	s_mov_b32 s7, 0
	s_delay_alu instid0(SALU_CYCLE_1)
	v_dual_mov_b32 v52, s7 :: v_dual_lshlrev_b32 v5, 2, v5
	global_load_b32 v5, v5, s[4:5]
	s_waitcnt vmcnt(0)
	v_cmp_neq_f32_e32 vcc_lo, 0, v5
	v_cndmask_b32_e64 v51, 0, 1, vcc_lo
.LBB251_77:
	s_or_b32 exec_lo, exec_lo, s6
	v_mov_b32_e32 v55, 0
	v_mov_b32_e32 v56, 0
	v_or_b32_e32 v5, 0xd80, v0
	s_mov_b32 s6, exec_lo
	s_delay_alu instid0(VALU_DEP_2) | instskip(NEXT) | instid1(VALU_DEP_2)
	v_dual_mov_b32 v58, v56 :: v_dual_mov_b32 v57, v55
	v_cmpx_gt_u32_e64 s2, v5
	s_cbranch_execz .LBB251_79
; %bb.78:
	s_mov_b32 s7, 0
	s_delay_alu instid0(SALU_CYCLE_1)
	v_dual_mov_b32 v58, s7 :: v_dual_lshlrev_b32 v5, 2, v5
	global_load_b32 v5, v5, s[4:5]
	s_waitcnt vmcnt(0)
	v_cmp_neq_f32_e32 vcc_lo, 0, v5
	v_cndmask_b32_e64 v57, 0, 1, vcc_lo
.LBB251_79:
	s_or_b32 exec_lo, exec_lo, s6
	v_or_b32_e32 v5, 0xe00, v0
	s_mov_b32 s6, exec_lo
	s_delay_alu instid0(VALU_DEP_1)
	v_cmpx_gt_u32_e64 s2, v5
	s_cbranch_execz .LBB251_81
; %bb.80:
	s_mov_b32 s7, 0
	s_delay_alu instid0(SALU_CYCLE_1)
	v_dual_mov_b32 v56, s7 :: v_dual_lshlrev_b32 v5, 2, v5
	global_load_b32 v5, v5, s[4:5]
	s_waitcnt vmcnt(0)
	v_cmp_neq_f32_e32 vcc_lo, 0, v5
	v_cndmask_b32_e64 v55, 0, 1, vcc_lo
.LBB251_81:
	s_or_b32 exec_lo, exec_lo, s6
	v_mov_b32_e32 v59, 0
	v_mov_b32_e32 v60, 0
	v_or_b32_e32 v5, 0xe80, v0
	s_mov_b32 s6, exec_lo
	s_delay_alu instid0(VALU_DEP_2) | instskip(NEXT) | instid1(VALU_DEP_2)
	v_dual_mov_b32 v62, v60 :: v_dual_mov_b32 v61, v59
	v_cmpx_gt_u32_e64 s2, v5
	s_cbranch_execz .LBB251_83
; %bb.82:
	s_mov_b32 s7, 0
	s_delay_alu instid0(SALU_CYCLE_1)
	v_dual_mov_b32 v62, s7 :: v_dual_lshlrev_b32 v5, 2, v5
	global_load_b32 v5, v5, s[4:5]
	s_waitcnt vmcnt(0)
	v_cmp_neq_f32_e32 vcc_lo, 0, v5
	v_cndmask_b32_e64 v61, 0, 1, vcc_lo
.LBB251_83:
	s_or_b32 exec_lo, exec_lo, s6
	v_or_b32_e32 v5, 0xf00, v0
	s_mov_b32 s6, exec_lo
	s_delay_alu instid0(VALU_DEP_1)
	v_cmpx_gt_u32_e64 s2, v5
	s_cbranch_execz .LBB251_85
; %bb.84:
	s_mov_b32 s7, 0
	s_delay_alu instid0(SALU_CYCLE_1)
	v_dual_mov_b32 v60, s7 :: v_dual_lshlrev_b32 v5, 2, v5
	global_load_b32 v5, v5, s[4:5]
	s_waitcnt vmcnt(0)
	v_cmp_neq_f32_e32 vcc_lo, 0, v5
	v_cndmask_b32_e64 v59, 0, 1, vcc_lo
.LBB251_85:
	s_or_b32 exec_lo, exec_lo, s6
	v_mov_b32_e32 v63, 0
	v_mov_b32_e32 v64, 0
	v_or_b32_e32 v5, 0xf80, v0
	s_mov_b32 s6, exec_lo
	s_delay_alu instid0(VALU_DEP_2) | instskip(NEXT) | instid1(VALU_DEP_2)
	v_dual_mov_b32 v66, v64 :: v_dual_mov_b32 v65, v63
	v_cmpx_gt_u32_e64 s2, v5
	s_cbranch_execz .LBB251_87
; %bb.86:
	s_mov_b32 s7, 0
	s_delay_alu instid0(SALU_CYCLE_1)
	v_dual_mov_b32 v66, s7 :: v_dual_lshlrev_b32 v5, 2, v5
	global_load_b32 v5, v5, s[4:5]
	s_waitcnt vmcnt(0)
	v_cmp_neq_f32_e32 vcc_lo, 0, v5
	v_cndmask_b32_e64 v65, 0, 1, vcc_lo
.LBB251_87:
	s_or_b32 exec_lo, exec_lo, s6
	v_or_b32_e32 v5, 0x1000, v0
	s_mov_b32 s6, exec_lo
	s_delay_alu instid0(VALU_DEP_1)
	v_cmpx_gt_u32_e64 s2, v5
	s_cbranch_execz .LBB251_89
; %bb.88:
	s_mov_b32 s7, 0
	s_delay_alu instid0(SALU_CYCLE_1)
	v_dual_mov_b32 v64, s7 :: v_dual_lshlrev_b32 v5, 2, v5
	global_load_b32 v5, v5, s[4:5]
	s_waitcnt vmcnt(0)
	v_cmp_neq_f32_e32 vcc_lo, 0, v5
	v_cndmask_b32_e64 v63, 0, 1, vcc_lo
.LBB251_89:
	s_or_b32 exec_lo, exec_lo, s6
	v_mov_b32_e32 v67, 0
	v_mov_b32_e32 v68, 0
	v_or_b32_e32 v5, 0x1080, v0
	s_mov_b32 s6, exec_lo
	s_delay_alu instid0(VALU_DEP_2) | instskip(NEXT) | instid1(VALU_DEP_2)
	v_dual_mov_b32 v70, v68 :: v_dual_mov_b32 v69, v67
	v_cmpx_gt_u32_e64 s2, v5
	s_cbranch_execz .LBB251_91
; %bb.90:
	s_mov_b32 s7, 0
	s_delay_alu instid0(SALU_CYCLE_1)
	v_dual_mov_b32 v70, s7 :: v_dual_lshlrev_b32 v5, 2, v5
	global_load_b32 v5, v5, s[4:5]
	s_waitcnt vmcnt(0)
	v_cmp_neq_f32_e32 vcc_lo, 0, v5
	v_cndmask_b32_e64 v69, 0, 1, vcc_lo
.LBB251_91:
	s_or_b32 exec_lo, exec_lo, s6
	v_or_b32_e32 v5, 0x1100, v0
	s_mov_b32 s6, exec_lo
	s_delay_alu instid0(VALU_DEP_1)
	v_cmpx_gt_u32_e64 s2, v5
	s_cbranch_execz .LBB251_93
; %bb.92:
	s_mov_b32 s7, 0
	s_delay_alu instid0(SALU_CYCLE_1)
	v_dual_mov_b32 v68, s7 :: v_dual_lshlrev_b32 v5, 2, v5
	global_load_b32 v5, v5, s[4:5]
	s_waitcnt vmcnt(0)
	v_cmp_neq_f32_e32 vcc_lo, 0, v5
	v_cndmask_b32_e64 v67, 0, 1, vcc_lo
.LBB251_93:
	s_or_b32 exec_lo, exec_lo, s6
	v_mov_b32_e32 v71, 0
	v_mov_b32_e32 v72, 0
	v_or_b32_e32 v5, 0x1180, v0
	s_mov_b32 s6, exec_lo
	s_delay_alu instid0(VALU_DEP_2) | instskip(NEXT) | instid1(VALU_DEP_2)
	v_dual_mov_b32 v74, v72 :: v_dual_mov_b32 v73, v71
	v_cmpx_gt_u32_e64 s2, v5
	s_cbranch_execz .LBB251_95
; %bb.94:
	s_mov_b32 s7, 0
	s_delay_alu instid0(SALU_CYCLE_1)
	v_dual_mov_b32 v74, s7 :: v_dual_lshlrev_b32 v5, 2, v5
	global_load_b32 v5, v5, s[4:5]
	s_waitcnt vmcnt(0)
	v_cmp_neq_f32_e32 vcc_lo, 0, v5
	v_cndmask_b32_e64 v73, 0, 1, vcc_lo
.LBB251_95:
	s_or_b32 exec_lo, exec_lo, s6
	v_or_b32_e32 v5, 0x1200, v0
	s_mov_b32 s6, exec_lo
	s_delay_alu instid0(VALU_DEP_1)
	v_cmpx_gt_u32_e64 s2, v5
	s_cbranch_execz .LBB251_97
; %bb.96:
	s_mov_b32 s7, 0
	s_delay_alu instid0(SALU_CYCLE_1)
	v_dual_mov_b32 v72, s7 :: v_dual_lshlrev_b32 v5, 2, v5
	global_load_b32 v5, v5, s[4:5]
	s_waitcnt vmcnt(0)
	v_cmp_neq_f32_e32 vcc_lo, 0, v5
	v_cndmask_b32_e64 v71, 0, 1, vcc_lo
.LBB251_97:
	s_or_b32 exec_lo, exec_lo, s6
	v_mov_b32_e32 v75, 0
	v_mov_b32_e32 v76, 0
	v_or_b32_e32 v5, 0x1280, v0
	s_mov_b32 s6, exec_lo
	s_delay_alu instid0(VALU_DEP_2) | instskip(NEXT) | instid1(VALU_DEP_2)
	v_dual_mov_b32 v78, v76 :: v_dual_mov_b32 v77, v75
	v_cmpx_gt_u32_e64 s2, v5
	s_cbranch_execz .LBB251_99
; %bb.98:
	s_mov_b32 s7, 0
	s_delay_alu instid0(SALU_CYCLE_1)
	v_dual_mov_b32 v78, s7 :: v_dual_lshlrev_b32 v5, 2, v5
	global_load_b32 v5, v5, s[4:5]
	s_waitcnt vmcnt(0)
	v_cmp_neq_f32_e32 vcc_lo, 0, v5
	v_cndmask_b32_e64 v77, 0, 1, vcc_lo
.LBB251_99:
	s_or_b32 exec_lo, exec_lo, s6
	v_or_b32_e32 v5, 0x1300, v0
	s_mov_b32 s6, exec_lo
	s_delay_alu instid0(VALU_DEP_1)
	v_cmpx_gt_u32_e64 s2, v5
	s_cbranch_execz .LBB251_101
; %bb.100:
	s_mov_b32 s7, 0
	s_delay_alu instid0(SALU_CYCLE_1)
	v_dual_mov_b32 v76, s7 :: v_dual_lshlrev_b32 v5, 2, v5
	global_load_b32 v5, v5, s[4:5]
	s_waitcnt vmcnt(0)
	v_cmp_neq_f32_e32 vcc_lo, 0, v5
	v_cndmask_b32_e64 v75, 0, 1, vcc_lo
.LBB251_101:
	s_or_b32 exec_lo, exec_lo, s6
	v_mov_b32_e32 v79, 0
	v_mov_b32_e32 v80, 0
	v_or_b32_e32 v5, 0x1380, v0
	s_mov_b32 s6, exec_lo
	s_delay_alu instid0(VALU_DEP_2) | instskip(NEXT) | instid1(VALU_DEP_2)
	v_dual_mov_b32 v82, v80 :: v_dual_mov_b32 v81, v79
	v_cmpx_gt_u32_e64 s2, v5
	s_cbranch_execz .LBB251_103
; %bb.102:
	s_mov_b32 s7, 0
	s_delay_alu instid0(SALU_CYCLE_1)
	v_dual_mov_b32 v82, s7 :: v_dual_lshlrev_b32 v5, 2, v5
	global_load_b32 v5, v5, s[4:5]
	s_waitcnt vmcnt(0)
	v_cmp_neq_f32_e32 vcc_lo, 0, v5
	v_cndmask_b32_e64 v81, 0, 1, vcc_lo
.LBB251_103:
	s_or_b32 exec_lo, exec_lo, s6
	v_or_b32_e32 v5, 0x1400, v0
	s_mov_b32 s6, exec_lo
	s_delay_alu instid0(VALU_DEP_1)
	v_cmpx_gt_u32_e64 s2, v5
	s_cbranch_execz .LBB251_105
; %bb.104:
	s_mov_b32 s7, 0
	s_delay_alu instid0(SALU_CYCLE_1)
	v_dual_mov_b32 v80, s7 :: v_dual_lshlrev_b32 v5, 2, v5
	global_load_b32 v5, v5, s[4:5]
	s_waitcnt vmcnt(0)
	v_cmp_neq_f32_e32 vcc_lo, 0, v5
	v_cndmask_b32_e64 v79, 0, 1, vcc_lo
.LBB251_105:
	s_or_b32 exec_lo, exec_lo, s6
	v_mov_b32_e32 v83, 0
	v_mov_b32_e32 v84, 0
	v_or_b32_e32 v5, 0x1480, v0
	s_mov_b32 s6, exec_lo
	s_delay_alu instid0(VALU_DEP_2) | instskip(NEXT) | instid1(VALU_DEP_2)
	v_dual_mov_b32 v86, v84 :: v_dual_mov_b32 v85, v83
	v_cmpx_gt_u32_e64 s2, v5
	s_cbranch_execz .LBB251_107
; %bb.106:
	s_mov_b32 s7, 0
	s_delay_alu instid0(SALU_CYCLE_1)
	v_dual_mov_b32 v86, s7 :: v_dual_lshlrev_b32 v5, 2, v5
	global_load_b32 v5, v5, s[4:5]
	s_waitcnt vmcnt(0)
	v_cmp_neq_f32_e32 vcc_lo, 0, v5
	v_cndmask_b32_e64 v85, 0, 1, vcc_lo
.LBB251_107:
	s_or_b32 exec_lo, exec_lo, s6
	v_or_b32_e32 v5, 0x1500, v0
	s_mov_b32 s6, exec_lo
	s_delay_alu instid0(VALU_DEP_1)
	v_cmpx_gt_u32_e64 s2, v5
	s_cbranch_execz .LBB251_109
; %bb.108:
	s_mov_b32 s7, 0
	s_delay_alu instid0(SALU_CYCLE_1)
	v_dual_mov_b32 v84, s7 :: v_dual_lshlrev_b32 v5, 2, v5
	global_load_b32 v5, v5, s[4:5]
	s_waitcnt vmcnt(0)
	v_cmp_neq_f32_e32 vcc_lo, 0, v5
	v_cndmask_b32_e64 v83, 0, 1, vcc_lo
.LBB251_109:
	s_or_b32 exec_lo, exec_lo, s6
	v_mov_b32_e32 v87, 0
	v_mov_b32_e32 v88, 0
	v_or_b32_e32 v5, 0x1580, v0
	s_mov_b32 s6, exec_lo
	s_delay_alu instid0(VALU_DEP_2) | instskip(NEXT) | instid1(VALU_DEP_2)
	v_dual_mov_b32 v90, v88 :: v_dual_mov_b32 v89, v87
	v_cmpx_gt_u32_e64 s2, v5
	s_cbranch_execz .LBB251_111
; %bb.110:
	s_mov_b32 s7, 0
	s_delay_alu instid0(SALU_CYCLE_1)
	v_dual_mov_b32 v90, s7 :: v_dual_lshlrev_b32 v5, 2, v5
	global_load_b32 v5, v5, s[4:5]
	s_waitcnt vmcnt(0)
	v_cmp_neq_f32_e32 vcc_lo, 0, v5
	v_cndmask_b32_e64 v89, 0, 1, vcc_lo
.LBB251_111:
	s_or_b32 exec_lo, exec_lo, s6
	v_or_b32_e32 v5, 0x1600, v0
	s_mov_b32 s6, exec_lo
	s_delay_alu instid0(VALU_DEP_1)
	v_cmpx_gt_u32_e64 s2, v5
	s_cbranch_execz .LBB251_113
; %bb.112:
	s_mov_b32 s7, 0
	s_delay_alu instid0(SALU_CYCLE_1)
	v_dual_mov_b32 v88, s7 :: v_dual_lshlrev_b32 v5, 2, v5
	global_load_b32 v5, v5, s[4:5]
	s_waitcnt vmcnt(0)
	v_cmp_neq_f32_e32 vcc_lo, 0, v5
	v_cndmask_b32_e64 v87, 0, 1, vcc_lo
.LBB251_113:
	s_or_b32 exec_lo, exec_lo, s6
	v_mov_b32_e32 v91, 0
	v_mov_b32_e32 v92, 0
	v_or_b32_e32 v5, 0x1680, v0
	s_mov_b32 s6, exec_lo
	s_delay_alu instid0(VALU_DEP_2) | instskip(NEXT) | instid1(VALU_DEP_2)
	v_dual_mov_b32 v94, v92 :: v_dual_mov_b32 v93, v91
	v_cmpx_gt_u32_e64 s2, v5
	s_cbranch_execz .LBB251_115
; %bb.114:
	s_mov_b32 s7, 0
	s_delay_alu instid0(SALU_CYCLE_1)
	v_dual_mov_b32 v94, s7 :: v_dual_lshlrev_b32 v5, 2, v5
	global_load_b32 v5, v5, s[4:5]
	s_waitcnt vmcnt(0)
	v_cmp_neq_f32_e32 vcc_lo, 0, v5
	v_cndmask_b32_e64 v93, 0, 1, vcc_lo
.LBB251_115:
	s_or_b32 exec_lo, exec_lo, s6
	v_or_b32_e32 v5, 0x1700, v0
	s_mov_b32 s6, exec_lo
	s_delay_alu instid0(VALU_DEP_1)
	v_cmpx_gt_u32_e64 s2, v5
	s_cbranch_execz .LBB251_117
; %bb.116:
	s_mov_b32 s7, 0
	s_delay_alu instid0(SALU_CYCLE_1)
	v_dual_mov_b32 v92, s7 :: v_dual_lshlrev_b32 v5, 2, v5
	global_load_b32 v5, v5, s[4:5]
	s_waitcnt vmcnt(0)
	v_cmp_neq_f32_e32 vcc_lo, 0, v5
	v_cndmask_b32_e64 v91, 0, 1, vcc_lo
.LBB251_117:
	s_or_b32 exec_lo, exec_lo, s6
	v_mov_b32_e32 v95, 0
	v_mov_b32_e32 v96, 0
	v_or_b32_e32 v5, 0x1780, v0
	s_mov_b32 s6, exec_lo
	s_delay_alu instid0(VALU_DEP_2) | instskip(NEXT) | instid1(VALU_DEP_2)
	v_dual_mov_b32 v98, v96 :: v_dual_mov_b32 v97, v95
	v_cmpx_gt_u32_e64 s2, v5
	s_cbranch_execz .LBB251_119
; %bb.118:
	s_mov_b32 s7, 0
	s_delay_alu instid0(SALU_CYCLE_1)
	v_dual_mov_b32 v98, s7 :: v_dual_lshlrev_b32 v5, 2, v5
	global_load_b32 v5, v5, s[4:5]
	s_waitcnt vmcnt(0)
	v_cmp_neq_f32_e32 vcc_lo, 0, v5
	v_cndmask_b32_e64 v97, 0, 1, vcc_lo
.LBB251_119:
	s_or_b32 exec_lo, exec_lo, s6
	v_or_b32_e32 v5, 0x1800, v0
	s_mov_b32 s6, exec_lo
	s_delay_alu instid0(VALU_DEP_1)
	v_cmpx_gt_u32_e64 s2, v5
	s_cbranch_execz .LBB251_121
; %bb.120:
	s_mov_b32 s7, 0
	s_delay_alu instid0(SALU_CYCLE_1)
	v_dual_mov_b32 v96, s7 :: v_dual_lshlrev_b32 v5, 2, v5
	global_load_b32 v5, v5, s[4:5]
	s_waitcnt vmcnt(0)
	v_cmp_neq_f32_e32 vcc_lo, 0, v5
	v_cndmask_b32_e64 v95, 0, 1, vcc_lo
.LBB251_121:
	s_or_b32 exec_lo, exec_lo, s6
	v_mov_b32_e32 v99, 0
	v_mov_b32_e32 v100, 0
	v_or_b32_e32 v5, 0x1880, v0
	s_mov_b32 s6, exec_lo
	s_delay_alu instid0(VALU_DEP_2) | instskip(NEXT) | instid1(VALU_DEP_2)
	v_dual_mov_b32 v102, v100 :: v_dual_mov_b32 v101, v99
	v_cmpx_gt_u32_e64 s2, v5
	s_cbranch_execz .LBB251_123
; %bb.122:
	s_mov_b32 s7, 0
	s_delay_alu instid0(SALU_CYCLE_1)
	v_dual_mov_b32 v102, s7 :: v_dual_lshlrev_b32 v5, 2, v5
	global_load_b32 v5, v5, s[4:5]
	s_waitcnt vmcnt(0)
	v_cmp_neq_f32_e32 vcc_lo, 0, v5
	v_cndmask_b32_e64 v101, 0, 1, vcc_lo
.LBB251_123:
	s_or_b32 exec_lo, exec_lo, s6
	v_or_b32_e32 v5, 0x1900, v0
	s_mov_b32 s6, exec_lo
	s_delay_alu instid0(VALU_DEP_1)
	v_cmpx_gt_u32_e64 s2, v5
	s_cbranch_execz .LBB251_125
; %bb.124:
	s_mov_b32 s7, 0
	s_delay_alu instid0(SALU_CYCLE_1)
	v_dual_mov_b32 v100, s7 :: v_dual_lshlrev_b32 v5, 2, v5
	global_load_b32 v5, v5, s[4:5]
	s_waitcnt vmcnt(0)
	v_cmp_neq_f32_e32 vcc_lo, 0, v5
	v_cndmask_b32_e64 v99, 0, 1, vcc_lo
.LBB251_125:
	s_or_b32 exec_lo, exec_lo, s6
	v_mov_b32_e32 v103, 0
	v_mov_b32_e32 v104, 0
	v_or_b32_e32 v5, 0x1980, v0
	s_mov_b32 s6, exec_lo
	s_delay_alu instid0(VALU_DEP_2) | instskip(NEXT) | instid1(VALU_DEP_2)
	v_dual_mov_b32 v106, v104 :: v_dual_mov_b32 v105, v103
	v_cmpx_gt_u32_e64 s2, v5
	s_cbranch_execz .LBB251_127
; %bb.126:
	s_mov_b32 s7, 0
	s_delay_alu instid0(SALU_CYCLE_1)
	v_dual_mov_b32 v106, s7 :: v_dual_lshlrev_b32 v5, 2, v5
	global_load_b32 v5, v5, s[4:5]
	s_waitcnt vmcnt(0)
	v_cmp_neq_f32_e32 vcc_lo, 0, v5
	v_cndmask_b32_e64 v105, 0, 1, vcc_lo
.LBB251_127:
	s_or_b32 exec_lo, exec_lo, s6
	v_or_b32_e32 v5, 0x1a00, v0
	s_mov_b32 s6, exec_lo
	s_delay_alu instid0(VALU_DEP_1)
	v_cmpx_gt_u32_e64 s2, v5
	s_cbranch_execz .LBB251_129
; %bb.128:
	s_mov_b32 s7, 0
	s_delay_alu instid0(SALU_CYCLE_1)
	v_dual_mov_b32 v104, s7 :: v_dual_lshlrev_b32 v5, 2, v5
	global_load_b32 v5, v5, s[4:5]
	s_waitcnt vmcnt(0)
	v_cmp_neq_f32_e32 vcc_lo, 0, v5
	v_cndmask_b32_e64 v103, 0, 1, vcc_lo
.LBB251_129:
	s_or_b32 exec_lo, exec_lo, s6
	v_mov_b32_e32 v107, 0
	v_mov_b32_e32 v108, 0
	v_or_b32_e32 v5, 0x1a80, v0
	s_mov_b32 s6, exec_lo
	s_delay_alu instid0(VALU_DEP_2) | instskip(NEXT) | instid1(VALU_DEP_2)
	v_dual_mov_b32 v110, v108 :: v_dual_mov_b32 v109, v107
	v_cmpx_gt_u32_e64 s2, v5
	s_cbranch_execz .LBB251_131
; %bb.130:
	s_mov_b32 s7, 0
	s_delay_alu instid0(SALU_CYCLE_1)
	v_dual_mov_b32 v110, s7 :: v_dual_lshlrev_b32 v5, 2, v5
	global_load_b32 v5, v5, s[4:5]
	s_waitcnt vmcnt(0)
	v_cmp_neq_f32_e32 vcc_lo, 0, v5
	v_cndmask_b32_e64 v109, 0, 1, vcc_lo
.LBB251_131:
	s_or_b32 exec_lo, exec_lo, s6
	v_or_b32_e32 v5, 0x1b00, v0
	s_mov_b32 s6, exec_lo
	s_delay_alu instid0(VALU_DEP_1)
	v_cmpx_gt_u32_e64 s2, v5
	s_cbranch_execz .LBB251_133
; %bb.132:
	s_mov_b32 s7, 0
	s_delay_alu instid0(SALU_CYCLE_1)
	v_dual_mov_b32 v108, s7 :: v_dual_lshlrev_b32 v5, 2, v5
	global_load_b32 v5, v5, s[4:5]
	s_waitcnt vmcnt(0)
	v_cmp_neq_f32_e32 vcc_lo, 0, v5
	v_cndmask_b32_e64 v107, 0, 1, vcc_lo
.LBB251_133:
	s_or_b32 exec_lo, exec_lo, s6
	v_mov_b32_e32 v111, 0
	v_mov_b32_e32 v112, 0
	v_or_b32_e32 v5, 0x1b80, v0
	s_mov_b32 s6, exec_lo
	s_delay_alu instid0(VALU_DEP_2) | instskip(NEXT) | instid1(VALU_DEP_2)
	v_dual_mov_b32 v114, v112 :: v_dual_mov_b32 v113, v111
	v_cmpx_gt_u32_e64 s2, v5
	s_cbranch_execz .LBB251_135
; %bb.134:
	s_mov_b32 s7, 0
	s_delay_alu instid0(SALU_CYCLE_1)
	v_dual_mov_b32 v114, s7 :: v_dual_lshlrev_b32 v5, 2, v5
	global_load_b32 v5, v5, s[4:5]
	s_waitcnt vmcnt(0)
	v_cmp_neq_f32_e32 vcc_lo, 0, v5
	v_cndmask_b32_e64 v113, 0, 1, vcc_lo
.LBB251_135:
	s_or_b32 exec_lo, exec_lo, s6
	v_or_b32_e32 v5, 0x1c00, v0
	s_mov_b32 s6, exec_lo
	s_delay_alu instid0(VALU_DEP_1)
	v_cmpx_gt_u32_e64 s2, v5
	s_cbranch_execz .LBB251_137
; %bb.136:
	s_mov_b32 s7, 0
	s_delay_alu instid0(SALU_CYCLE_1)
	v_dual_mov_b32 v112, s7 :: v_dual_lshlrev_b32 v5, 2, v5
	global_load_b32 v5, v5, s[4:5]
	s_waitcnt vmcnt(0)
	v_cmp_neq_f32_e32 vcc_lo, 0, v5
	v_cndmask_b32_e64 v111, 0, 1, vcc_lo
.LBB251_137:
	s_or_b32 exec_lo, exec_lo, s6
	v_mov_b32_e32 v115, 0
	v_mov_b32_e32 v116, 0
	v_or_b32_e32 v5, 0x1c80, v0
	s_mov_b32 s6, exec_lo
	s_delay_alu instid0(VALU_DEP_2) | instskip(NEXT) | instid1(VALU_DEP_2)
	v_dual_mov_b32 v118, v116 :: v_dual_mov_b32 v117, v115
	v_cmpx_gt_u32_e64 s2, v5
	s_cbranch_execz .LBB251_139
; %bb.138:
	s_mov_b32 s7, 0
	s_delay_alu instid0(SALU_CYCLE_1)
	v_dual_mov_b32 v118, s7 :: v_dual_lshlrev_b32 v5, 2, v5
	global_load_b32 v5, v5, s[4:5]
	s_waitcnt vmcnt(0)
	v_cmp_neq_f32_e32 vcc_lo, 0, v5
	v_cndmask_b32_e64 v117, 0, 1, vcc_lo
.LBB251_139:
	s_or_b32 exec_lo, exec_lo, s6
	v_or_b32_e32 v5, 0x1d00, v0
	s_mov_b32 s6, exec_lo
	s_delay_alu instid0(VALU_DEP_1)
	v_cmpx_gt_u32_e64 s2, v5
	s_cbranch_execz .LBB251_141
; %bb.140:
	s_mov_b32 s7, 0
	s_delay_alu instid0(SALU_CYCLE_1)
	v_dual_mov_b32 v116, s7 :: v_dual_lshlrev_b32 v5, 2, v5
	global_load_b32 v5, v5, s[4:5]
	s_waitcnt vmcnt(0)
	v_cmp_neq_f32_e32 vcc_lo, 0, v5
	v_cndmask_b32_e64 v115, 0, 1, vcc_lo
.LBB251_141:
	s_or_b32 exec_lo, exec_lo, s6
	v_mov_b32_e32 v119, 0
	v_mov_b32_e32 v120, 0
	v_or_b32_e32 v5, 0x1d80, v0
	s_mov_b32 s6, exec_lo
	s_delay_alu instid0(VALU_DEP_2) | instskip(NEXT) | instid1(VALU_DEP_2)
	v_dual_mov_b32 v122, v120 :: v_dual_mov_b32 v121, v119
	v_cmpx_gt_u32_e64 s2, v5
	s_cbranch_execz .LBB251_143
; %bb.142:
	s_mov_b32 s7, 0
	s_delay_alu instid0(SALU_CYCLE_1)
	v_dual_mov_b32 v122, s7 :: v_dual_lshlrev_b32 v5, 2, v5
	global_load_b32 v5, v5, s[4:5]
	s_waitcnt vmcnt(0)
	v_cmp_neq_f32_e32 vcc_lo, 0, v5
	v_cndmask_b32_e64 v121, 0, 1, vcc_lo
.LBB251_143:
	s_or_b32 exec_lo, exec_lo, s6
	v_or_b32_e32 v5, 0x1e00, v0
	s_mov_b32 s6, exec_lo
	s_delay_alu instid0(VALU_DEP_1)
	v_cmpx_gt_u32_e64 s2, v5
	s_cbranch_execz .LBB251_145
; %bb.144:
	s_mov_b32 s7, 0
	s_delay_alu instid0(SALU_CYCLE_1)
	v_dual_mov_b32 v120, s7 :: v_dual_lshlrev_b32 v5, 2, v5
	global_load_b32 v5, v5, s[4:5]
	s_waitcnt vmcnt(0)
	v_cmp_neq_f32_e32 vcc_lo, 0, v5
	v_cndmask_b32_e64 v119, 0, 1, vcc_lo
.LBB251_145:
	s_or_b32 exec_lo, exec_lo, s6
	v_mov_b32_e32 v123, 0
	v_mov_b32_e32 v124, 0
	v_or_b32_e32 v5, 0x1e80, v0
	s_mov_b32 s6, exec_lo
	s_delay_alu instid0(VALU_DEP_2) | instskip(NEXT) | instid1(VALU_DEP_2)
	v_dual_mov_b32 v126, v124 :: v_dual_mov_b32 v125, v123
	v_cmpx_gt_u32_e64 s2, v5
	s_cbranch_execz .LBB251_147
; %bb.146:
	s_mov_b32 s7, 0
	s_delay_alu instid0(SALU_CYCLE_1)
	v_dual_mov_b32 v126, s7 :: v_dual_lshlrev_b32 v5, 2, v5
	global_load_b32 v5, v5, s[4:5]
	s_waitcnt vmcnt(0)
	v_cmp_neq_f32_e32 vcc_lo, 0, v5
	v_cndmask_b32_e64 v125, 0, 1, vcc_lo
.LBB251_147:
	s_or_b32 exec_lo, exec_lo, s6
	v_or_b32_e32 v5, 0x1f00, v0
	s_mov_b32 s6, exec_lo
	s_delay_alu instid0(VALU_DEP_1)
	v_cmpx_gt_u32_e64 s2, v5
	s_cbranch_execz .LBB251_149
; %bb.148:
	s_mov_b32 s7, 0
	s_delay_alu instid0(SALU_CYCLE_1)
	v_dual_mov_b32 v124, s7 :: v_dual_lshlrev_b32 v5, 2, v5
	global_load_b32 v5, v5, s[4:5]
	s_waitcnt vmcnt(0)
	v_cmp_neq_f32_e32 vcc_lo, 0, v5
	v_cndmask_b32_e64 v123, 0, 1, vcc_lo
.LBB251_149:
	s_or_b32 exec_lo, exec_lo, s6
	v_mov_b32_e32 v127, 0
	v_mov_b32_e32 v128, 0
	v_or_b32_e32 v5, 0x1f80, v0
	s_mov_b32 s6, exec_lo
	s_delay_alu instid0(VALU_DEP_2) | instskip(NEXT) | instid1(VALU_DEP_2)
	v_dual_mov_b32 v130, v128 :: v_dual_mov_b32 v129, v127
	v_cmpx_gt_u32_e64 s2, v5
	s_cbranch_execz .LBB251_151
; %bb.150:
	s_mov_b32 s7, 0
	s_delay_alu instid0(SALU_CYCLE_1)
	v_dual_mov_b32 v130, s7 :: v_dual_lshlrev_b32 v5, 2, v5
	global_load_b32 v5, v5, s[4:5]
	s_waitcnt vmcnt(0)
	v_cmp_neq_f32_e32 vcc_lo, 0, v5
	v_cndmask_b32_e64 v129, 0, 1, vcc_lo
.LBB251_151:
	s_or_b32 exec_lo, exec_lo, s6
	v_or_b32_e32 v5, 0x2000, v0
	s_mov_b32 s6, exec_lo
	s_delay_alu instid0(VALU_DEP_1)
	v_cmpx_gt_u32_e64 s2, v5
	s_cbranch_execz .LBB251_153
; %bb.152:
	s_mov_b32 s7, 0
	s_delay_alu instid0(SALU_CYCLE_1)
	v_dual_mov_b32 v128, s7 :: v_dual_lshlrev_b32 v5, 2, v5
	global_load_b32 v5, v5, s[4:5]
	s_waitcnt vmcnt(0)
	v_cmp_neq_f32_e32 vcc_lo, 0, v5
	v_cndmask_b32_e64 v127, 0, 1, vcc_lo
.LBB251_153:
	s_or_b32 exec_lo, exec_lo, s6
	v_mov_b32_e32 v131, 0
	v_mov_b32_e32 v132, 0
	v_or_b32_e32 v5, 0x2080, v0
	s_mov_b32 s6, exec_lo
	s_delay_alu instid0(VALU_DEP_2) | instskip(NEXT) | instid1(VALU_DEP_2)
	v_dual_mov_b32 v134, v132 :: v_dual_mov_b32 v133, v131
	v_cmpx_gt_u32_e64 s2, v5
	s_cbranch_execz .LBB251_155
; %bb.154:
	s_mov_b32 s7, 0
	s_delay_alu instid0(SALU_CYCLE_1)
	v_dual_mov_b32 v134, s7 :: v_dual_lshlrev_b32 v5, 2, v5
	global_load_b32 v5, v5, s[4:5]
	s_waitcnt vmcnt(0)
	v_cmp_neq_f32_e32 vcc_lo, 0, v5
	v_cndmask_b32_e64 v133, 0, 1, vcc_lo
.LBB251_155:
	s_or_b32 exec_lo, exec_lo, s6
	v_or_b32_e32 v5, 0x2100, v0
	s_mov_b32 s6, exec_lo
	s_delay_alu instid0(VALU_DEP_1)
	v_cmpx_gt_u32_e64 s2, v5
	s_cbranch_execz .LBB251_157
; %bb.156:
	s_mov_b32 s7, 0
	s_delay_alu instid0(SALU_CYCLE_1)
	v_dual_mov_b32 v132, s7 :: v_dual_lshlrev_b32 v5, 2, v5
	global_load_b32 v5, v5, s[4:5]
	s_waitcnt vmcnt(0)
	v_cmp_neq_f32_e32 vcc_lo, 0, v5
	v_cndmask_b32_e64 v131, 0, 1, vcc_lo
.LBB251_157:
	s_or_b32 exec_lo, exec_lo, s6
	v_mov_b32_e32 v135, 0
	v_mov_b32_e32 v136, 0
	v_or_b32_e32 v5, 0x2180, v0
	s_mov_b32 s6, exec_lo
	s_delay_alu instid0(VALU_DEP_2) | instskip(NEXT) | instid1(VALU_DEP_2)
	v_dual_mov_b32 v138, v136 :: v_dual_mov_b32 v137, v135
	v_cmpx_gt_u32_e64 s2, v5
	s_cbranch_execz .LBB251_159
; %bb.158:
	s_mov_b32 s7, 0
	s_delay_alu instid0(SALU_CYCLE_1)
	v_dual_mov_b32 v138, s7 :: v_dual_lshlrev_b32 v5, 2, v5
	global_load_b32 v5, v5, s[4:5]
	s_waitcnt vmcnt(0)
	v_cmp_neq_f32_e32 vcc_lo, 0, v5
	v_cndmask_b32_e64 v137, 0, 1, vcc_lo
.LBB251_159:
	s_or_b32 exec_lo, exec_lo, s6
	v_or_b32_e32 v5, 0x2200, v0
	s_mov_b32 s6, exec_lo
	s_delay_alu instid0(VALU_DEP_1)
	v_cmpx_gt_u32_e64 s2, v5
	s_cbranch_execz .LBB251_161
; %bb.160:
	s_mov_b32 s7, 0
	s_delay_alu instid0(SALU_CYCLE_1)
	v_dual_mov_b32 v136, s7 :: v_dual_lshlrev_b32 v5, 2, v5
	global_load_b32 v5, v5, s[4:5]
	s_waitcnt vmcnt(0)
	v_cmp_neq_f32_e32 vcc_lo, 0, v5
	v_cndmask_b32_e64 v135, 0, 1, vcc_lo
.LBB251_161:
	s_or_b32 exec_lo, exec_lo, s6
	v_mov_b32_e32 v139, 0
	v_mov_b32_e32 v140, 0
	v_or_b32_e32 v5, 0x2280, v0
	s_mov_b32 s6, exec_lo
	s_delay_alu instid0(VALU_DEP_2) | instskip(NEXT) | instid1(VALU_DEP_2)
	v_dual_mov_b32 v142, v140 :: v_dual_mov_b32 v141, v139
	v_cmpx_gt_u32_e64 s2, v5
	s_cbranch_execz .LBB251_163
; %bb.162:
	s_mov_b32 s7, 0
	s_delay_alu instid0(SALU_CYCLE_1)
	v_dual_mov_b32 v142, s7 :: v_dual_lshlrev_b32 v5, 2, v5
	global_load_b32 v5, v5, s[4:5]
	s_waitcnt vmcnt(0)
	v_cmp_neq_f32_e32 vcc_lo, 0, v5
	v_cndmask_b32_e64 v141, 0, 1, vcc_lo
.LBB251_163:
	s_or_b32 exec_lo, exec_lo, s6
	v_or_b32_e32 v5, 0x2300, v0
	s_mov_b32 s6, exec_lo
	s_delay_alu instid0(VALU_DEP_1)
	v_cmpx_gt_u32_e64 s2, v5
	s_cbranch_execz .LBB251_165
; %bb.164:
	s_mov_b32 s7, 0
	s_delay_alu instid0(SALU_CYCLE_1)
	v_dual_mov_b32 v140, s7 :: v_dual_lshlrev_b32 v5, 2, v5
	global_load_b32 v5, v5, s[4:5]
	s_waitcnt vmcnt(0)
	v_cmp_neq_f32_e32 vcc_lo, 0, v5
	v_cndmask_b32_e64 v139, 0, 1, vcc_lo
.LBB251_165:
	s_or_b32 exec_lo, exec_lo, s6
	v_mov_b32_e32 v143, 0
	v_mov_b32_e32 v144, 0
	v_or_b32_e32 v5, 0x2380, v0
	s_mov_b32 s6, exec_lo
	s_delay_alu instid0(VALU_DEP_2) | instskip(NEXT) | instid1(VALU_DEP_2)
	v_dual_mov_b32 v146, v144 :: v_dual_mov_b32 v145, v143
	v_cmpx_gt_u32_e64 s2, v5
	s_cbranch_execz .LBB251_167
; %bb.166:
	s_mov_b32 s7, 0
	s_delay_alu instid0(SALU_CYCLE_1)
	v_dual_mov_b32 v146, s7 :: v_dual_lshlrev_b32 v5, 2, v5
	global_load_b32 v5, v5, s[4:5]
	s_waitcnt vmcnt(0)
	v_cmp_neq_f32_e32 vcc_lo, 0, v5
	v_cndmask_b32_e64 v145, 0, 1, vcc_lo
.LBB251_167:
	s_or_b32 exec_lo, exec_lo, s6
	v_or_b32_e32 v5, 0x2400, v0
	s_mov_b32 s6, exec_lo
	s_delay_alu instid0(VALU_DEP_1)
	v_cmpx_gt_u32_e64 s2, v5
	s_cbranch_execz .LBB251_169
; %bb.168:
	s_mov_b32 s7, 0
	s_delay_alu instid0(SALU_CYCLE_1)
	v_dual_mov_b32 v144, s7 :: v_dual_lshlrev_b32 v5, 2, v5
	global_load_b32 v5, v5, s[4:5]
	s_waitcnt vmcnt(0)
	v_cmp_neq_f32_e32 vcc_lo, 0, v5
	v_cndmask_b32_e64 v143, 0, 1, vcc_lo
.LBB251_169:
	s_or_b32 exec_lo, exec_lo, s6
	v_mov_b32_e32 v147, 0
	v_mov_b32_e32 v148, 0
	v_or_b32_e32 v5, 0x2480, v0
	s_mov_b32 s6, exec_lo
	s_delay_alu instid0(VALU_DEP_2) | instskip(NEXT) | instid1(VALU_DEP_2)
	v_dual_mov_b32 v150, v148 :: v_dual_mov_b32 v149, v147
	v_cmpx_gt_u32_e64 s2, v5
	s_cbranch_execz .LBB251_171
; %bb.170:
	s_mov_b32 s7, 0
	s_delay_alu instid0(SALU_CYCLE_1)
	v_dual_mov_b32 v150, s7 :: v_dual_lshlrev_b32 v5, 2, v5
	global_load_b32 v5, v5, s[4:5]
	s_waitcnt vmcnt(0)
	v_cmp_neq_f32_e32 vcc_lo, 0, v5
	v_cndmask_b32_e64 v149, 0, 1, vcc_lo
.LBB251_171:
	s_or_b32 exec_lo, exec_lo, s6
	v_or_b32_e32 v5, 0x2500, v0
	s_mov_b32 s6, exec_lo
	s_delay_alu instid0(VALU_DEP_1)
	v_cmpx_gt_u32_e64 s2, v5
	s_cbranch_execz .LBB251_173
; %bb.172:
	s_mov_b32 s7, 0
	s_delay_alu instid0(SALU_CYCLE_1)
	v_dual_mov_b32 v148, s7 :: v_dual_lshlrev_b32 v5, 2, v5
	global_load_b32 v5, v5, s[4:5]
	s_waitcnt vmcnt(0)
	v_cmp_neq_f32_e32 vcc_lo, 0, v5
	v_cndmask_b32_e64 v147, 0, 1, vcc_lo
.LBB251_173:
	s_or_b32 exec_lo, exec_lo, s6
	v_mov_b32_e32 v151, 0
	v_mov_b32_e32 v152, 0
	v_or_b32_e32 v5, 0x2580, v0
	s_mov_b32 s6, exec_lo
	s_delay_alu instid0(VALU_DEP_2) | instskip(NEXT) | instid1(VALU_DEP_2)
	v_dual_mov_b32 v154, v152 :: v_dual_mov_b32 v153, v151
	v_cmpx_gt_u32_e64 s2, v5
	s_cbranch_execz .LBB251_175
; %bb.174:
	s_mov_b32 s7, 0
	s_delay_alu instid0(SALU_CYCLE_1)
	v_dual_mov_b32 v154, s7 :: v_dual_lshlrev_b32 v5, 2, v5
	global_load_b32 v5, v5, s[4:5]
	s_waitcnt vmcnt(0)
	v_cmp_neq_f32_e32 vcc_lo, 0, v5
	v_cndmask_b32_e64 v153, 0, 1, vcc_lo
.LBB251_175:
	s_or_b32 exec_lo, exec_lo, s6
	v_or_b32_e32 v5, 0x2600, v0
	s_mov_b32 s6, exec_lo
	s_delay_alu instid0(VALU_DEP_1)
	v_cmpx_gt_u32_e64 s2, v5
	s_cbranch_execz .LBB251_177
; %bb.176:
	s_mov_b32 s7, 0
	s_delay_alu instid0(SALU_CYCLE_1)
	v_dual_mov_b32 v152, s7 :: v_dual_lshlrev_b32 v5, 2, v5
	global_load_b32 v5, v5, s[4:5]
	s_waitcnt vmcnt(0)
	v_cmp_neq_f32_e32 vcc_lo, 0, v5
	v_cndmask_b32_e64 v151, 0, 1, vcc_lo
.LBB251_177:
	s_or_b32 exec_lo, exec_lo, s6
	v_mov_b32_e32 v155, 0
	v_mov_b32_e32 v156, 0
	v_or_b32_e32 v5, 0x2680, v0
	s_mov_b32 s6, exec_lo
	s_delay_alu instid0(VALU_DEP_2) | instskip(NEXT) | instid1(VALU_DEP_2)
	v_dual_mov_b32 v158, v156 :: v_dual_mov_b32 v157, v155
	v_cmpx_gt_u32_e64 s2, v5
	s_cbranch_execz .LBB251_179
; %bb.178:
	s_mov_b32 s7, 0
	s_delay_alu instid0(SALU_CYCLE_1)
	v_dual_mov_b32 v158, s7 :: v_dual_lshlrev_b32 v5, 2, v5
	global_load_b32 v5, v5, s[4:5]
	s_waitcnt vmcnt(0)
	v_cmp_neq_f32_e32 vcc_lo, 0, v5
	v_cndmask_b32_e64 v157, 0, 1, vcc_lo
.LBB251_179:
	s_or_b32 exec_lo, exec_lo, s6
	v_or_b32_e32 v5, 0x2700, v0
	s_mov_b32 s6, exec_lo
	s_delay_alu instid0(VALU_DEP_1)
	v_cmpx_gt_u32_e64 s2, v5
	s_cbranch_execz .LBB251_181
; %bb.180:
	s_mov_b32 s7, 0
	s_delay_alu instid0(SALU_CYCLE_1)
	v_dual_mov_b32 v156, s7 :: v_dual_lshlrev_b32 v5, 2, v5
	global_load_b32 v5, v5, s[4:5]
	s_waitcnt vmcnt(0)
	v_cmp_neq_f32_e32 vcc_lo, 0, v5
	v_cndmask_b32_e64 v155, 0, 1, vcc_lo
.LBB251_181:
	s_or_b32 exec_lo, exec_lo, s6
	v_mov_b32_e32 v159, 0
	v_mov_b32_e32 v160, 0
	v_or_b32_e32 v5, 0x2780, v0
	s_mov_b32 s6, exec_lo
	s_delay_alu instid0(VALU_DEP_2) | instskip(NEXT) | instid1(VALU_DEP_2)
	v_dual_mov_b32 v162, v160 :: v_dual_mov_b32 v161, v159
	v_cmpx_gt_u32_e64 s2, v5
	s_cbranch_execz .LBB251_183
; %bb.182:
	s_mov_b32 s7, 0
	s_delay_alu instid0(SALU_CYCLE_1)
	v_dual_mov_b32 v162, s7 :: v_dual_lshlrev_b32 v5, 2, v5
	global_load_b32 v5, v5, s[4:5]
	s_waitcnt vmcnt(0)
	v_cmp_neq_f32_e32 vcc_lo, 0, v5
	v_cndmask_b32_e64 v161, 0, 1, vcc_lo
.LBB251_183:
	s_or_b32 exec_lo, exec_lo, s6
	v_or_b32_e32 v5, 0x2800, v0
	s_mov_b32 s6, exec_lo
	s_delay_alu instid0(VALU_DEP_1)
	v_cmpx_gt_u32_e64 s2, v5
	s_cbranch_execz .LBB251_185
; %bb.184:
	s_mov_b32 s7, 0
	s_delay_alu instid0(SALU_CYCLE_1)
	v_dual_mov_b32 v160, s7 :: v_dual_lshlrev_b32 v5, 2, v5
	global_load_b32 v5, v5, s[4:5]
	s_waitcnt vmcnt(0)
	v_cmp_neq_f32_e32 vcc_lo, 0, v5
	v_cndmask_b32_e64 v159, 0, 1, vcc_lo
.LBB251_185:
	s_or_b32 exec_lo, exec_lo, s6
	v_mov_b32_e32 v163, 0
	v_mov_b32_e32 v164, 0
	v_or_b32_e32 v5, 0x2880, v0
	s_mov_b32 s6, exec_lo
	s_delay_alu instid0(VALU_DEP_2) | instskip(NEXT) | instid1(VALU_DEP_2)
	v_dual_mov_b32 v166, v164 :: v_dual_mov_b32 v165, v163
	v_cmpx_gt_u32_e64 s2, v5
	s_cbranch_execz .LBB251_187
; %bb.186:
	s_mov_b32 s7, 0
	s_delay_alu instid0(SALU_CYCLE_1)
	v_dual_mov_b32 v166, s7 :: v_dual_lshlrev_b32 v5, 2, v5
	global_load_b32 v5, v5, s[4:5]
	s_waitcnt vmcnt(0)
	v_cmp_neq_f32_e32 vcc_lo, 0, v5
	v_cndmask_b32_e64 v165, 0, 1, vcc_lo
.LBB251_187:
	s_or_b32 exec_lo, exec_lo, s6
	v_or_b32_e32 v5, 0x2900, v0
	s_mov_b32 s6, exec_lo
	s_delay_alu instid0(VALU_DEP_1)
	v_cmpx_gt_u32_e64 s2, v5
	s_cbranch_execz .LBB251_189
; %bb.188:
	s_mov_b32 s7, 0
	s_delay_alu instid0(SALU_CYCLE_1)
	v_dual_mov_b32 v164, s7 :: v_dual_lshlrev_b32 v5, 2, v5
	global_load_b32 v5, v5, s[4:5]
	s_waitcnt vmcnt(0)
	v_cmp_neq_f32_e32 vcc_lo, 0, v5
	v_cndmask_b32_e64 v163, 0, 1, vcc_lo
.LBB251_189:
	s_or_b32 exec_lo, exec_lo, s6
	v_mov_b32_e32 v167, 0
	v_mov_b32_e32 v168, 0
	v_or_b32_e32 v5, 0x2980, v0
	s_mov_b32 s6, exec_lo
	s_delay_alu instid0(VALU_DEP_2) | instskip(NEXT) | instid1(VALU_DEP_2)
	v_dual_mov_b32 v170, v168 :: v_dual_mov_b32 v169, v167
	v_cmpx_gt_u32_e64 s2, v5
	s_cbranch_execz .LBB251_191
; %bb.190:
	s_mov_b32 s7, 0
	s_delay_alu instid0(SALU_CYCLE_1)
	v_dual_mov_b32 v170, s7 :: v_dual_lshlrev_b32 v5, 2, v5
	global_load_b32 v5, v5, s[4:5]
	s_waitcnt vmcnt(0)
	v_cmp_neq_f32_e32 vcc_lo, 0, v5
	v_cndmask_b32_e64 v169, 0, 1, vcc_lo
.LBB251_191:
	s_or_b32 exec_lo, exec_lo, s6
	v_or_b32_e32 v5, 0x2a00, v0
	s_mov_b32 s6, exec_lo
	s_delay_alu instid0(VALU_DEP_1)
	v_cmpx_gt_u32_e64 s2, v5
	s_cbranch_execz .LBB251_193
; %bb.192:
	s_mov_b32 s7, 0
	s_delay_alu instid0(SALU_CYCLE_1)
	v_dual_mov_b32 v168, s7 :: v_dual_lshlrev_b32 v5, 2, v5
	global_load_b32 v5, v5, s[4:5]
	s_waitcnt vmcnt(0)
	v_cmp_neq_f32_e32 vcc_lo, 0, v5
	v_cndmask_b32_e64 v167, 0, 1, vcc_lo
.LBB251_193:
	s_or_b32 exec_lo, exec_lo, s6
	v_mov_b32_e32 v171, 0
	v_mov_b32_e32 v172, 0
	v_or_b32_e32 v5, 0x2a80, v0
	s_mov_b32 s6, exec_lo
	s_delay_alu instid0(VALU_DEP_2) | instskip(NEXT) | instid1(VALU_DEP_2)
	v_dual_mov_b32 v174, v172 :: v_dual_mov_b32 v173, v171
	v_cmpx_gt_u32_e64 s2, v5
	s_cbranch_execz .LBB251_195
; %bb.194:
	s_mov_b32 s7, 0
	s_delay_alu instid0(SALU_CYCLE_1)
	v_dual_mov_b32 v174, s7 :: v_dual_lshlrev_b32 v5, 2, v5
	global_load_b32 v5, v5, s[4:5]
	s_waitcnt vmcnt(0)
	v_cmp_neq_f32_e32 vcc_lo, 0, v5
	v_cndmask_b32_e64 v173, 0, 1, vcc_lo
.LBB251_195:
	s_or_b32 exec_lo, exec_lo, s6
	v_or_b32_e32 v5, 0x2b00, v0
	s_mov_b32 s6, exec_lo
	s_delay_alu instid0(VALU_DEP_1)
	v_cmpx_gt_u32_e64 s2, v5
	s_cbranch_execz .LBB251_197
; %bb.196:
	s_mov_b32 s7, 0
	s_delay_alu instid0(SALU_CYCLE_1)
	v_dual_mov_b32 v172, s7 :: v_dual_lshlrev_b32 v5, 2, v5
	global_load_b32 v5, v5, s[4:5]
	s_waitcnt vmcnt(0)
	v_cmp_neq_f32_e32 vcc_lo, 0, v5
	v_cndmask_b32_e64 v171, 0, 1, vcc_lo
.LBB251_197:
	s_or_b32 exec_lo, exec_lo, s6
	v_mov_b32_e32 v175, 0
	v_mov_b32_e32 v176, 0
	v_or_b32_e32 v5, 0x2b80, v0
	s_mov_b32 s6, exec_lo
	s_delay_alu instid0(VALU_DEP_2) | instskip(NEXT) | instid1(VALU_DEP_2)
	v_dual_mov_b32 v178, v176 :: v_dual_mov_b32 v177, v175
	v_cmpx_gt_u32_e64 s2, v5
	s_cbranch_execz .LBB251_199
; %bb.198:
	s_mov_b32 s7, 0
	s_delay_alu instid0(SALU_CYCLE_1)
	v_dual_mov_b32 v178, s7 :: v_dual_lshlrev_b32 v5, 2, v5
	global_load_b32 v5, v5, s[4:5]
	s_waitcnt vmcnt(0)
	v_cmp_neq_f32_e32 vcc_lo, 0, v5
	v_cndmask_b32_e64 v177, 0, 1, vcc_lo
.LBB251_199:
	s_or_b32 exec_lo, exec_lo, s6
	v_or_b32_e32 v5, 0x2c00, v0
	s_mov_b32 s6, exec_lo
	s_delay_alu instid0(VALU_DEP_1)
	v_cmpx_gt_u32_e64 s2, v5
	s_cbranch_execz .LBB251_201
; %bb.200:
	s_mov_b32 s7, 0
	s_delay_alu instid0(SALU_CYCLE_1)
	v_dual_mov_b32 v176, s7 :: v_dual_lshlrev_b32 v5, 2, v5
	global_load_b32 v5, v5, s[4:5]
	s_waitcnt vmcnt(0)
	v_cmp_neq_f32_e32 vcc_lo, 0, v5
	v_cndmask_b32_e64 v175, 0, 1, vcc_lo
.LBB251_201:
	s_or_b32 exec_lo, exec_lo, s6
	v_mov_b32_e32 v179, 0
	v_mov_b32_e32 v180, 0
	v_or_b32_e32 v5, 0x2c80, v0
	s_mov_b32 s6, exec_lo
	s_delay_alu instid0(VALU_DEP_2) | instskip(NEXT) | instid1(VALU_DEP_2)
	v_dual_mov_b32 v182, v180 :: v_dual_mov_b32 v181, v179
	v_cmpx_gt_u32_e64 s2, v5
	s_cbranch_execz .LBB251_203
; %bb.202:
	s_mov_b32 s7, 0
	s_delay_alu instid0(SALU_CYCLE_1)
	v_dual_mov_b32 v182, s7 :: v_dual_lshlrev_b32 v5, 2, v5
	global_load_b32 v5, v5, s[4:5]
	s_waitcnt vmcnt(0)
	v_cmp_neq_f32_e32 vcc_lo, 0, v5
	v_cndmask_b32_e64 v181, 0, 1, vcc_lo
.LBB251_203:
	s_or_b32 exec_lo, exec_lo, s6
	v_or_b32_e32 v5, 0x2d00, v0
	s_mov_b32 s6, exec_lo
	s_delay_alu instid0(VALU_DEP_1)
	v_cmpx_gt_u32_e64 s2, v5
	s_cbranch_execz .LBB251_205
; %bb.204:
	s_mov_b32 s7, 0
	s_delay_alu instid0(SALU_CYCLE_1)
	v_dual_mov_b32 v180, s7 :: v_dual_lshlrev_b32 v5, 2, v5
	global_load_b32 v5, v5, s[4:5]
	s_waitcnt vmcnt(0)
	v_cmp_neq_f32_e32 vcc_lo, 0, v5
	v_cndmask_b32_e64 v179, 0, 1, vcc_lo
.LBB251_205:
	s_or_b32 exec_lo, exec_lo, s6
	v_mov_b32_e32 v183, 0
	v_mov_b32_e32 v184, 0
	v_or_b32_e32 v5, 0x2d80, v0
	s_mov_b32 s6, exec_lo
	s_delay_alu instid0(VALU_DEP_2) | instskip(NEXT) | instid1(VALU_DEP_2)
	v_dual_mov_b32 v186, v184 :: v_dual_mov_b32 v185, v183
	v_cmpx_gt_u32_e64 s2, v5
	s_cbranch_execz .LBB251_207
; %bb.206:
	s_mov_b32 s7, 0
	s_delay_alu instid0(SALU_CYCLE_1)
	v_dual_mov_b32 v186, s7 :: v_dual_lshlrev_b32 v5, 2, v5
	global_load_b32 v5, v5, s[4:5]
	s_waitcnt vmcnt(0)
	v_cmp_neq_f32_e32 vcc_lo, 0, v5
	v_cndmask_b32_e64 v185, 0, 1, vcc_lo
.LBB251_207:
	s_or_b32 exec_lo, exec_lo, s6
	v_or_b32_e32 v5, 0x2e00, v0
	s_mov_b32 s6, exec_lo
	s_delay_alu instid0(VALU_DEP_1)
	v_cmpx_gt_u32_e64 s2, v5
	s_cbranch_execz .LBB251_209
; %bb.208:
	s_mov_b32 s7, 0
	s_delay_alu instid0(SALU_CYCLE_1)
	v_dual_mov_b32 v184, s7 :: v_dual_lshlrev_b32 v5, 2, v5
	global_load_b32 v5, v5, s[4:5]
	s_waitcnt vmcnt(0)
	v_cmp_neq_f32_e32 vcc_lo, 0, v5
	v_cndmask_b32_e64 v183, 0, 1, vcc_lo
.LBB251_209:
	s_or_b32 exec_lo, exec_lo, s6
	v_mov_b32_e32 v187, 0
	v_mov_b32_e32 v188, 0
	v_or_b32_e32 v5, 0x2e80, v0
	s_mov_b32 s6, exec_lo
	s_delay_alu instid0(VALU_DEP_2) | instskip(NEXT) | instid1(VALU_DEP_2)
	v_dual_mov_b32 v190, v188 :: v_dual_mov_b32 v189, v187
	v_cmpx_gt_u32_e64 s2, v5
	s_cbranch_execz .LBB251_211
; %bb.210:
	s_mov_b32 s7, 0
	s_delay_alu instid0(SALU_CYCLE_1)
	v_dual_mov_b32 v190, s7 :: v_dual_lshlrev_b32 v5, 2, v5
	global_load_b32 v5, v5, s[4:5]
	s_waitcnt vmcnt(0)
	v_cmp_neq_f32_e32 vcc_lo, 0, v5
	v_cndmask_b32_e64 v189, 0, 1, vcc_lo
.LBB251_211:
	s_or_b32 exec_lo, exec_lo, s6
	v_or_b32_e32 v5, 0x2f00, v0
	s_mov_b32 s6, exec_lo
	s_delay_alu instid0(VALU_DEP_1)
	v_cmpx_gt_u32_e64 s2, v5
	s_cbranch_execz .LBB251_213
; %bb.212:
	s_mov_b32 s7, 0
	s_delay_alu instid0(SALU_CYCLE_1)
	v_dual_mov_b32 v188, s7 :: v_dual_lshlrev_b32 v5, 2, v5
	global_load_b32 v5, v5, s[4:5]
	s_waitcnt vmcnt(0)
	v_cmp_neq_f32_e32 vcc_lo, 0, v5
	v_cndmask_b32_e64 v187, 0, 1, vcc_lo
.LBB251_213:
	s_or_b32 exec_lo, exec_lo, s6
	v_mov_b32_e32 v191, 0
	v_mov_b32_e32 v192, 0
	v_or_b32_e32 v5, 0x2f80, v0
	s_mov_b32 s6, exec_lo
	s_delay_alu instid0(VALU_DEP_2) | instskip(NEXT) | instid1(VALU_DEP_2)
	v_dual_mov_b32 v194, v192 :: v_dual_mov_b32 v193, v191
	v_cmpx_gt_u32_e64 s2, v5
	s_cbranch_execz .LBB251_215
; %bb.214:
	s_mov_b32 s7, 0
	s_delay_alu instid0(SALU_CYCLE_1)
	v_dual_mov_b32 v194, s7 :: v_dual_lshlrev_b32 v5, 2, v5
	global_load_b32 v5, v5, s[4:5]
	s_waitcnt vmcnt(0)
	v_cmp_neq_f32_e32 vcc_lo, 0, v5
	v_cndmask_b32_e64 v193, 0, 1, vcc_lo
.LBB251_215:
	s_or_b32 exec_lo, exec_lo, s6
	v_or_b32_e32 v5, 0x3000, v0
	s_mov_b32 s6, exec_lo
	s_delay_alu instid0(VALU_DEP_1)
	v_cmpx_gt_u32_e64 s2, v5
	s_cbranch_execz .LBB251_217
; %bb.216:
	s_mov_b32 s7, 0
	s_delay_alu instid0(SALU_CYCLE_1)
	v_dual_mov_b32 v192, s7 :: v_dual_lshlrev_b32 v5, 2, v5
	global_load_b32 v5, v5, s[4:5]
	s_waitcnt vmcnt(0)
	v_cmp_neq_f32_e32 vcc_lo, 0, v5
	v_cndmask_b32_e64 v191, 0, 1, vcc_lo
.LBB251_217:
	s_or_b32 exec_lo, exec_lo, s6
	v_mov_b32_e32 v195, 0
	v_mov_b32_e32 v196, 0
	v_or_b32_e32 v5, 0x3080, v0
	s_mov_b32 s6, exec_lo
	s_delay_alu instid0(VALU_DEP_2) | instskip(NEXT) | instid1(VALU_DEP_2)
	v_dual_mov_b32 v198, v196 :: v_dual_mov_b32 v197, v195
	v_cmpx_gt_u32_e64 s2, v5
	s_cbranch_execz .LBB251_219
; %bb.218:
	s_mov_b32 s7, 0
	s_delay_alu instid0(SALU_CYCLE_1)
	v_dual_mov_b32 v198, s7 :: v_dual_lshlrev_b32 v5, 2, v5
	global_load_b32 v5, v5, s[4:5]
	s_waitcnt vmcnt(0)
	v_cmp_neq_f32_e32 vcc_lo, 0, v5
	v_cndmask_b32_e64 v197, 0, 1, vcc_lo
.LBB251_219:
	s_or_b32 exec_lo, exec_lo, s6
	v_or_b32_e32 v5, 0x3100, v0
	s_mov_b32 s6, exec_lo
	s_delay_alu instid0(VALU_DEP_1)
	v_cmpx_gt_u32_e64 s2, v5
	s_cbranch_execz .LBB251_221
; %bb.220:
	s_mov_b32 s7, 0
	s_delay_alu instid0(SALU_CYCLE_1)
	v_dual_mov_b32 v196, s7 :: v_dual_lshlrev_b32 v5, 2, v5
	global_load_b32 v5, v5, s[4:5]
	s_waitcnt vmcnt(0)
	v_cmp_neq_f32_e32 vcc_lo, 0, v5
	v_cndmask_b32_e64 v195, 0, 1, vcc_lo
.LBB251_221:
	s_or_b32 exec_lo, exec_lo, s6
	v_mov_b32_e32 v199, 0
	v_mov_b32_e32 v200, 0
	v_or_b32_e32 v5, 0x3180, v0
	s_mov_b32 s6, exec_lo
	s_delay_alu instid0(VALU_DEP_2) | instskip(NEXT) | instid1(VALU_DEP_2)
	v_dual_mov_b32 v202, v200 :: v_dual_mov_b32 v201, v199
	v_cmpx_gt_u32_e64 s2, v5
	s_cbranch_execz .LBB251_223
; %bb.222:
	s_mov_b32 s7, 0
	s_delay_alu instid0(SALU_CYCLE_1)
	v_dual_mov_b32 v202, s7 :: v_dual_lshlrev_b32 v5, 2, v5
	global_load_b32 v5, v5, s[4:5]
	s_waitcnt vmcnt(0)
	v_cmp_neq_f32_e32 vcc_lo, 0, v5
	v_cndmask_b32_e64 v201, 0, 1, vcc_lo
.LBB251_223:
	s_or_b32 exec_lo, exec_lo, s6
	v_or_b32_e32 v5, 0x3200, v0
	s_mov_b32 s6, exec_lo
	s_delay_alu instid0(VALU_DEP_1)
	v_cmpx_gt_u32_e64 s2, v5
	s_cbranch_execz .LBB251_225
; %bb.224:
	s_mov_b32 s7, 0
	s_delay_alu instid0(SALU_CYCLE_1)
	v_dual_mov_b32 v200, s7 :: v_dual_lshlrev_b32 v5, 2, v5
	global_load_b32 v5, v5, s[4:5]
	s_waitcnt vmcnt(0)
	v_cmp_neq_f32_e32 vcc_lo, 0, v5
	v_cndmask_b32_e64 v199, 0, 1, vcc_lo
.LBB251_225:
	s_or_b32 exec_lo, exec_lo, s6
	v_mov_b32_e32 v203, 0
	v_mov_b32_e32 v204, 0
	v_or_b32_e32 v5, 0x3280, v0
	s_mov_b32 s6, exec_lo
	s_delay_alu instid0(VALU_DEP_2) | instskip(NEXT) | instid1(VALU_DEP_2)
	v_dual_mov_b32 v206, v204 :: v_dual_mov_b32 v205, v203
	v_cmpx_gt_u32_e64 s2, v5
	s_cbranch_execz .LBB251_227
; %bb.226:
	s_mov_b32 s7, 0
	s_delay_alu instid0(SALU_CYCLE_1)
	v_dual_mov_b32 v206, s7 :: v_dual_lshlrev_b32 v5, 2, v5
	global_load_b32 v5, v5, s[4:5]
	s_waitcnt vmcnt(0)
	v_cmp_neq_f32_e32 vcc_lo, 0, v5
	v_cndmask_b32_e64 v205, 0, 1, vcc_lo
.LBB251_227:
	s_or_b32 exec_lo, exec_lo, s6
	v_or_b32_e32 v5, 0x3300, v0
	s_mov_b32 s6, exec_lo
	s_delay_alu instid0(VALU_DEP_1)
	v_cmpx_gt_u32_e64 s2, v5
	s_cbranch_execz .LBB251_229
; %bb.228:
	s_mov_b32 s7, 0
	s_delay_alu instid0(SALU_CYCLE_1)
	v_dual_mov_b32 v204, s7 :: v_dual_lshlrev_b32 v5, 2, v5
	global_load_b32 v5, v5, s[4:5]
	s_waitcnt vmcnt(0)
	v_cmp_neq_f32_e32 vcc_lo, 0, v5
	v_cndmask_b32_e64 v203, 0, 1, vcc_lo
.LBB251_229:
	s_or_b32 exec_lo, exec_lo, s6
	v_mov_b32_e32 v207, 0
	v_mov_b32_e32 v208, 0
	v_or_b32_e32 v5, 0x3380, v0
	s_mov_b32 s6, exec_lo
	s_delay_alu instid0(VALU_DEP_2) | instskip(NEXT) | instid1(VALU_DEP_2)
	v_dual_mov_b32 v210, v208 :: v_dual_mov_b32 v209, v207
	v_cmpx_gt_u32_e64 s2, v5
	s_cbranch_execz .LBB251_231
; %bb.230:
	s_mov_b32 s7, 0
	s_delay_alu instid0(SALU_CYCLE_1)
	v_dual_mov_b32 v210, s7 :: v_dual_lshlrev_b32 v5, 2, v5
	global_load_b32 v5, v5, s[4:5]
	s_waitcnt vmcnt(0)
	v_cmp_neq_f32_e32 vcc_lo, 0, v5
	v_cndmask_b32_e64 v209, 0, 1, vcc_lo
.LBB251_231:
	s_or_b32 exec_lo, exec_lo, s6
	v_or_b32_e32 v5, 0x3400, v0
	s_mov_b32 s6, exec_lo
	s_delay_alu instid0(VALU_DEP_1)
	v_cmpx_gt_u32_e64 s2, v5
	s_cbranch_execz .LBB251_233
; %bb.232:
	s_mov_b32 s7, 0
	s_delay_alu instid0(SALU_CYCLE_1)
	v_dual_mov_b32 v208, s7 :: v_dual_lshlrev_b32 v5, 2, v5
	global_load_b32 v5, v5, s[4:5]
	s_waitcnt vmcnt(0)
	v_cmp_neq_f32_e32 vcc_lo, 0, v5
	v_cndmask_b32_e64 v207, 0, 1, vcc_lo
.LBB251_233:
	s_or_b32 exec_lo, exec_lo, s6
	v_mov_b32_e32 v211, 0
	v_mov_b32_e32 v212, 0
	v_or_b32_e32 v5, 0x3480, v0
	s_mov_b32 s6, exec_lo
	s_delay_alu instid0(VALU_DEP_2) | instskip(NEXT) | instid1(VALU_DEP_2)
	v_dual_mov_b32 v214, v212 :: v_dual_mov_b32 v213, v211
	v_cmpx_gt_u32_e64 s2, v5
	s_cbranch_execz .LBB251_235
; %bb.234:
	s_mov_b32 s7, 0
	s_delay_alu instid0(SALU_CYCLE_1)
	v_dual_mov_b32 v214, s7 :: v_dual_lshlrev_b32 v5, 2, v5
	global_load_b32 v5, v5, s[4:5]
	s_waitcnt vmcnt(0)
	v_cmp_neq_f32_e32 vcc_lo, 0, v5
	v_cndmask_b32_e64 v213, 0, 1, vcc_lo
.LBB251_235:
	s_or_b32 exec_lo, exec_lo, s6
	v_or_b32_e32 v5, 0x3500, v0
	s_mov_b32 s6, exec_lo
	s_delay_alu instid0(VALU_DEP_1)
	v_cmpx_gt_u32_e64 s2, v5
	s_cbranch_execz .LBB251_237
; %bb.236:
	s_mov_b32 s7, 0
	s_delay_alu instid0(SALU_CYCLE_1)
	v_dual_mov_b32 v212, s7 :: v_dual_lshlrev_b32 v5, 2, v5
	global_load_b32 v5, v5, s[4:5]
	s_waitcnt vmcnt(0)
	v_cmp_neq_f32_e32 vcc_lo, 0, v5
	v_cndmask_b32_e64 v211, 0, 1, vcc_lo
.LBB251_237:
	s_or_b32 exec_lo, exec_lo, s6
	v_mov_b32_e32 v215, 0
	v_mov_b32_e32 v216, 0
	v_or_b32_e32 v5, 0x3580, v0
	s_mov_b32 s6, exec_lo
	s_delay_alu instid0(VALU_DEP_2) | instskip(NEXT) | instid1(VALU_DEP_2)
	v_dual_mov_b32 v218, v216 :: v_dual_mov_b32 v217, v215
	v_cmpx_gt_u32_e64 s2, v5
	s_cbranch_execz .LBB251_239
; %bb.238:
	s_mov_b32 s7, 0
	s_delay_alu instid0(SALU_CYCLE_1)
	v_dual_mov_b32 v218, s7 :: v_dual_lshlrev_b32 v5, 2, v5
	global_load_b32 v5, v5, s[4:5]
	s_waitcnt vmcnt(0)
	v_cmp_neq_f32_e32 vcc_lo, 0, v5
	v_cndmask_b32_e64 v217, 0, 1, vcc_lo
.LBB251_239:
	s_or_b32 exec_lo, exec_lo, s6
	v_or_b32_e32 v5, 0x3600, v0
	s_mov_b32 s6, exec_lo
	s_delay_alu instid0(VALU_DEP_1)
	v_cmpx_gt_u32_e64 s2, v5
	s_cbranch_execz .LBB251_241
; %bb.240:
	s_mov_b32 s7, 0
	s_delay_alu instid0(SALU_CYCLE_1)
	v_dual_mov_b32 v216, s7 :: v_dual_lshlrev_b32 v5, 2, v5
	global_load_b32 v5, v5, s[4:5]
	s_waitcnt vmcnt(0)
	v_cmp_neq_f32_e32 vcc_lo, 0, v5
	v_cndmask_b32_e64 v215, 0, 1, vcc_lo
.LBB251_241:
	s_or_b32 exec_lo, exec_lo, s6
	v_mov_b32_e32 v219, 0
	v_mov_b32_e32 v220, 0
	v_or_b32_e32 v5, 0x3680, v0
	s_mov_b32 s6, exec_lo
	s_delay_alu instid0(VALU_DEP_2) | instskip(NEXT) | instid1(VALU_DEP_2)
	v_dual_mov_b32 v222, v220 :: v_dual_mov_b32 v221, v219
	v_cmpx_gt_u32_e64 s2, v5
	s_cbranch_execz .LBB251_243
; %bb.242:
	s_mov_b32 s7, 0
	s_delay_alu instid0(SALU_CYCLE_1)
	v_dual_mov_b32 v222, s7 :: v_dual_lshlrev_b32 v5, 2, v5
	global_load_b32 v5, v5, s[4:5]
	s_waitcnt vmcnt(0)
	v_cmp_neq_f32_e32 vcc_lo, 0, v5
	v_cndmask_b32_e64 v221, 0, 1, vcc_lo
.LBB251_243:
	s_or_b32 exec_lo, exec_lo, s6
	v_or_b32_e32 v5, 0x3700, v0
	s_mov_b32 s6, exec_lo
	s_delay_alu instid0(VALU_DEP_1)
	v_cmpx_gt_u32_e64 s2, v5
	s_cbranch_execz .LBB251_245
; %bb.244:
	s_mov_b32 s7, 0
	s_delay_alu instid0(SALU_CYCLE_1)
	v_dual_mov_b32 v220, s7 :: v_dual_lshlrev_b32 v5, 2, v5
	global_load_b32 v5, v5, s[4:5]
	s_waitcnt vmcnt(0)
	v_cmp_neq_f32_e32 vcc_lo, 0, v5
	v_cndmask_b32_e64 v219, 0, 1, vcc_lo
.LBB251_245:
	s_or_b32 exec_lo, exec_lo, s6
	v_mov_b32_e32 v223, 0
	v_mov_b32_e32 v224, 0
	v_or_b32_e32 v5, 0x3780, v0
	s_mov_b32 s6, exec_lo
	s_delay_alu instid0(VALU_DEP_2) | instskip(NEXT) | instid1(VALU_DEP_2)
	v_dual_mov_b32 v226, v224 :: v_dual_mov_b32 v225, v223
	v_cmpx_gt_u32_e64 s2, v5
	s_cbranch_execz .LBB251_247
; %bb.246:
	s_mov_b32 s7, 0
	s_delay_alu instid0(SALU_CYCLE_1)
	v_dual_mov_b32 v226, s7 :: v_dual_lshlrev_b32 v5, 2, v5
	global_load_b32 v5, v5, s[4:5]
	s_waitcnt vmcnt(0)
	v_cmp_neq_f32_e32 vcc_lo, 0, v5
	v_cndmask_b32_e64 v225, 0, 1, vcc_lo
.LBB251_247:
	s_or_b32 exec_lo, exec_lo, s6
	v_or_b32_e32 v5, 0x3800, v0
	s_mov_b32 s6, exec_lo
	s_delay_alu instid0(VALU_DEP_1)
	v_cmpx_gt_u32_e64 s2, v5
	s_cbranch_execz .LBB251_249
; %bb.248:
	s_mov_b32 s7, 0
	s_delay_alu instid0(SALU_CYCLE_1)
	v_dual_mov_b32 v224, s7 :: v_dual_lshlrev_b32 v5, 2, v5
	global_load_b32 v5, v5, s[4:5]
	s_waitcnt vmcnt(0)
	v_cmp_neq_f32_e32 vcc_lo, 0, v5
	v_cndmask_b32_e64 v223, 0, 1, vcc_lo
.LBB251_249:
	s_or_b32 exec_lo, exec_lo, s6
	v_mov_b32_e32 v227, 0
	v_mov_b32_e32 v228, 0
	v_or_b32_e32 v5, 0x3880, v0
	s_mov_b32 s6, exec_lo
	s_delay_alu instid0(VALU_DEP_2) | instskip(NEXT) | instid1(VALU_DEP_2)
	v_dual_mov_b32 v230, v228 :: v_dual_mov_b32 v229, v227
	v_cmpx_gt_u32_e64 s2, v5
	s_cbranch_execz .LBB251_251
; %bb.250:
	s_mov_b32 s7, 0
	s_delay_alu instid0(SALU_CYCLE_1)
	v_dual_mov_b32 v230, s7 :: v_dual_lshlrev_b32 v5, 2, v5
	global_load_b32 v5, v5, s[4:5]
	s_waitcnt vmcnt(0)
	v_cmp_neq_f32_e32 vcc_lo, 0, v5
	v_cndmask_b32_e64 v229, 0, 1, vcc_lo
.LBB251_251:
	s_or_b32 exec_lo, exec_lo, s6
	v_or_b32_e32 v5, 0x3900, v0
	s_mov_b32 s6, exec_lo
	s_delay_alu instid0(VALU_DEP_1)
	v_cmpx_gt_u32_e64 s2, v5
	s_cbranch_execz .LBB251_253
; %bb.252:
	s_mov_b32 s7, 0
	s_delay_alu instid0(SALU_CYCLE_1)
	v_dual_mov_b32 v228, s7 :: v_dual_lshlrev_b32 v5, 2, v5
	global_load_b32 v5, v5, s[4:5]
	s_waitcnt vmcnt(0)
	v_cmp_neq_f32_e32 vcc_lo, 0, v5
	v_cndmask_b32_e64 v227, 0, 1, vcc_lo
.LBB251_253:
	s_or_b32 exec_lo, exec_lo, s6
	v_mov_b32_e32 v231, 0
	v_mov_b32_e32 v232, 0
	v_or_b32_e32 v5, 0x3980, v0
	s_mov_b32 s6, exec_lo
	s_delay_alu instid0(VALU_DEP_2) | instskip(NEXT) | instid1(VALU_DEP_2)
	v_dual_mov_b32 v234, v232 :: v_dual_mov_b32 v233, v231
	v_cmpx_gt_u32_e64 s2, v5
	s_cbranch_execz .LBB251_255
; %bb.254:
	s_mov_b32 s7, 0
	s_delay_alu instid0(SALU_CYCLE_1)
	v_dual_mov_b32 v234, s7 :: v_dual_lshlrev_b32 v5, 2, v5
	global_load_b32 v5, v5, s[4:5]
	s_waitcnt vmcnt(0)
	v_cmp_neq_f32_e32 vcc_lo, 0, v5
	v_cndmask_b32_e64 v233, 0, 1, vcc_lo
.LBB251_255:
	s_or_b32 exec_lo, exec_lo, s6
	v_or_b32_e32 v5, 0x3a00, v0
	s_mov_b32 s6, exec_lo
	s_delay_alu instid0(VALU_DEP_1)
	v_cmpx_gt_u32_e64 s2, v5
	s_cbranch_execz .LBB251_257
; %bb.256:
	s_mov_b32 s7, 0
	s_delay_alu instid0(SALU_CYCLE_1)
	v_dual_mov_b32 v232, s7 :: v_dual_lshlrev_b32 v5, 2, v5
	global_load_b32 v5, v5, s[4:5]
	s_waitcnt vmcnt(0)
	v_cmp_neq_f32_e32 vcc_lo, 0, v5
	v_cndmask_b32_e64 v231, 0, 1, vcc_lo
.LBB251_257:
	s_or_b32 exec_lo, exec_lo, s6
	v_mov_b32_e32 v235, 0
	v_mov_b32_e32 v236, 0
	v_or_b32_e32 v5, 0x3a80, v0
	s_mov_b32 s6, exec_lo
	s_delay_alu instid0(VALU_DEP_2) | instskip(NEXT) | instid1(VALU_DEP_2)
	v_dual_mov_b32 v238, v236 :: v_dual_mov_b32 v237, v235
	v_cmpx_gt_u32_e64 s2, v5
	s_cbranch_execz .LBB251_259
; %bb.258:
	s_mov_b32 s7, 0
	s_delay_alu instid0(SALU_CYCLE_1)
	v_dual_mov_b32 v238, s7 :: v_dual_lshlrev_b32 v5, 2, v5
	global_load_b32 v5, v5, s[4:5]
	s_waitcnt vmcnt(0)
	v_cmp_neq_f32_e32 vcc_lo, 0, v5
	v_cndmask_b32_e64 v237, 0, 1, vcc_lo
.LBB251_259:
	s_or_b32 exec_lo, exec_lo, s6
	v_or_b32_e32 v5, 0x3b00, v0
	s_mov_b32 s6, exec_lo
	s_delay_alu instid0(VALU_DEP_1)
	v_cmpx_gt_u32_e64 s2, v5
	s_cbranch_execz .LBB251_261
; %bb.260:
	s_mov_b32 s7, 0
	s_delay_alu instid0(SALU_CYCLE_1)
	v_dual_mov_b32 v236, s7 :: v_dual_lshlrev_b32 v5, 2, v5
	global_load_b32 v5, v5, s[4:5]
	s_waitcnt vmcnt(0)
	v_cmp_neq_f32_e32 vcc_lo, 0, v5
	v_cndmask_b32_e64 v235, 0, 1, vcc_lo
.LBB251_261:
	s_or_b32 exec_lo, exec_lo, s6
	v_mov_b32_e32 v239, 0
	v_mov_b32_e32 v240, 0
	v_or_b32_e32 v5, 0x3b80, v0
	s_mov_b32 s6, exec_lo
	s_delay_alu instid0(VALU_DEP_2) | instskip(NEXT) | instid1(VALU_DEP_2)
	v_dual_mov_b32 v242, v240 :: v_dual_mov_b32 v241, v239
	v_cmpx_gt_u32_e64 s2, v5
	s_cbranch_execz .LBB251_263
; %bb.262:
	s_mov_b32 s7, 0
	s_delay_alu instid0(SALU_CYCLE_1)
	v_dual_mov_b32 v242, s7 :: v_dual_lshlrev_b32 v5, 2, v5
	global_load_b32 v5, v5, s[4:5]
	s_waitcnt vmcnt(0)
	v_cmp_neq_f32_e32 vcc_lo, 0, v5
	v_cndmask_b32_e64 v241, 0, 1, vcc_lo
.LBB251_263:
	s_or_b32 exec_lo, exec_lo, s6
	v_or_b32_e32 v5, 0x3c00, v0
	s_mov_b32 s6, exec_lo
	s_delay_alu instid0(VALU_DEP_1)
	v_cmpx_gt_u32_e64 s2, v5
	s_cbranch_execz .LBB251_265
; %bb.264:
	s_mov_b32 s7, 0
	s_delay_alu instid0(SALU_CYCLE_1)
	v_dual_mov_b32 v240, s7 :: v_dual_lshlrev_b32 v5, 2, v5
	global_load_b32 v5, v5, s[4:5]
	s_waitcnt vmcnt(0)
	v_cmp_neq_f32_e32 vcc_lo, 0, v5
	v_cndmask_b32_e64 v239, 0, 1, vcc_lo
.LBB251_265:
	s_or_b32 exec_lo, exec_lo, s6
	v_mov_b32_e32 v243, 0
	v_mov_b32_e32 v244, 0
	v_or_b32_e32 v5, 0x3c80, v0
	s_mov_b32 s6, exec_lo
	s_delay_alu instid0(VALU_DEP_2) | instskip(NEXT) | instid1(VALU_DEP_2)
	v_dual_mov_b32 v246, v244 :: v_dual_mov_b32 v245, v243
	v_cmpx_gt_u32_e64 s2, v5
	s_cbranch_execz .LBB251_267
; %bb.266:
	s_mov_b32 s7, 0
	s_delay_alu instid0(SALU_CYCLE_1)
	v_dual_mov_b32 v246, s7 :: v_dual_lshlrev_b32 v5, 2, v5
	global_load_b32 v5, v5, s[4:5]
	s_waitcnt vmcnt(0)
	v_cmp_neq_f32_e32 vcc_lo, 0, v5
	v_cndmask_b32_e64 v245, 0, 1, vcc_lo
.LBB251_267:
	s_or_b32 exec_lo, exec_lo, s6
	v_or_b32_e32 v5, 0x3d00, v0
	s_mov_b32 s6, exec_lo
	s_delay_alu instid0(VALU_DEP_1)
	v_cmpx_gt_u32_e64 s2, v5
	s_cbranch_execz .LBB251_269
; %bb.268:
	s_mov_b32 s7, 0
	s_delay_alu instid0(SALU_CYCLE_1)
	v_dual_mov_b32 v244, s7 :: v_dual_lshlrev_b32 v5, 2, v5
	global_load_b32 v5, v5, s[4:5]
	s_waitcnt vmcnt(0)
	v_cmp_neq_f32_e32 vcc_lo, 0, v5
	v_cndmask_b32_e64 v243, 0, 1, vcc_lo
.LBB251_269:
	s_or_b32 exec_lo, exec_lo, s6
	v_mov_b32_e32 v247, 0
	v_mov_b32_e32 v248, 0
	v_or_b32_e32 v5, 0x3d80, v0
	s_mov_b32 s6, exec_lo
	s_delay_alu instid0(VALU_DEP_2) | instskip(NEXT) | instid1(VALU_DEP_2)
	v_dual_mov_b32 v250, v248 :: v_dual_mov_b32 v249, v247
	v_cmpx_gt_u32_e64 s2, v5
	s_cbranch_execz .LBB251_271
; %bb.270:
	s_mov_b32 s7, 0
	s_delay_alu instid0(SALU_CYCLE_1)
	v_dual_mov_b32 v250, s7 :: v_dual_lshlrev_b32 v5, 2, v5
	global_load_b32 v5, v5, s[4:5]
	s_waitcnt vmcnt(0)
	v_cmp_neq_f32_e32 vcc_lo, 0, v5
	v_cndmask_b32_e64 v249, 0, 1, vcc_lo
.LBB251_271:
	s_or_b32 exec_lo, exec_lo, s6
	v_or_b32_e32 v5, 0x3e00, v0
	s_mov_b32 s6, exec_lo
	s_delay_alu instid0(VALU_DEP_1)
	v_cmpx_gt_u32_e64 s2, v5
	s_cbranch_execz .LBB251_273
; %bb.272:
	s_mov_b32 s7, 0
	s_delay_alu instid0(SALU_CYCLE_1)
	v_dual_mov_b32 v248, s7 :: v_dual_lshlrev_b32 v5, 2, v5
	global_load_b32 v5, v5, s[4:5]
	s_waitcnt vmcnt(0)
	v_cmp_neq_f32_e32 vcc_lo, 0, v5
	v_cndmask_b32_e64 v247, 0, 1, vcc_lo
.LBB251_273:
	s_or_b32 exec_lo, exec_lo, s6
	v_mov_b32_e32 v251, 0
	v_mov_b32_e32 v252, 0
	v_or_b32_e32 v5, 0x3e80, v0
	s_mov_b32 s6, exec_lo
	s_delay_alu instid0(VALU_DEP_2) | instskip(NEXT) | instid1(VALU_DEP_2)
	v_dual_mov_b32 v254, v252 :: v_dual_mov_b32 v253, v251
	v_cmpx_gt_u32_e64 s2, v5
	s_cbranch_execz .LBB251_275
; %bb.274:
	s_mov_b32 s7, 0
	s_delay_alu instid0(SALU_CYCLE_1)
	v_dual_mov_b32 v254, s7 :: v_dual_lshlrev_b32 v5, 2, v5
	global_load_b32 v5, v5, s[4:5]
	s_waitcnt vmcnt(0)
	v_cmp_neq_f32_e32 vcc_lo, 0, v5
	v_cndmask_b32_e64 v253, 0, 1, vcc_lo
.LBB251_275:
	s_or_b32 exec_lo, exec_lo, s6
	v_or_b32_e32 v5, 0x3f00, v0
	s_mov_b32 s6, exec_lo
	s_delay_alu instid0(VALU_DEP_1)
	v_cmpx_gt_u32_e64 s2, v5
	s_cbranch_execz .LBB251_277
; %bb.276:
	s_mov_b32 s7, 0
	s_delay_alu instid0(SALU_CYCLE_1)
	v_dual_mov_b32 v252, s7 :: v_dual_lshlrev_b32 v5, 2, v5
	global_load_b32 v5, v5, s[4:5]
	s_waitcnt vmcnt(0)
	v_cmp_neq_f32_e32 vcc_lo, 0, v5
	v_cndmask_b32_e64 v251, 0, 1, vcc_lo
.LBB251_277:
	s_or_b32 exec_lo, exec_lo, s6
	v_mov_b32_e32 v5, 0
	v_or_b32_e32 v255, 0x3f80, v0
	v_mov_b32_e32 v6, 0
	s_mov_b32 s6, exec_lo
	s_delay_alu instid0(VALU_DEP_2)
	v_cmpx_gt_u32_e64 s2, v255
	s_cbranch_execz .LBB251_279
; %bb.278:
	v_lshlrev_b32_e32 v5, 2, v255
	global_load_b32 v5, v5, s[4:5]
	s_mov_b32 s4, 0
	s_delay_alu instid0(SALU_CYCLE_1)
	v_mov_b32_e32 v6, s4
	s_waitcnt vmcnt(0)
	v_cmp_neq_f32_e32 vcc_lo, 0, v5
	v_cndmask_b32_e64 v5, 0, 1, vcc_lo
.LBB251_279:
	s_or_b32 exec_lo, exec_lo, s6
	scratch_load_b64 v[9:10], off, off offset:8 ; 8-byte Folded Reload
	s_min_u32 s2, s2, 0x80
	s_waitcnt vmcnt(0)
	v_add_co_u32 v1, vcc_lo, v1, v9
	v_add_co_ci_u32_e32 v2, vcc_lo, v2, v10, vcc_lo
	s_delay_alu instid0(VALU_DEP_2) | instskip(NEXT) | instid1(VALU_DEP_2)
	v_add_co_u32 v1, vcc_lo, v1, v3
	v_add_co_ci_u32_e32 v2, vcc_lo, v2, v4, vcc_lo
	scratch_load_b64 v[3:4], off, off       ; 8-byte Folded Reload
	v_add_co_u32 v1, vcc_lo, v1, v13
	v_add_co_ci_u32_e32 v2, vcc_lo, v2, v14, vcc_lo
	s_delay_alu instid0(VALU_DEP_2) | instskip(NEXT) | instid1(VALU_DEP_2)
	v_add_co_u32 v1, vcc_lo, v1, v7
	v_add_co_ci_u32_e32 v2, vcc_lo, v2, v8, vcc_lo
	s_waitcnt vmcnt(0)
	s_delay_alu instid0(VALU_DEP_2) | instskip(NEXT) | instid1(VALU_DEP_2)
	v_add_co_u32 v1, vcc_lo, v1, v3
	v_add_co_ci_u32_e32 v2, vcc_lo, v2, v4, vcc_lo
	v_mbcnt_lo_u32_b32 v3, -1, 0
	s_delay_alu instid0(VALU_DEP_3) | instskip(NEXT) | instid1(VALU_DEP_3)
	v_add_co_u32 v1, vcc_lo, v1, v11
	v_add_co_ci_u32_e32 v2, vcc_lo, v2, v12, vcc_lo
	s_delay_alu instid0(VALU_DEP_2) | instskip(NEXT) | instid1(VALU_DEP_2)
	v_add_co_u32 v1, vcc_lo, v1, v17
	v_add_co_ci_u32_e32 v2, vcc_lo, v2, v18, vcc_lo
	s_delay_alu instid0(VALU_DEP_2) | instskip(NEXT) | instid1(VALU_DEP_2)
	;; [unrolled: 3-line block ×119, first 2 shown]
	v_add_co_u32 v1, vcc_lo, v1, v253
	v_add_co_ci_u32_e32 v2, vcc_lo, v2, v254, vcc_lo
	v_cmp_ne_u32_e32 vcc_lo, 31, v3
	v_add_co_ci_u32_e32 v4, vcc_lo, 0, v3, vcc_lo
	s_delay_alu instid0(VALU_DEP_4) | instskip(NEXT) | instid1(VALU_DEP_4)
	v_add_co_u32 v1, vcc_lo, v1, v251
	v_add_co_ci_u32_e32 v2, vcc_lo, v2, v252, vcc_lo
	s_delay_alu instid0(VALU_DEP_2) | instskip(NEXT) | instid1(VALU_DEP_4)
	v_add_co_u32 v1, vcc_lo, v1, v5
	v_lshlrev_b32_e32 v4, 2, v4
	s_delay_alu instid0(VALU_DEP_3) | instskip(SKIP_4) | instid1(VALU_DEP_1)
	v_add_co_ci_u32_e32 v2, vcc_lo, v2, v6, vcc_lo
	v_add_nc_u32_e32 v5, 1, v3
	ds_bpermute_b32 v7, v4, v1
	ds_bpermute_b32 v6, v4, v2
	v_and_b32_e32 v4, 0x60, v0
	v_sub_nc_u32_e64 v4, s2, v4 clamp
	s_delay_alu instid0(VALU_DEP_1)
	v_cmp_lt_u32_e32 vcc_lo, v5, v4
	v_mov_b32_e32 v5, v1
	s_and_saveexec_b32 s4, vcc_lo
	s_cbranch_execz .LBB251_281
; %bb.280:
	s_waitcnt lgkmcnt(1)
	v_add_co_u32 v5, vcc_lo, v1, v7
	v_add_co_ci_u32_e32 v2, vcc_lo, 0, v2, vcc_lo
	s_delay_alu instid0(VALU_DEP_2) | instskip(SKIP_1) | instid1(VALU_DEP_2)
	v_add_co_u32 v1, vcc_lo, 0, v5
	s_waitcnt lgkmcnt(0)
	v_add_co_ci_u32_e32 v2, vcc_lo, v6, v2, vcc_lo
.LBB251_281:
	s_or_b32 exec_lo, exec_lo, s4
	v_cmp_gt_u32_e32 vcc_lo, 30, v3
	v_add_nc_u32_e32 v8, 2, v3
	s_mov_b32 s4, exec_lo
	s_waitcnt lgkmcnt(0)
	v_cndmask_b32_e64 v6, 0, 1, vcc_lo
	s_delay_alu instid0(VALU_DEP_1) | instskip(NEXT) | instid1(VALU_DEP_1)
	v_lshlrev_b32_e32 v6, 1, v6
	v_add_lshl_u32 v6, v6, v3, 2
	ds_bpermute_b32 v7, v6, v5
	ds_bpermute_b32 v6, v6, v2
	v_cmpx_lt_u32_e64 v8, v4
	s_cbranch_execz .LBB251_283
; %bb.282:
	s_waitcnt lgkmcnt(1)
	v_add_co_u32 v5, vcc_lo, v1, v7
	v_add_co_ci_u32_e32 v2, vcc_lo, 0, v2, vcc_lo
	s_delay_alu instid0(VALU_DEP_2) | instskip(SKIP_1) | instid1(VALU_DEP_2)
	v_add_co_u32 v1, vcc_lo, 0, v5
	s_waitcnt lgkmcnt(0)
	v_add_co_ci_u32_e32 v2, vcc_lo, v6, v2, vcc_lo
.LBB251_283:
	s_or_b32 exec_lo, exec_lo, s4
	v_cmp_gt_u32_e32 vcc_lo, 28, v3
	v_add_nc_u32_e32 v8, 4, v3
	s_mov_b32 s4, exec_lo
	s_waitcnt lgkmcnt(0)
	v_cndmask_b32_e64 v6, 0, 1, vcc_lo
	s_delay_alu instid0(VALU_DEP_1) | instskip(NEXT) | instid1(VALU_DEP_1)
	v_lshlrev_b32_e32 v6, 2, v6
	v_add_lshl_u32 v6, v6, v3, 2
	ds_bpermute_b32 v7, v6, v5
	ds_bpermute_b32 v6, v6, v2
	v_cmpx_lt_u32_e64 v8, v4
	s_cbranch_execz .LBB251_285
; %bb.284:
	s_waitcnt lgkmcnt(1)
	v_add_co_u32 v5, vcc_lo, v1, v7
	v_add_co_ci_u32_e32 v2, vcc_lo, 0, v2, vcc_lo
	s_delay_alu instid0(VALU_DEP_2) | instskip(SKIP_1) | instid1(VALU_DEP_2)
	v_add_co_u32 v1, vcc_lo, 0, v5
	s_waitcnt lgkmcnt(0)
	v_add_co_ci_u32_e32 v2, vcc_lo, v6, v2, vcc_lo
.LBB251_285:
	s_or_b32 exec_lo, exec_lo, s4
	v_cmp_gt_u32_e32 vcc_lo, 24, v3
	v_add_nc_u32_e32 v8, 8, v3
	s_mov_b32 s4, exec_lo
	s_waitcnt lgkmcnt(0)
	v_cndmask_b32_e64 v6, 0, 1, vcc_lo
	s_delay_alu instid0(VALU_DEP_1) | instskip(NEXT) | instid1(VALU_DEP_1)
	v_lshlrev_b32_e32 v6, 3, v6
	v_add_lshl_u32 v6, v6, v3, 2
	ds_bpermute_b32 v7, v6, v5
	ds_bpermute_b32 v6, v6, v2
	v_cmpx_lt_u32_e64 v8, v4
	s_cbranch_execz .LBB251_287
; %bb.286:
	s_waitcnt lgkmcnt(1)
	v_add_co_u32 v5, vcc_lo, v1, v7
	v_add_co_ci_u32_e32 v2, vcc_lo, 0, v2, vcc_lo
	s_delay_alu instid0(VALU_DEP_2) | instskip(SKIP_1) | instid1(VALU_DEP_2)
	v_add_co_u32 v1, vcc_lo, 0, v5
	s_waitcnt lgkmcnt(0)
	v_add_co_ci_u32_e32 v2, vcc_lo, v6, v2, vcc_lo
.LBB251_287:
	s_or_b32 exec_lo, exec_lo, s4
	v_cmp_gt_u32_e32 vcc_lo, 16, v3
	s_mov_b32 s4, exec_lo
	s_waitcnt lgkmcnt(0)
	v_cndmask_b32_e64 v6, 0, 1, vcc_lo
	s_delay_alu instid0(VALU_DEP_1) | instskip(NEXT) | instid1(VALU_DEP_1)
	v_lshlrev_b32_e32 v6, 4, v6
	v_add_lshl_u32 v7, v6, v3, 2
	ds_bpermute_b32 v6, v7, v5
	ds_bpermute_b32 v5, v7, v2
	v_add_nc_u32_e32 v7, 16, v3
	s_delay_alu instid0(VALU_DEP_1)
	v_cmpx_lt_u32_e64 v7, v4
	s_cbranch_execz .LBB251_289
; %bb.288:
	s_waitcnt lgkmcnt(1)
	v_add_co_u32 v1, vcc_lo, v1, v6
	v_add_co_ci_u32_e32 v2, vcc_lo, 0, v2, vcc_lo
	s_delay_alu instid0(VALU_DEP_2) | instskip(SKIP_1) | instid1(VALU_DEP_2)
	v_add_co_u32 v1, vcc_lo, v1, 0
	s_waitcnt lgkmcnt(0)
	v_add_co_ci_u32_e32 v2, vcc_lo, v2, v5, vcc_lo
.LBB251_289:
	s_or_b32 exec_lo, exec_lo, s4
	s_delay_alu instid0(SALU_CYCLE_1)
	s_mov_b32 s4, exec_lo
	v_cmpx_eq_u32_e32 0, v3
	s_cbranch_execz .LBB251_291
; %bb.290:
	v_lshrrev_b32_e32 v4, 2, v0
	s_delay_alu instid0(VALU_DEP_1)
	v_and_b32_e32 v4, 24, v4
	ds_store_b64 v4, v[1:2] offset:256
.LBB251_291:
	s_or_b32 exec_lo, exec_lo, s4
	s_delay_alu instid0(SALU_CYCLE_1)
	s_mov_b32 s4, exec_lo
	s_waitcnt lgkmcnt(0)
	s_waitcnt_vscnt null, 0x0
	s_barrier
	buffer_gl0_inv
	v_cmpx_gt_u32_e32 4, v0
	s_cbranch_execz .LBB251_297
; %bb.292:
	v_lshlrev_b32_e32 v1, 3, v3
	s_add_i32 s2, s2, 31
	s_delay_alu instid0(SALU_CYCLE_1) | instskip(SKIP_2) | instid1(VALU_DEP_1)
	s_lshr_b32 s2, s2, 5
	ds_load_b64 v[1:2], v1 offset:256
	v_and_b32_e32 v4, 3, v3
	v_cmp_ne_u32_e32 vcc_lo, 3, v4
	v_add_co_ci_u32_e32 v5, vcc_lo, 0, v3, vcc_lo
	s_delay_alu instid0(VALU_DEP_1) | instskip(SKIP_4) | instid1(VALU_DEP_1)
	v_lshlrev_b32_e32 v5, 2, v5
	s_waitcnt lgkmcnt(0)
	ds_bpermute_b32 v7, v5, v1
	ds_bpermute_b32 v6, v5, v2
	v_add_nc_u32_e32 v5, 1, v4
	v_cmp_gt_u32_e32 vcc_lo, s2, v5
	v_mov_b32_e32 v5, v1
	s_and_saveexec_b32 s5, vcc_lo
	s_cbranch_execz .LBB251_294
; %bb.293:
	s_waitcnt lgkmcnt(1)
	v_add_co_u32 v5, vcc_lo, v1, v7
	v_add_co_ci_u32_e32 v2, vcc_lo, 0, v2, vcc_lo
	s_delay_alu instid0(VALU_DEP_2) | instskip(SKIP_1) | instid1(VALU_DEP_2)
	v_add_co_u32 v1, vcc_lo, 0, v5
	s_waitcnt lgkmcnt(0)
	v_add_co_ci_u32_e32 v2, vcc_lo, v6, v2, vcc_lo
.LBB251_294:
	s_or_b32 exec_lo, exec_lo, s5
	v_cmp_gt_u32_e32 vcc_lo, 2, v4
	v_add_nc_u32_e32 v4, 2, v4
	s_waitcnt lgkmcnt(0)
	v_cndmask_b32_e64 v6, 0, 1, vcc_lo
	s_delay_alu instid0(VALU_DEP_2) | instskip(NEXT) | instid1(VALU_DEP_2)
	v_cmp_gt_u32_e32 vcc_lo, s2, v4
	v_lshlrev_b32_e32 v6, 1, v6
	s_delay_alu instid0(VALU_DEP_1)
	v_add_lshl_u32 v3, v6, v3, 2
	ds_bpermute_b32 v5, v3, v5
	ds_bpermute_b32 v3, v3, v2
	s_and_saveexec_b32 s2, vcc_lo
	s_cbranch_execz .LBB251_296
; %bb.295:
	s_waitcnt lgkmcnt(1)
	v_add_co_u32 v1, vcc_lo, v1, v5
	v_add_co_ci_u32_e32 v2, vcc_lo, 0, v2, vcc_lo
	s_delay_alu instid0(VALU_DEP_2) | instskip(SKIP_1) | instid1(VALU_DEP_2)
	v_add_co_u32 v1, vcc_lo, v1, 0
	s_waitcnt lgkmcnt(0)
	v_add_co_ci_u32_e32 v2, vcc_lo, v2, v3, vcc_lo
.LBB251_296:
	s_or_b32 exec_lo, exec_lo, s2
.LBB251_297:
	s_delay_alu instid0(SALU_CYCLE_1)
	s_or_b32 exec_lo, exec_lo, s4
	v_cmp_eq_u32_e64 s2, 0, v0
	s_and_b32 vcc_lo, exec_lo, s3
	s_cbranch_vccnz .LBB251_15
	s_branch .LBB251_448
.LBB251_298:
	s_mov_b32 s2, -1
                                        ; implicit-def: $vgpr1_vgpr2
.LBB251_299:
	s_delay_alu instid0(SALU_CYCLE_1)
	s_and_b32 vcc_lo, exec_lo, s2
	s_cbranch_vccz .LBB251_447
; %bb.300:
	s_sub_i32 s2, s20, s6
	s_mov_b32 s3, exec_lo
                                        ; implicit-def: $vgpr1_vgpr2
	v_cmpx_gt_u32_e64 s2, v0
	s_cbranch_execz .LBB251_302
; %bb.301:
	s_mov_b32 s6, 0
	s_delay_alu instid0(SALU_CYCLE_1)
	v_dual_mov_b32 v2, s6 :: v_dual_lshlrev_b32 v1, 2, v0
	global_load_b32 v1, v1, s[4:5]
	s_waitcnt vmcnt(0)
	v_cmp_neq_f32_e32 vcc_lo, 0, v1
	v_cndmask_b32_e64 v1, 0, 1, vcc_lo
.LBB251_302:
	s_or_b32 exec_lo, exec_lo, s3
	s_waitcnt lgkmcnt(0)
	v_mov_b32_e32 v3, 0
	v_or_b32_e32 v5, 0x80, v0
	v_mov_b32_e32 v4, 0
	s_delay_alu instid0(VALU_DEP_2) | instskip(NEXT) | instid1(VALU_DEP_2)
	v_cmp_gt_u32_e32 vcc_lo, s2, v5
	v_dual_mov_b32 v6, v4 :: v_dual_mov_b32 v5, v3
	s_and_saveexec_b32 s3, vcc_lo
	s_cbranch_execz .LBB251_304
; %bb.303:
	s_mov_b32 s6, 0
	s_delay_alu instid0(SALU_CYCLE_1)
	v_dual_mov_b32 v6, s6 :: v_dual_lshlrev_b32 v5, 2, v0
	global_load_b32 v5, v5, s[4:5] offset:512
	s_waitcnt vmcnt(0)
	v_cmp_neq_f32_e32 vcc_lo, 0, v5
	v_cndmask_b32_e64 v5, 0, 1, vcc_lo
.LBB251_304:
	s_or_b32 exec_lo, exec_lo, s3
	v_or_b32_e32 v7, 0x100, v0
	s_mov_b32 s3, exec_lo
	s_delay_alu instid0(VALU_DEP_1)
	v_cmpx_gt_u32_e64 s2, v7
	s_cbranch_execz .LBB251_306
; %bb.305:
	s_mov_b32 s6, 0
	s_delay_alu instid0(SALU_CYCLE_1)
	v_dual_mov_b32 v4, s6 :: v_dual_lshlrev_b32 v3, 2, v0
	global_load_b32 v3, v3, s[4:5] offset:1024
	s_waitcnt vmcnt(0)
	v_cmp_neq_f32_e32 vcc_lo, 0, v3
	v_cndmask_b32_e64 v3, 0, 1, vcc_lo
.LBB251_306:
	s_or_b32 exec_lo, exec_lo, s3
	v_mov_b32_e32 v7, 0
	v_or_b32_e32 v9, 0x180, v0
	v_mov_b32_e32 v8, 0
	s_delay_alu instid0(VALU_DEP_2) | instskip(NEXT) | instid1(VALU_DEP_2)
	v_cmp_gt_u32_e32 vcc_lo, s2, v9
	v_dual_mov_b32 v10, v8 :: v_dual_mov_b32 v9, v7
	s_and_saveexec_b32 s3, vcc_lo
	s_cbranch_execz .LBB251_308
; %bb.307:
	s_mov_b32 s6, 0
	s_delay_alu instid0(SALU_CYCLE_1)
	v_dual_mov_b32 v10, s6 :: v_dual_lshlrev_b32 v9, 2, v0
	global_load_b32 v9, v9, s[4:5] offset:1536
	s_waitcnt vmcnt(0)
	v_cmp_neq_f32_e32 vcc_lo, 0, v9
	v_cndmask_b32_e64 v9, 0, 1, vcc_lo
.LBB251_308:
	s_or_b32 exec_lo, exec_lo, s3
	v_or_b32_e32 v11, 0x200, v0
	s_mov_b32 s3, exec_lo
	s_delay_alu instid0(VALU_DEP_1)
	v_cmpx_gt_u32_e64 s2, v11
	s_cbranch_execz .LBB251_310
; %bb.309:
	s_mov_b32 s6, 0
	s_delay_alu instid0(SALU_CYCLE_1)
	v_dual_mov_b32 v8, s6 :: v_dual_lshlrev_b32 v7, 2, v0
	global_load_b32 v7, v7, s[4:5] offset:2048
	s_waitcnt vmcnt(0)
	v_cmp_neq_f32_e32 vcc_lo, 0, v7
	v_cndmask_b32_e64 v7, 0, 1, vcc_lo
.LBB251_310:
	s_or_b32 exec_lo, exec_lo, s3
	;; [unrolled: 33-line block ×3, first 2 shown]
	v_mov_b32_e32 v15, 0
	v_or_b32_e32 v17, 0x380, v0
	v_mov_b32_e32 v16, 0
	s_delay_alu instid0(VALU_DEP_2) | instskip(NEXT) | instid1(VALU_DEP_2)
	v_cmp_gt_u32_e32 vcc_lo, s2, v17
	v_dual_mov_b32 v18, v16 :: v_dual_mov_b32 v17, v15
	s_and_saveexec_b32 s3, vcc_lo
	s_cbranch_execz .LBB251_316
; %bb.315:
	s_mov_b32 s6, 0
	s_delay_alu instid0(SALU_CYCLE_1)
	v_dual_mov_b32 v18, s6 :: v_dual_lshlrev_b32 v17, 2, v0
	global_load_b32 v17, v17, s[4:5] offset:3584
	s_waitcnt vmcnt(0)
	v_cmp_neq_f32_e32 vcc_lo, 0, v17
	v_cndmask_b32_e64 v17, 0, 1, vcc_lo
.LBB251_316:
	s_or_b32 exec_lo, exec_lo, s3
	v_or_b32_e32 v19, 0x400, v0
	s_mov_b32 s3, exec_lo
	s_delay_alu instid0(VALU_DEP_1)
	v_cmpx_gt_u32_e64 s2, v19
	s_cbranch_execz .LBB251_318
; %bb.317:
	s_mov_b32 s6, 0
	s_delay_alu instid0(SALU_CYCLE_1)
	v_dual_mov_b32 v16, s6 :: v_dual_lshlrev_b32 v15, 2, v19
	global_load_b32 v15, v15, s[4:5]
	s_waitcnt vmcnt(0)
	v_cmp_neq_f32_e32 vcc_lo, 0, v15
	v_cndmask_b32_e64 v15, 0, 1, vcc_lo
.LBB251_318:
	s_or_b32 exec_lo, exec_lo, s3
	v_mov_b32_e32 v19, 0
	v_mov_b32_e32 v20, 0
	v_or_b32_e32 v23, 0x480, v0
	s_mov_b32 s3, exec_lo
	s_delay_alu instid0(VALU_DEP_2) | instskip(NEXT) | instid1(VALU_DEP_2)
	v_dual_mov_b32 v22, v20 :: v_dual_mov_b32 v21, v19
	v_cmpx_gt_u32_e64 s2, v23
	s_cbranch_execz .LBB251_320
; %bb.319:
	s_mov_b32 s6, 0
	s_delay_alu instid0(SALU_CYCLE_1)
	v_dual_mov_b32 v22, s6 :: v_dual_lshlrev_b32 v21, 2, v23
	global_load_b32 v21, v21, s[4:5]
	s_waitcnt vmcnt(0)
	v_cmp_neq_f32_e32 vcc_lo, 0, v21
	v_cndmask_b32_e64 v21, 0, 1, vcc_lo
.LBB251_320:
	s_or_b32 exec_lo, exec_lo, s3
	v_or_b32_e32 v23, 0x500, v0
	s_mov_b32 s3, exec_lo
	s_delay_alu instid0(VALU_DEP_1)
	v_cmpx_gt_u32_e64 s2, v23
	s_cbranch_execz .LBB251_322
; %bb.321:
	s_mov_b32 s6, 0
	s_delay_alu instid0(SALU_CYCLE_1)
	v_dual_mov_b32 v20, s6 :: v_dual_lshlrev_b32 v19, 2, v23
	global_load_b32 v19, v19, s[4:5]
	s_waitcnt vmcnt(0)
	v_cmp_neq_f32_e32 vcc_lo, 0, v19
	v_cndmask_b32_e64 v19, 0, 1, vcc_lo
.LBB251_322:
	s_or_b32 exec_lo, exec_lo, s3
	v_mov_b32_e32 v23, 0
	v_mov_b32_e32 v24, 0
	v_or_b32_e32 v27, 0x580, v0
	s_mov_b32 s3, exec_lo
	s_delay_alu instid0(VALU_DEP_2) | instskip(NEXT) | instid1(VALU_DEP_2)
	v_dual_mov_b32 v26, v24 :: v_dual_mov_b32 v25, v23
	v_cmpx_gt_u32_e64 s2, v27
	s_cbranch_execz .LBB251_324
; %bb.323:
	s_mov_b32 s6, 0
	s_delay_alu instid0(SALU_CYCLE_1)
	v_dual_mov_b32 v26, s6 :: v_dual_lshlrev_b32 v25, 2, v27
	global_load_b32 v25, v25, s[4:5]
	s_waitcnt vmcnt(0)
	v_cmp_neq_f32_e32 vcc_lo, 0, v25
	v_cndmask_b32_e64 v25, 0, 1, vcc_lo
.LBB251_324:
	;; [unrolled: 33-line block ×27, first 2 shown]
	s_or_b32 exec_lo, exec_lo, s3
	v_or_b32_e32 v127, 0x1f00, v0
	s_mov_b32 s3, exec_lo
	s_delay_alu instid0(VALU_DEP_1)
	v_cmpx_gt_u32_e64 s2, v127
	s_cbranch_execz .LBB251_426
; %bb.425:
	s_mov_b32 s6, 0
	s_delay_alu instid0(SALU_CYCLE_1)
	v_dual_mov_b32 v124, s6 :: v_dual_lshlrev_b32 v123, 2, v127
	global_load_b32 v123, v123, s[4:5]
	s_waitcnt vmcnt(0)
	v_cmp_neq_f32_e32 vcc_lo, 0, v123
	v_cndmask_b32_e64 v123, 0, 1, vcc_lo
.LBB251_426:
	s_or_b32 exec_lo, exec_lo, s3
	v_mov_b32_e32 v127, 0
	v_or_b32_e32 v129, 0x1f80, v0
	v_mov_b32_e32 v128, 0
	s_mov_b32 s3, exec_lo
	s_delay_alu instid0(VALU_DEP_2)
	v_cmpx_gt_u32_e64 s2, v129
	s_cbranch_execz .LBB251_428
; %bb.427:
	v_lshlrev_b32_e32 v127, 2, v129
	global_load_b32 v127, v127, s[4:5]
	s_mov_b32 s4, 0
	s_delay_alu instid0(SALU_CYCLE_1)
	v_mov_b32_e32 v128, s4
	s_waitcnt vmcnt(0)
	v_cmp_neq_f32_e32 vcc_lo, 0, v127
	v_cndmask_b32_e64 v127, 0, 1, vcc_lo
.LBB251_428:
	s_or_b32 exec_lo, exec_lo, s3
	v_add_co_u32 v1, vcc_lo, v5, v1
	v_add_co_ci_u32_e32 v2, vcc_lo, v6, v2, vcc_lo
	s_min_u32 s2, s2, 0x80
	s_delay_alu instid0(VALU_DEP_2) | instskip(NEXT) | instid1(VALU_DEP_2)
	v_add_co_u32 v1, vcc_lo, v1, v3
	v_add_co_ci_u32_e32 v2, vcc_lo, v2, v4, vcc_lo
	v_mbcnt_lo_u32_b32 v3, -1, 0
	s_delay_alu instid0(VALU_DEP_3) | instskip(NEXT) | instid1(VALU_DEP_3)
	v_add_co_u32 v1, vcc_lo, v1, v9
	v_add_co_ci_u32_e32 v2, vcc_lo, v2, v10, vcc_lo
	s_delay_alu instid0(VALU_DEP_3) | instskip(NEXT) | instid1(VALU_DEP_3)
	v_add_nc_u32_e32 v5, 1, v3
	v_add_co_u32 v1, vcc_lo, v1, v7
	s_delay_alu instid0(VALU_DEP_3) | instskip(NEXT) | instid1(VALU_DEP_2)
	v_add_co_ci_u32_e32 v2, vcc_lo, v2, v8, vcc_lo
	v_add_co_u32 v1, vcc_lo, v1, v13
	s_delay_alu instid0(VALU_DEP_2) | instskip(NEXT) | instid1(VALU_DEP_2)
	v_add_co_ci_u32_e32 v2, vcc_lo, v2, v14, vcc_lo
	v_add_co_u32 v1, vcc_lo, v1, v11
	s_delay_alu instid0(VALU_DEP_2) | instskip(NEXT) | instid1(VALU_DEP_2)
	;; [unrolled: 3-line block ×56, first 2 shown]
	v_add_co_ci_u32_e32 v2, vcc_lo, v2, v120, vcc_lo
	v_add_co_u32 v1, vcc_lo, v1, v125
	s_delay_alu instid0(VALU_DEP_2) | instskip(SKIP_2) | instid1(VALU_DEP_4)
	v_add_co_ci_u32_e32 v2, vcc_lo, v2, v126, vcc_lo
	v_cmp_ne_u32_e32 vcc_lo, 31, v3
	v_add_co_ci_u32_e32 v4, vcc_lo, 0, v3, vcc_lo
	v_add_co_u32 v1, vcc_lo, v1, v123
	s_delay_alu instid0(VALU_DEP_4) | instskip(NEXT) | instid1(VALU_DEP_2)
	v_add_co_ci_u32_e32 v2, vcc_lo, v2, v124, vcc_lo
	v_add_co_u32 v1, vcc_lo, v1, v127
	s_delay_alu instid0(VALU_DEP_4) | instskip(NEXT) | instid1(VALU_DEP_3)
	v_lshlrev_b32_e32 v4, 2, v4
	v_add_co_ci_u32_e32 v2, vcc_lo, v2, v128, vcc_lo
	ds_bpermute_b32 v7, v4, v1
	ds_bpermute_b32 v6, v4, v2
	v_and_b32_e32 v4, 0x60, v0
	s_delay_alu instid0(VALU_DEP_1) | instskip(NEXT) | instid1(VALU_DEP_1)
	v_sub_nc_u32_e64 v4, s2, v4 clamp
	v_cmp_lt_u32_e32 vcc_lo, v5, v4
	v_mov_b32_e32 v5, v1
	s_and_saveexec_b32 s3, vcc_lo
	s_cbranch_execz .LBB251_430
; %bb.429:
	s_waitcnt lgkmcnt(1)
	v_add_co_u32 v5, vcc_lo, v1, v7
	v_add_co_ci_u32_e32 v2, vcc_lo, 0, v2, vcc_lo
	s_delay_alu instid0(VALU_DEP_2) | instskip(SKIP_1) | instid1(VALU_DEP_2)
	v_add_co_u32 v1, vcc_lo, 0, v5
	s_waitcnt lgkmcnt(0)
	v_add_co_ci_u32_e32 v2, vcc_lo, v6, v2, vcc_lo
.LBB251_430:
	s_or_b32 exec_lo, exec_lo, s3
	v_cmp_gt_u32_e32 vcc_lo, 30, v3
	v_add_nc_u32_e32 v8, 2, v3
	s_mov_b32 s3, exec_lo
	s_waitcnt lgkmcnt(0)
	v_cndmask_b32_e64 v6, 0, 1, vcc_lo
	s_delay_alu instid0(VALU_DEP_1) | instskip(NEXT) | instid1(VALU_DEP_1)
	v_lshlrev_b32_e32 v6, 1, v6
	v_add_lshl_u32 v6, v6, v3, 2
	ds_bpermute_b32 v7, v6, v5
	ds_bpermute_b32 v6, v6, v2
	v_cmpx_lt_u32_e64 v8, v4
	s_cbranch_execz .LBB251_432
; %bb.431:
	s_waitcnt lgkmcnt(1)
	v_add_co_u32 v5, vcc_lo, v1, v7
	v_add_co_ci_u32_e32 v2, vcc_lo, 0, v2, vcc_lo
	s_delay_alu instid0(VALU_DEP_2) | instskip(SKIP_1) | instid1(VALU_DEP_2)
	v_add_co_u32 v1, vcc_lo, 0, v5
	s_waitcnt lgkmcnt(0)
	v_add_co_ci_u32_e32 v2, vcc_lo, v6, v2, vcc_lo
.LBB251_432:
	s_or_b32 exec_lo, exec_lo, s3
	v_cmp_gt_u32_e32 vcc_lo, 28, v3
	v_add_nc_u32_e32 v8, 4, v3
	s_mov_b32 s3, exec_lo
	s_waitcnt lgkmcnt(0)
	v_cndmask_b32_e64 v6, 0, 1, vcc_lo
	s_delay_alu instid0(VALU_DEP_1) | instskip(NEXT) | instid1(VALU_DEP_1)
	v_lshlrev_b32_e32 v6, 2, v6
	v_add_lshl_u32 v6, v6, v3, 2
	ds_bpermute_b32 v7, v6, v5
	ds_bpermute_b32 v6, v6, v2
	v_cmpx_lt_u32_e64 v8, v4
	;; [unrolled: 22-line block ×3, first 2 shown]
	s_cbranch_execz .LBB251_436
; %bb.435:
	s_waitcnt lgkmcnt(1)
	v_add_co_u32 v5, vcc_lo, v1, v7
	v_add_co_ci_u32_e32 v2, vcc_lo, 0, v2, vcc_lo
	s_delay_alu instid0(VALU_DEP_2) | instskip(SKIP_1) | instid1(VALU_DEP_2)
	v_add_co_u32 v1, vcc_lo, 0, v5
	s_waitcnt lgkmcnt(0)
	v_add_co_ci_u32_e32 v2, vcc_lo, v6, v2, vcc_lo
.LBB251_436:
	s_or_b32 exec_lo, exec_lo, s3
	v_cmp_gt_u32_e32 vcc_lo, 16, v3
	s_mov_b32 s3, exec_lo
	s_waitcnt lgkmcnt(0)
	v_cndmask_b32_e64 v6, 0, 1, vcc_lo
	s_delay_alu instid0(VALU_DEP_1) | instskip(NEXT) | instid1(VALU_DEP_1)
	v_lshlrev_b32_e32 v6, 4, v6
	v_add_lshl_u32 v7, v6, v3, 2
	ds_bpermute_b32 v6, v7, v5
	ds_bpermute_b32 v5, v7, v2
	v_add_nc_u32_e32 v7, 16, v3
	s_delay_alu instid0(VALU_DEP_1)
	v_cmpx_lt_u32_e64 v7, v4
	s_cbranch_execz .LBB251_438
; %bb.437:
	s_waitcnt lgkmcnt(1)
	v_add_co_u32 v1, vcc_lo, v1, v6
	v_add_co_ci_u32_e32 v2, vcc_lo, 0, v2, vcc_lo
	s_delay_alu instid0(VALU_DEP_2) | instskip(SKIP_1) | instid1(VALU_DEP_2)
	v_add_co_u32 v1, vcc_lo, v1, 0
	s_waitcnt lgkmcnt(0)
	v_add_co_ci_u32_e32 v2, vcc_lo, v2, v5, vcc_lo
.LBB251_438:
	s_or_b32 exec_lo, exec_lo, s3
	s_delay_alu instid0(SALU_CYCLE_1)
	s_mov_b32 s3, exec_lo
	v_cmpx_eq_u32_e32 0, v3
	s_cbranch_execz .LBB251_440
; %bb.439:
	v_lshrrev_b32_e32 v4, 2, v0
	s_delay_alu instid0(VALU_DEP_1)
	v_and_b32_e32 v4, 24, v4
	ds_store_b64 v4, v[1:2] offset:256
.LBB251_440:
	s_or_b32 exec_lo, exec_lo, s3
	s_delay_alu instid0(SALU_CYCLE_1)
	s_mov_b32 s3, exec_lo
	s_waitcnt lgkmcnt(0)
	s_barrier
	buffer_gl0_inv
	v_cmpx_gt_u32_e32 4, v0
	s_cbranch_execz .LBB251_446
; %bb.441:
	v_lshlrev_b32_e32 v1, 3, v3
	s_add_i32 s2, s2, 31
	s_delay_alu instid0(SALU_CYCLE_1) | instskip(SKIP_2) | instid1(VALU_DEP_1)
	s_lshr_b32 s2, s2, 5
	ds_load_b64 v[1:2], v1 offset:256
	v_and_b32_e32 v4, 3, v3
	v_cmp_ne_u32_e32 vcc_lo, 3, v4
	v_add_co_ci_u32_e32 v5, vcc_lo, 0, v3, vcc_lo
	s_delay_alu instid0(VALU_DEP_1) | instskip(SKIP_4) | instid1(VALU_DEP_1)
	v_lshlrev_b32_e32 v5, 2, v5
	s_waitcnt lgkmcnt(0)
	ds_bpermute_b32 v7, v5, v1
	ds_bpermute_b32 v6, v5, v2
	v_add_nc_u32_e32 v5, 1, v4
	v_cmp_gt_u32_e32 vcc_lo, s2, v5
	v_mov_b32_e32 v5, v1
	s_and_saveexec_b32 s4, vcc_lo
	s_cbranch_execz .LBB251_443
; %bb.442:
	s_waitcnt lgkmcnt(1)
	v_add_co_u32 v5, vcc_lo, v1, v7
	v_add_co_ci_u32_e32 v2, vcc_lo, 0, v2, vcc_lo
	s_delay_alu instid0(VALU_DEP_2) | instskip(SKIP_1) | instid1(VALU_DEP_2)
	v_add_co_u32 v1, vcc_lo, 0, v5
	s_waitcnt lgkmcnt(0)
	v_add_co_ci_u32_e32 v2, vcc_lo, v6, v2, vcc_lo
.LBB251_443:
	s_or_b32 exec_lo, exec_lo, s4
	v_cmp_gt_u32_e32 vcc_lo, 2, v4
	v_add_nc_u32_e32 v4, 2, v4
	s_waitcnt lgkmcnt(0)
	v_cndmask_b32_e64 v6, 0, 1, vcc_lo
	s_delay_alu instid0(VALU_DEP_2) | instskip(NEXT) | instid1(VALU_DEP_2)
	v_cmp_gt_u32_e32 vcc_lo, s2, v4
	v_lshlrev_b32_e32 v6, 1, v6
	s_delay_alu instid0(VALU_DEP_1)
	v_add_lshl_u32 v3, v6, v3, 2
	ds_bpermute_b32 v5, v3, v5
	ds_bpermute_b32 v3, v3, v2
	s_and_saveexec_b32 s2, vcc_lo
	s_cbranch_execz .LBB251_445
; %bb.444:
	s_waitcnt lgkmcnt(1)
	v_add_co_u32 v1, vcc_lo, v1, v5
	v_add_co_ci_u32_e32 v2, vcc_lo, 0, v2, vcc_lo
	s_delay_alu instid0(VALU_DEP_2) | instskip(SKIP_1) | instid1(VALU_DEP_2)
	v_add_co_u32 v1, vcc_lo, v1, 0
	s_waitcnt lgkmcnt(0)
	v_add_co_ci_u32_e32 v2, vcc_lo, v2, v3, vcc_lo
.LBB251_445:
	s_or_b32 exec_lo, exec_lo, s2
.LBB251_446:
	s_delay_alu instid0(SALU_CYCLE_1)
	s_or_b32 exec_lo, exec_lo, s3
.LBB251_447:
	v_cmp_eq_u32_e64 s2, 0, v0
.LBB251_448:
	s_branch .LBB251_605
.LBB251_449:
	s_cmp_gt_i32 s26, 31
	s_cbranch_scc0 .LBB251_458
; %bb.450:
	s_cmp_eq_u32 s26, 32
                                        ; implicit-def: $vgpr1_vgpr2
	s_cbranch_scc0 .LBB251_459
; %bb.451:
	s_mov_b32 s19, 0
	s_lshl_b32 s6, s18, 12
	s_mov_b32 s7, s19
	s_lshr_b64 s[8:9], s[20:21], 12
	s_lshl_b64 s[2:3], s[6:7], 2
	s_delay_alu instid0(SALU_CYCLE_1)
	s_add_u32 s4, s24, s2
	s_addc_u32 s5, s25, s3
	s_cmp_lg_u64 s[8:9], s[18:19]
	s_cbranch_scc0 .LBB251_460
; %bb.452:
	s_waitcnt lgkmcnt(0)
	v_lshlrev_b32_e32 v3, 2, v0
	s_clause 0x5
	global_load_b32 v5, v3, s[4:5]
	global_load_b32 v6, v3, s[4:5] offset:512
	global_load_b32 v7, v3, s[4:5] offset:1024
	;; [unrolled: 1-line block ×5, first 2 shown]
	v_add_co_u32 v11, s2, s4, v3
	s_delay_alu instid0(VALU_DEP_1)
	v_add_co_ci_u32_e64 v12, null, s5, 0, s2
	global_load_b32 v13, v3, s[4:5] offset:3072
	v_add_co_u32 v1, vcc_lo, v11, 0x2000
	v_add_co_ci_u32_e32 v2, vcc_lo, 0, v12, vcc_lo
	s_clause 0x1
	global_load_b32 v14, v3, s[4:5] offset:3584
	global_load_b32 v15, v[1:2], off offset:-4096
	v_add_co_u32 v3, vcc_lo, 0x1000, v11
	v_add_co_ci_u32_e32 v4, vcc_lo, 0, v12, vcc_lo
	s_clause 0x7
	global_load_b32 v16, v[3:4], off offset:512
	global_load_b32 v17, v[3:4], off offset:1024
	;; [unrolled: 1-line block ×7, first 2 shown]
	global_load_b32 v4, v[1:2], off
	v_add_co_u32 v1, vcc_lo, 0x2000, v11
	v_add_co_ci_u32_e32 v2, vcc_lo, 0, v12, vcc_lo
	s_clause 0x6
	global_load_b32 v22, v[1:2], off offset:512
	global_load_b32 v23, v[1:2], off offset:1024
	;; [unrolled: 1-line block ×7, first 2 shown]
	v_add_co_u32 v1, vcc_lo, 0x3000, v11
	v_add_co_ci_u32_e32 v2, vcc_lo, 0, v12, vcc_lo
	s_clause 0x7
	global_load_b32 v11, v[1:2], off
	global_load_b32 v12, v[1:2], off offset:512
	global_load_b32 v29, v[1:2], off offset:1024
	;; [unrolled: 1-line block ×7, first 2 shown]
	s_waitcnt vmcnt(31)
	v_cmp_neq_f32_e32 vcc_lo, 0, v5
	v_cndmask_b32_e64 v2, 0, 1, vcc_lo
	s_waitcnt vmcnt(30)
	v_cmp_neq_f32_e32 vcc_lo, 0, v6
	v_cndmask_b32_e64 v5, 0, 1, vcc_lo
	s_waitcnt vmcnt(29)
	v_cmp_neq_f32_e32 vcc_lo, 0, v7
	s_delay_alu instid0(VALU_DEP_2)
	v_add_co_u32 v2, s2, v5, v2
	v_cndmask_b32_e64 v6, 0, 1, vcc_lo
	s_waitcnt vmcnt(28)
	v_cmp_neq_f32_e32 vcc_lo, 0, v8
	v_add_co_ci_u32_e64 v7, null, 0, 0, s2
	s_waitcnt vmcnt(27)
	v_cmp_neq_f32_e64 s2, 0, v9
	v_cndmask_b32_e64 v5, 0, 1, vcc_lo
	v_add_co_u32 v2, vcc_lo, v2, v6
	v_add_co_ci_u32_e32 v7, vcc_lo, 0, v7, vcc_lo
	s_delay_alu instid0(VALU_DEP_4) | instskip(NEXT) | instid1(VALU_DEP_3)
	v_cndmask_b32_e64 v6, 0, 1, s2
	v_add_co_u32 v2, vcc_lo, v2, v5
	s_waitcnt vmcnt(26)
	v_cmp_neq_f32_e64 s2, 0, v10
	v_add_co_ci_u32_e32 v7, vcc_lo, 0, v7, vcc_lo
	s_delay_alu instid0(VALU_DEP_3) | instskip(NEXT) | instid1(VALU_DEP_3)
	v_add_co_u32 v2, vcc_lo, v2, v6
	v_cndmask_b32_e64 v5, 0, 1, s2
	s_waitcnt vmcnt(25)
	v_cmp_neq_f32_e64 s2, 0, v13
	v_add_co_ci_u32_e32 v7, vcc_lo, 0, v7, vcc_lo
	s_delay_alu instid0(VALU_DEP_3) | instskip(NEXT) | instid1(VALU_DEP_3)
	v_add_co_u32 v2, vcc_lo, v2, v5
	v_cndmask_b32_e64 v6, 0, 1, s2
	;; [unrolled: 6-line block ×26, first 2 shown]
	s_waitcnt vmcnt(0)
	v_cmp_neq_f32_e64 s2, 0, v1
	v_add_co_ci_u32_e32 v3, vcc_lo, 0, v5, vcc_lo
	s_delay_alu instid0(VALU_DEP_3) | instskip(SKIP_1) | instid1(VALU_DEP_4)
	v_add_co_u32 v2, vcc_lo, v2, v4
	v_mov_b32_e32 v4, 0
	v_cndmask_b32_e64 v1, 0, 1, s2
	s_delay_alu instid0(VALU_DEP_4) | instskip(SKIP_1) | instid1(VALU_DEP_2)
	v_add_co_ci_u32_e32 v3, vcc_lo, 0, v3, vcc_lo
	s_mov_b32 s2, exec_lo
	v_add_co_u32 v1, vcc_lo, v2, v1
	s_delay_alu instid0(VALU_DEP_2) | instskip(NEXT) | instid1(VALU_DEP_2)
	v_add_co_ci_u32_e32 v2, vcc_lo, 0, v3, vcc_lo
	v_mov_b32_dpp v3, v1 quad_perm:[1,0,3,2] row_mask:0xf bank_mask:0xf
	s_delay_alu instid0(VALU_DEP_1) | instskip(SKIP_1) | instid1(VALU_DEP_4)
	v_add_co_u32 v1, vcc_lo, v1, v3
	v_mov_b32_dpp v3, v4 quad_perm:[1,0,3,2] row_mask:0xf bank_mask:0xf
	v_add_co_ci_u32_e32 v2, vcc_lo, 0, v2, vcc_lo
	s_delay_alu instid0(VALU_DEP_3) | instskip(SKIP_1) | instid1(VALU_DEP_3)
	v_mov_b32_dpp v5, v1 quad_perm:[2,3,0,1] row_mask:0xf bank_mask:0xf
	v_add_co_u32 v1, vcc_lo, 0, v1
	v_add_co_ci_u32_e32 v2, vcc_lo, v3, v2, vcc_lo
	s_delay_alu instid0(VALU_DEP_2) | instskip(NEXT) | instid1(VALU_DEP_2)
	v_add_co_u32 v1, vcc_lo, v1, v5
	v_mov_b32_dpp v3, v2 quad_perm:[2,3,0,1] row_mask:0xf bank_mask:0xf
	v_add_co_ci_u32_e32 v2, vcc_lo, 0, v2, vcc_lo
	s_delay_alu instid0(VALU_DEP_3) | instskip(SKIP_1) | instid1(VALU_DEP_3)
	v_mov_b32_dpp v5, v1 row_ror:4 row_mask:0xf bank_mask:0xf
	v_add_co_u32 v1, vcc_lo, v1, 0
	v_add_co_ci_u32_e32 v2, vcc_lo, v2, v3, vcc_lo
	s_delay_alu instid0(VALU_DEP_2) | instskip(NEXT) | instid1(VALU_DEP_2)
	v_add_co_u32 v1, vcc_lo, v1, v5
	v_mov_b32_dpp v3, v2 row_ror:4 row_mask:0xf bank_mask:0xf
	v_add_co_ci_u32_e32 v2, vcc_lo, 0, v2, vcc_lo
	s_delay_alu instid0(VALU_DEP_3) | instskip(SKIP_1) | instid1(VALU_DEP_3)
	v_mov_b32_dpp v5, v1 row_ror:8 row_mask:0xf bank_mask:0xf
	v_add_co_u32 v1, vcc_lo, v1, 0
	v_add_co_ci_u32_e32 v2, vcc_lo, v2, v3, vcc_lo
	s_delay_alu instid0(VALU_DEP_2) | instskip(NEXT) | instid1(VALU_DEP_2)
	v_add_co_u32 v1, vcc_lo, v1, v5
	v_mov_b32_dpp v3, v2 row_ror:8 row_mask:0xf bank_mask:0xf
	v_add_co_ci_u32_e32 v2, vcc_lo, 0, v2, vcc_lo
	ds_swizzle_b32 v5, v1 offset:swizzle(BROADCAST,32,15)
	v_add_co_u32 v1, vcc_lo, v1, 0
	v_add_co_ci_u32_e32 v2, vcc_lo, v2, v3, vcc_lo
	ds_swizzle_b32 v3, v2 offset:swizzle(BROADCAST,32,15)
	s_waitcnt lgkmcnt(1)
	v_add_co_u32 v1, vcc_lo, v1, v5
	v_add_co_ci_u32_e32 v2, vcc_lo, 0, v2, vcc_lo
	ds_bpermute_b32 v1, v4, v1 offset:124
	s_waitcnt lgkmcnt(1)
	v_add_nc_u32_e32 v2, v3, v2
	v_mbcnt_lo_u32_b32 v3, -1, 0
	ds_bpermute_b32 v2, v4, v2 offset:124
	v_cmpx_eq_u32_e32 0, v3
	s_cbranch_execz .LBB251_454
; %bb.453:
	v_lshrrev_b32_e32 v4, 2, v0
	s_delay_alu instid0(VALU_DEP_1)
	v_and_b32_e32 v4, 24, v4
	s_waitcnt lgkmcnt(0)
	ds_store_b64 v4, v[1:2] offset:128
.LBB251_454:
	s_or_b32 exec_lo, exec_lo, s2
	s_delay_alu instid0(SALU_CYCLE_1)
	s_mov_b32 s2, exec_lo
	s_waitcnt lgkmcnt(0)
	s_barrier
	buffer_gl0_inv
	v_cmpx_gt_u32_e32 32, v0
	s_cbranch_execz .LBB251_456
; %bb.455:
	v_and_b32_e32 v4, 3, v3
	s_delay_alu instid0(VALU_DEP_1) | instskip(SKIP_4) | instid1(VALU_DEP_2)
	v_lshlrev_b32_e32 v1, 3, v4
	v_cmp_ne_u32_e32 vcc_lo, 3, v4
	ds_load_b64 v[1:2], v1 offset:128
	v_add_co_ci_u32_e32 v5, vcc_lo, 0, v3, vcc_lo
	v_cmp_gt_u32_e32 vcc_lo, 2, v4
	v_lshlrev_b32_e32 v5, 2, v5
	v_cndmask_b32_e64 v4, 0, 1, vcc_lo
	s_delay_alu instid0(VALU_DEP_1) | instskip(NEXT) | instid1(VALU_DEP_1)
	v_lshlrev_b32_e32 v4, 1, v4
	v_add_lshl_u32 v3, v4, v3, 2
	s_waitcnt lgkmcnt(0)
	ds_bpermute_b32 v6, v5, v1
	ds_bpermute_b32 v5, v5, v2
	s_waitcnt lgkmcnt(1)
	v_add_co_u32 v1, vcc_lo, v1, v6
	v_add_co_ci_u32_e32 v2, vcc_lo, 0, v2, vcc_lo
	ds_bpermute_b32 v4, v3, v1
	v_add_co_u32 v1, vcc_lo, 0, v1
	s_waitcnt lgkmcnt(1)
	v_add_co_ci_u32_e32 v2, vcc_lo, v5, v2, vcc_lo
	ds_bpermute_b32 v3, v3, v2
	s_waitcnt lgkmcnt(1)
	v_add_co_u32 v1, vcc_lo, v1, v4
	v_add_co_ci_u32_e32 v2, vcc_lo, 0, v2, vcc_lo
	s_delay_alu instid0(VALU_DEP_2) | instskip(SKIP_1) | instid1(VALU_DEP_2)
	v_add_co_u32 v1, vcc_lo, v1, 0
	s_waitcnt lgkmcnt(0)
	v_add_co_ci_u32_e32 v2, vcc_lo, v2, v3, vcc_lo
.LBB251_456:
	s_or_b32 exec_lo, exec_lo, s2
.LBB251_457:
	v_cmp_eq_u32_e64 s2, 0, v0
	s_branch .LBB251_605
.LBB251_458:
                                        ; implicit-def: $vgpr1_vgpr2
	s_cbranch_execnz .LBB251_544
	s_branch .LBB251_605
.LBB251_459:
	s_branch .LBB251_605
.LBB251_460:
                                        ; implicit-def: $vgpr1_vgpr2
	s_cbranch_execz .LBB251_457
; %bb.461:
	s_sub_i32 s2, s20, s6
	s_mov_b32 s3, exec_lo
                                        ; implicit-def: $vgpr1_vgpr2
	v_cmpx_gt_u32_e64 s2, v0
	s_cbranch_execz .LBB251_463
; %bb.462:
	s_mov_b32 s6, 0
	s_delay_alu instid0(SALU_CYCLE_1)
	v_dual_mov_b32 v2, s6 :: v_dual_lshlrev_b32 v1, 2, v0
	global_load_b32 v1, v1, s[4:5]
	s_waitcnt vmcnt(0)
	v_cmp_neq_f32_e32 vcc_lo, 0, v1
	v_cndmask_b32_e64 v1, 0, 1, vcc_lo
.LBB251_463:
	s_or_b32 exec_lo, exec_lo, s3
	s_waitcnt lgkmcnt(0)
	v_mov_b32_e32 v3, 0
	v_or_b32_e32 v5, 0x80, v0
	v_mov_b32_e32 v4, 0
	s_delay_alu instid0(VALU_DEP_2) | instskip(NEXT) | instid1(VALU_DEP_2)
	v_cmp_gt_u32_e32 vcc_lo, s2, v5
	v_dual_mov_b32 v6, v4 :: v_dual_mov_b32 v5, v3
	s_and_saveexec_b32 s3, vcc_lo
	s_cbranch_execz .LBB251_465
; %bb.464:
	s_mov_b32 s6, 0
	s_delay_alu instid0(SALU_CYCLE_1)
	v_dual_mov_b32 v6, s6 :: v_dual_lshlrev_b32 v5, 2, v0
	global_load_b32 v5, v5, s[4:5] offset:512
	s_waitcnt vmcnt(0)
	v_cmp_neq_f32_e32 vcc_lo, 0, v5
	v_cndmask_b32_e64 v5, 0, 1, vcc_lo
.LBB251_465:
	s_or_b32 exec_lo, exec_lo, s3
	v_or_b32_e32 v7, 0x100, v0
	s_mov_b32 s3, exec_lo
	s_delay_alu instid0(VALU_DEP_1)
	v_cmpx_gt_u32_e64 s2, v7
	s_cbranch_execz .LBB251_467
; %bb.466:
	s_mov_b32 s6, 0
	s_delay_alu instid0(SALU_CYCLE_1)
	v_dual_mov_b32 v4, s6 :: v_dual_lshlrev_b32 v3, 2, v0
	global_load_b32 v3, v3, s[4:5] offset:1024
	s_waitcnt vmcnt(0)
	v_cmp_neq_f32_e32 vcc_lo, 0, v3
	v_cndmask_b32_e64 v3, 0, 1, vcc_lo
.LBB251_467:
	s_or_b32 exec_lo, exec_lo, s3
	v_mov_b32_e32 v7, 0
	v_or_b32_e32 v9, 0x180, v0
	v_mov_b32_e32 v8, 0
	s_delay_alu instid0(VALU_DEP_2) | instskip(NEXT) | instid1(VALU_DEP_2)
	v_cmp_gt_u32_e32 vcc_lo, s2, v9
	v_dual_mov_b32 v10, v8 :: v_dual_mov_b32 v9, v7
	s_and_saveexec_b32 s3, vcc_lo
	s_cbranch_execz .LBB251_469
; %bb.468:
	s_mov_b32 s6, 0
	s_delay_alu instid0(SALU_CYCLE_1)
	v_dual_mov_b32 v10, s6 :: v_dual_lshlrev_b32 v9, 2, v0
	global_load_b32 v9, v9, s[4:5] offset:1536
	s_waitcnt vmcnt(0)
	v_cmp_neq_f32_e32 vcc_lo, 0, v9
	v_cndmask_b32_e64 v9, 0, 1, vcc_lo
.LBB251_469:
	s_or_b32 exec_lo, exec_lo, s3
	v_or_b32_e32 v11, 0x200, v0
	s_mov_b32 s3, exec_lo
	s_delay_alu instid0(VALU_DEP_1)
	v_cmpx_gt_u32_e64 s2, v11
	s_cbranch_execz .LBB251_471
; %bb.470:
	s_mov_b32 s6, 0
	s_delay_alu instid0(SALU_CYCLE_1)
	v_dual_mov_b32 v8, s6 :: v_dual_lshlrev_b32 v7, 2, v0
	global_load_b32 v7, v7, s[4:5] offset:2048
	s_waitcnt vmcnt(0)
	v_cmp_neq_f32_e32 vcc_lo, 0, v7
	v_cndmask_b32_e64 v7, 0, 1, vcc_lo
.LBB251_471:
	s_or_b32 exec_lo, exec_lo, s3
	;; [unrolled: 33-line block ×3, first 2 shown]
	v_mov_b32_e32 v15, 0
	v_or_b32_e32 v17, 0x380, v0
	v_mov_b32_e32 v16, 0
	s_delay_alu instid0(VALU_DEP_2) | instskip(NEXT) | instid1(VALU_DEP_2)
	v_cmp_gt_u32_e32 vcc_lo, s2, v17
	v_dual_mov_b32 v18, v16 :: v_dual_mov_b32 v17, v15
	s_and_saveexec_b32 s3, vcc_lo
	s_cbranch_execz .LBB251_477
; %bb.476:
	s_mov_b32 s6, 0
	s_delay_alu instid0(SALU_CYCLE_1)
	v_dual_mov_b32 v18, s6 :: v_dual_lshlrev_b32 v17, 2, v0
	global_load_b32 v17, v17, s[4:5] offset:3584
	s_waitcnt vmcnt(0)
	v_cmp_neq_f32_e32 vcc_lo, 0, v17
	v_cndmask_b32_e64 v17, 0, 1, vcc_lo
.LBB251_477:
	s_or_b32 exec_lo, exec_lo, s3
	v_or_b32_e32 v19, 0x400, v0
	s_mov_b32 s3, exec_lo
	s_delay_alu instid0(VALU_DEP_1)
	v_cmpx_gt_u32_e64 s2, v19
	s_cbranch_execz .LBB251_479
; %bb.478:
	s_mov_b32 s6, 0
	s_delay_alu instid0(SALU_CYCLE_1)
	v_dual_mov_b32 v16, s6 :: v_dual_lshlrev_b32 v15, 2, v19
	global_load_b32 v15, v15, s[4:5]
	s_waitcnt vmcnt(0)
	v_cmp_neq_f32_e32 vcc_lo, 0, v15
	v_cndmask_b32_e64 v15, 0, 1, vcc_lo
.LBB251_479:
	s_or_b32 exec_lo, exec_lo, s3
	v_mov_b32_e32 v19, 0
	v_mov_b32_e32 v20, 0
	v_or_b32_e32 v23, 0x480, v0
	s_mov_b32 s3, exec_lo
	s_delay_alu instid0(VALU_DEP_2) | instskip(NEXT) | instid1(VALU_DEP_2)
	v_dual_mov_b32 v22, v20 :: v_dual_mov_b32 v21, v19
	v_cmpx_gt_u32_e64 s2, v23
	s_cbranch_execz .LBB251_481
; %bb.480:
	s_mov_b32 s6, 0
	s_delay_alu instid0(SALU_CYCLE_1)
	v_dual_mov_b32 v22, s6 :: v_dual_lshlrev_b32 v21, 2, v23
	global_load_b32 v21, v21, s[4:5]
	s_waitcnt vmcnt(0)
	v_cmp_neq_f32_e32 vcc_lo, 0, v21
	v_cndmask_b32_e64 v21, 0, 1, vcc_lo
.LBB251_481:
	s_or_b32 exec_lo, exec_lo, s3
	v_or_b32_e32 v23, 0x500, v0
	s_mov_b32 s3, exec_lo
	s_delay_alu instid0(VALU_DEP_1)
	v_cmpx_gt_u32_e64 s2, v23
	s_cbranch_execz .LBB251_483
; %bb.482:
	s_mov_b32 s6, 0
	s_delay_alu instid0(SALU_CYCLE_1)
	v_dual_mov_b32 v20, s6 :: v_dual_lshlrev_b32 v19, 2, v23
	global_load_b32 v19, v19, s[4:5]
	s_waitcnt vmcnt(0)
	v_cmp_neq_f32_e32 vcc_lo, 0, v19
	v_cndmask_b32_e64 v19, 0, 1, vcc_lo
.LBB251_483:
	s_or_b32 exec_lo, exec_lo, s3
	v_mov_b32_e32 v23, 0
	v_mov_b32_e32 v24, 0
	v_or_b32_e32 v27, 0x580, v0
	s_mov_b32 s3, exec_lo
	s_delay_alu instid0(VALU_DEP_2) | instskip(NEXT) | instid1(VALU_DEP_2)
	v_dual_mov_b32 v26, v24 :: v_dual_mov_b32 v25, v23
	v_cmpx_gt_u32_e64 s2, v27
	s_cbranch_execz .LBB251_485
; %bb.484:
	s_mov_b32 s6, 0
	s_delay_alu instid0(SALU_CYCLE_1)
	v_dual_mov_b32 v26, s6 :: v_dual_lshlrev_b32 v25, 2, v27
	global_load_b32 v25, v25, s[4:5]
	s_waitcnt vmcnt(0)
	v_cmp_neq_f32_e32 vcc_lo, 0, v25
	v_cndmask_b32_e64 v25, 0, 1, vcc_lo
.LBB251_485:
	;; [unrolled: 33-line block ×11, first 2 shown]
	s_or_b32 exec_lo, exec_lo, s3
	v_or_b32_e32 v63, 0xf00, v0
	s_mov_b32 s3, exec_lo
	s_delay_alu instid0(VALU_DEP_1)
	v_cmpx_gt_u32_e64 s2, v63
	s_cbranch_execz .LBB251_523
; %bb.522:
	s_mov_b32 s6, 0
	s_delay_alu instid0(SALU_CYCLE_1)
	v_dual_mov_b32 v60, s6 :: v_dual_lshlrev_b32 v59, 2, v63
	global_load_b32 v59, v59, s[4:5]
	s_waitcnt vmcnt(0)
	v_cmp_neq_f32_e32 vcc_lo, 0, v59
	v_cndmask_b32_e64 v59, 0, 1, vcc_lo
.LBB251_523:
	s_or_b32 exec_lo, exec_lo, s3
	v_mov_b32_e32 v63, 0
	v_or_b32_e32 v65, 0xf80, v0
	v_mov_b32_e32 v64, 0
	s_mov_b32 s3, exec_lo
	s_delay_alu instid0(VALU_DEP_2)
	v_cmpx_gt_u32_e64 s2, v65
	s_cbranch_execz .LBB251_525
; %bb.524:
	v_lshlrev_b32_e32 v63, 2, v65
	global_load_b32 v63, v63, s[4:5]
	s_mov_b32 s4, 0
	s_delay_alu instid0(SALU_CYCLE_1)
	v_mov_b32_e32 v64, s4
	s_waitcnt vmcnt(0)
	v_cmp_neq_f32_e32 vcc_lo, 0, v63
	v_cndmask_b32_e64 v63, 0, 1, vcc_lo
.LBB251_525:
	s_or_b32 exec_lo, exec_lo, s3
	v_add_co_u32 v1, vcc_lo, v5, v1
	v_add_co_ci_u32_e32 v2, vcc_lo, v6, v2, vcc_lo
	s_min_u32 s2, s2, 0x80
	s_delay_alu instid0(VALU_DEP_2) | instskip(NEXT) | instid1(VALU_DEP_2)
	v_add_co_u32 v1, vcc_lo, v1, v3
	v_add_co_ci_u32_e32 v2, vcc_lo, v2, v4, vcc_lo
	v_mbcnt_lo_u32_b32 v3, -1, 0
	s_delay_alu instid0(VALU_DEP_3) | instskip(NEXT) | instid1(VALU_DEP_3)
	v_add_co_u32 v1, vcc_lo, v1, v9
	v_add_co_ci_u32_e32 v2, vcc_lo, v2, v10, vcc_lo
	s_delay_alu instid0(VALU_DEP_3) | instskip(NEXT) | instid1(VALU_DEP_3)
	v_add_nc_u32_e32 v5, 1, v3
	v_add_co_u32 v1, vcc_lo, v1, v7
	s_delay_alu instid0(VALU_DEP_3) | instskip(NEXT) | instid1(VALU_DEP_2)
	v_add_co_ci_u32_e32 v2, vcc_lo, v2, v8, vcc_lo
	v_add_co_u32 v1, vcc_lo, v1, v13
	s_delay_alu instid0(VALU_DEP_2) | instskip(NEXT) | instid1(VALU_DEP_2)
	v_add_co_ci_u32_e32 v2, vcc_lo, v2, v14, vcc_lo
	v_add_co_u32 v1, vcc_lo, v1, v11
	s_delay_alu instid0(VALU_DEP_2) | instskip(NEXT) | instid1(VALU_DEP_2)
	v_add_co_ci_u32_e32 v2, vcc_lo, v2, v12, vcc_lo
	v_add_co_u32 v1, vcc_lo, v1, v17
	s_delay_alu instid0(VALU_DEP_2) | instskip(NEXT) | instid1(VALU_DEP_2)
	v_add_co_ci_u32_e32 v2, vcc_lo, v2, v18, vcc_lo
	v_add_co_u32 v1, vcc_lo, v1, v15
	s_delay_alu instid0(VALU_DEP_2) | instskip(NEXT) | instid1(VALU_DEP_2)
	v_add_co_ci_u32_e32 v2, vcc_lo, v2, v16, vcc_lo
	v_add_co_u32 v1, vcc_lo, v1, v21
	s_delay_alu instid0(VALU_DEP_2) | instskip(NEXT) | instid1(VALU_DEP_2)
	v_add_co_ci_u32_e32 v2, vcc_lo, v2, v22, vcc_lo
	v_add_co_u32 v1, vcc_lo, v1, v19
	s_delay_alu instid0(VALU_DEP_2) | instskip(NEXT) | instid1(VALU_DEP_2)
	v_add_co_ci_u32_e32 v2, vcc_lo, v2, v20, vcc_lo
	v_add_co_u32 v1, vcc_lo, v1, v25
	s_delay_alu instid0(VALU_DEP_2) | instskip(NEXT) | instid1(VALU_DEP_2)
	v_add_co_ci_u32_e32 v2, vcc_lo, v2, v26, vcc_lo
	v_add_co_u32 v1, vcc_lo, v1, v23
	s_delay_alu instid0(VALU_DEP_2) | instskip(NEXT) | instid1(VALU_DEP_2)
	v_add_co_ci_u32_e32 v2, vcc_lo, v2, v24, vcc_lo
	v_add_co_u32 v1, vcc_lo, v1, v29
	s_delay_alu instid0(VALU_DEP_2) | instskip(NEXT) | instid1(VALU_DEP_2)
	v_add_co_ci_u32_e32 v2, vcc_lo, v2, v30, vcc_lo
	v_add_co_u32 v1, vcc_lo, v1, v27
	s_delay_alu instid0(VALU_DEP_2) | instskip(NEXT) | instid1(VALU_DEP_2)
	v_add_co_ci_u32_e32 v2, vcc_lo, v2, v28, vcc_lo
	v_add_co_u32 v1, vcc_lo, v1, v33
	s_delay_alu instid0(VALU_DEP_2) | instskip(NEXT) | instid1(VALU_DEP_2)
	v_add_co_ci_u32_e32 v2, vcc_lo, v2, v34, vcc_lo
	v_add_co_u32 v1, vcc_lo, v1, v31
	s_delay_alu instid0(VALU_DEP_2) | instskip(NEXT) | instid1(VALU_DEP_2)
	v_add_co_ci_u32_e32 v2, vcc_lo, v2, v32, vcc_lo
	v_add_co_u32 v1, vcc_lo, v1, v37
	s_delay_alu instid0(VALU_DEP_2) | instskip(NEXT) | instid1(VALU_DEP_2)
	v_add_co_ci_u32_e32 v2, vcc_lo, v2, v38, vcc_lo
	v_add_co_u32 v1, vcc_lo, v1, v35
	s_delay_alu instid0(VALU_DEP_2) | instskip(NEXT) | instid1(VALU_DEP_2)
	v_add_co_ci_u32_e32 v2, vcc_lo, v2, v36, vcc_lo
	v_add_co_u32 v1, vcc_lo, v1, v41
	s_delay_alu instid0(VALU_DEP_2) | instskip(NEXT) | instid1(VALU_DEP_2)
	v_add_co_ci_u32_e32 v2, vcc_lo, v2, v42, vcc_lo
	v_add_co_u32 v1, vcc_lo, v1, v39
	s_delay_alu instid0(VALU_DEP_2) | instskip(NEXT) | instid1(VALU_DEP_2)
	v_add_co_ci_u32_e32 v2, vcc_lo, v2, v40, vcc_lo
	v_add_co_u32 v1, vcc_lo, v1, v45
	s_delay_alu instid0(VALU_DEP_2) | instskip(NEXT) | instid1(VALU_DEP_2)
	v_add_co_ci_u32_e32 v2, vcc_lo, v2, v46, vcc_lo
	v_add_co_u32 v1, vcc_lo, v1, v43
	s_delay_alu instid0(VALU_DEP_2) | instskip(NEXT) | instid1(VALU_DEP_2)
	v_add_co_ci_u32_e32 v2, vcc_lo, v2, v44, vcc_lo
	v_add_co_u32 v1, vcc_lo, v1, v49
	s_delay_alu instid0(VALU_DEP_2) | instskip(NEXT) | instid1(VALU_DEP_2)
	v_add_co_ci_u32_e32 v2, vcc_lo, v2, v50, vcc_lo
	v_add_co_u32 v1, vcc_lo, v1, v47
	s_delay_alu instid0(VALU_DEP_2) | instskip(NEXT) | instid1(VALU_DEP_2)
	v_add_co_ci_u32_e32 v2, vcc_lo, v2, v48, vcc_lo
	v_add_co_u32 v1, vcc_lo, v1, v53
	s_delay_alu instid0(VALU_DEP_2) | instskip(NEXT) | instid1(VALU_DEP_2)
	v_add_co_ci_u32_e32 v2, vcc_lo, v2, v54, vcc_lo
	v_add_co_u32 v1, vcc_lo, v1, v51
	s_delay_alu instid0(VALU_DEP_2) | instskip(NEXT) | instid1(VALU_DEP_2)
	v_add_co_ci_u32_e32 v2, vcc_lo, v2, v52, vcc_lo
	v_add_co_u32 v1, vcc_lo, v1, v57
	s_delay_alu instid0(VALU_DEP_2) | instskip(NEXT) | instid1(VALU_DEP_2)
	v_add_co_ci_u32_e32 v2, vcc_lo, v2, v58, vcc_lo
	v_add_co_u32 v1, vcc_lo, v1, v55
	s_delay_alu instid0(VALU_DEP_2) | instskip(NEXT) | instid1(VALU_DEP_2)
	v_add_co_ci_u32_e32 v2, vcc_lo, v2, v56, vcc_lo
	v_add_co_u32 v1, vcc_lo, v1, v61
	s_delay_alu instid0(VALU_DEP_2) | instskip(SKIP_2) | instid1(VALU_DEP_4)
	v_add_co_ci_u32_e32 v2, vcc_lo, v2, v62, vcc_lo
	v_cmp_ne_u32_e32 vcc_lo, 31, v3
	v_add_co_ci_u32_e32 v4, vcc_lo, 0, v3, vcc_lo
	v_add_co_u32 v1, vcc_lo, v1, v59
	s_delay_alu instid0(VALU_DEP_4) | instskip(NEXT) | instid1(VALU_DEP_2)
	v_add_co_ci_u32_e32 v2, vcc_lo, v2, v60, vcc_lo
	v_add_co_u32 v1, vcc_lo, v1, v63
	s_delay_alu instid0(VALU_DEP_4) | instskip(NEXT) | instid1(VALU_DEP_3)
	v_lshlrev_b32_e32 v4, 2, v4
	v_add_co_ci_u32_e32 v2, vcc_lo, v2, v64, vcc_lo
	ds_bpermute_b32 v7, v4, v1
	ds_bpermute_b32 v6, v4, v2
	v_and_b32_e32 v4, 0x60, v0
	s_delay_alu instid0(VALU_DEP_1) | instskip(NEXT) | instid1(VALU_DEP_1)
	v_sub_nc_u32_e64 v4, s2, v4 clamp
	v_cmp_lt_u32_e32 vcc_lo, v5, v4
	v_mov_b32_e32 v5, v1
	s_and_saveexec_b32 s3, vcc_lo
	s_cbranch_execz .LBB251_527
; %bb.526:
	s_waitcnt lgkmcnt(1)
	v_add_co_u32 v5, vcc_lo, v1, v7
	v_add_co_ci_u32_e32 v2, vcc_lo, 0, v2, vcc_lo
	s_delay_alu instid0(VALU_DEP_2) | instskip(SKIP_1) | instid1(VALU_DEP_2)
	v_add_co_u32 v1, vcc_lo, 0, v5
	s_waitcnt lgkmcnt(0)
	v_add_co_ci_u32_e32 v2, vcc_lo, v6, v2, vcc_lo
.LBB251_527:
	s_or_b32 exec_lo, exec_lo, s3
	v_cmp_gt_u32_e32 vcc_lo, 30, v3
	v_add_nc_u32_e32 v8, 2, v3
	s_mov_b32 s3, exec_lo
	s_waitcnt lgkmcnt(0)
	v_cndmask_b32_e64 v6, 0, 1, vcc_lo
	s_delay_alu instid0(VALU_DEP_1) | instskip(NEXT) | instid1(VALU_DEP_1)
	v_lshlrev_b32_e32 v6, 1, v6
	v_add_lshl_u32 v6, v6, v3, 2
	ds_bpermute_b32 v7, v6, v5
	ds_bpermute_b32 v6, v6, v2
	v_cmpx_lt_u32_e64 v8, v4
	s_cbranch_execz .LBB251_529
; %bb.528:
	s_waitcnt lgkmcnt(1)
	v_add_co_u32 v5, vcc_lo, v1, v7
	v_add_co_ci_u32_e32 v2, vcc_lo, 0, v2, vcc_lo
	s_delay_alu instid0(VALU_DEP_2) | instskip(SKIP_1) | instid1(VALU_DEP_2)
	v_add_co_u32 v1, vcc_lo, 0, v5
	s_waitcnt lgkmcnt(0)
	v_add_co_ci_u32_e32 v2, vcc_lo, v6, v2, vcc_lo
.LBB251_529:
	s_or_b32 exec_lo, exec_lo, s3
	v_cmp_gt_u32_e32 vcc_lo, 28, v3
	v_add_nc_u32_e32 v8, 4, v3
	s_mov_b32 s3, exec_lo
	s_waitcnt lgkmcnt(0)
	v_cndmask_b32_e64 v6, 0, 1, vcc_lo
	s_delay_alu instid0(VALU_DEP_1) | instskip(NEXT) | instid1(VALU_DEP_1)
	v_lshlrev_b32_e32 v6, 2, v6
	v_add_lshl_u32 v6, v6, v3, 2
	ds_bpermute_b32 v7, v6, v5
	ds_bpermute_b32 v6, v6, v2
	v_cmpx_lt_u32_e64 v8, v4
	s_cbranch_execz .LBB251_531
; %bb.530:
	s_waitcnt lgkmcnt(1)
	v_add_co_u32 v5, vcc_lo, v1, v7
	v_add_co_ci_u32_e32 v2, vcc_lo, 0, v2, vcc_lo
	s_delay_alu instid0(VALU_DEP_2) | instskip(SKIP_1) | instid1(VALU_DEP_2)
	v_add_co_u32 v1, vcc_lo, 0, v5
	s_waitcnt lgkmcnt(0)
	v_add_co_ci_u32_e32 v2, vcc_lo, v6, v2, vcc_lo
.LBB251_531:
	s_or_b32 exec_lo, exec_lo, s3
	v_cmp_gt_u32_e32 vcc_lo, 24, v3
	v_add_nc_u32_e32 v8, 8, v3
	s_mov_b32 s3, exec_lo
	s_waitcnt lgkmcnt(0)
	v_cndmask_b32_e64 v6, 0, 1, vcc_lo
	s_delay_alu instid0(VALU_DEP_1) | instskip(NEXT) | instid1(VALU_DEP_1)
	v_lshlrev_b32_e32 v6, 3, v6
	v_add_lshl_u32 v6, v6, v3, 2
	ds_bpermute_b32 v7, v6, v5
	ds_bpermute_b32 v6, v6, v2
	v_cmpx_lt_u32_e64 v8, v4
	s_cbranch_execz .LBB251_533
; %bb.532:
	s_waitcnt lgkmcnt(1)
	v_add_co_u32 v5, vcc_lo, v1, v7
	v_add_co_ci_u32_e32 v2, vcc_lo, 0, v2, vcc_lo
	s_delay_alu instid0(VALU_DEP_2) | instskip(SKIP_1) | instid1(VALU_DEP_2)
	v_add_co_u32 v1, vcc_lo, 0, v5
	s_waitcnt lgkmcnt(0)
	v_add_co_ci_u32_e32 v2, vcc_lo, v6, v2, vcc_lo
.LBB251_533:
	s_or_b32 exec_lo, exec_lo, s3
	v_cmp_gt_u32_e32 vcc_lo, 16, v3
	s_mov_b32 s3, exec_lo
	s_waitcnt lgkmcnt(0)
	v_cndmask_b32_e64 v6, 0, 1, vcc_lo
	s_delay_alu instid0(VALU_DEP_1) | instskip(NEXT) | instid1(VALU_DEP_1)
	v_lshlrev_b32_e32 v6, 4, v6
	v_add_lshl_u32 v7, v6, v3, 2
	ds_bpermute_b32 v6, v7, v5
	ds_bpermute_b32 v5, v7, v2
	v_add_nc_u32_e32 v7, 16, v3
	s_delay_alu instid0(VALU_DEP_1)
	v_cmpx_lt_u32_e64 v7, v4
	s_cbranch_execz .LBB251_535
; %bb.534:
	s_waitcnt lgkmcnt(1)
	v_add_co_u32 v1, vcc_lo, v1, v6
	v_add_co_ci_u32_e32 v2, vcc_lo, 0, v2, vcc_lo
	s_delay_alu instid0(VALU_DEP_2) | instskip(SKIP_1) | instid1(VALU_DEP_2)
	v_add_co_u32 v1, vcc_lo, v1, 0
	s_waitcnt lgkmcnt(0)
	v_add_co_ci_u32_e32 v2, vcc_lo, v2, v5, vcc_lo
.LBB251_535:
	s_or_b32 exec_lo, exec_lo, s3
	s_delay_alu instid0(SALU_CYCLE_1)
	s_mov_b32 s3, exec_lo
	v_cmpx_eq_u32_e32 0, v3
	s_cbranch_execz .LBB251_537
; %bb.536:
	v_lshrrev_b32_e32 v4, 2, v0
	s_delay_alu instid0(VALU_DEP_1)
	v_and_b32_e32 v4, 24, v4
	ds_store_b64 v4, v[1:2] offset:256
.LBB251_537:
	s_or_b32 exec_lo, exec_lo, s3
	s_delay_alu instid0(SALU_CYCLE_1)
	s_mov_b32 s3, exec_lo
	s_waitcnt lgkmcnt(0)
	s_barrier
	buffer_gl0_inv
	v_cmpx_gt_u32_e32 4, v0
	s_cbranch_execz .LBB251_543
; %bb.538:
	v_lshlrev_b32_e32 v1, 3, v3
	s_add_i32 s2, s2, 31
	s_delay_alu instid0(SALU_CYCLE_1) | instskip(SKIP_2) | instid1(VALU_DEP_1)
	s_lshr_b32 s2, s2, 5
	ds_load_b64 v[1:2], v1 offset:256
	v_and_b32_e32 v4, 3, v3
	v_cmp_ne_u32_e32 vcc_lo, 3, v4
	v_add_co_ci_u32_e32 v5, vcc_lo, 0, v3, vcc_lo
	s_delay_alu instid0(VALU_DEP_1) | instskip(SKIP_4) | instid1(VALU_DEP_1)
	v_lshlrev_b32_e32 v5, 2, v5
	s_waitcnt lgkmcnt(0)
	ds_bpermute_b32 v7, v5, v1
	ds_bpermute_b32 v6, v5, v2
	v_add_nc_u32_e32 v5, 1, v4
	v_cmp_gt_u32_e32 vcc_lo, s2, v5
	v_mov_b32_e32 v5, v1
	s_and_saveexec_b32 s4, vcc_lo
	s_cbranch_execz .LBB251_540
; %bb.539:
	s_waitcnt lgkmcnt(1)
	v_add_co_u32 v5, vcc_lo, v1, v7
	v_add_co_ci_u32_e32 v2, vcc_lo, 0, v2, vcc_lo
	s_delay_alu instid0(VALU_DEP_2) | instskip(SKIP_1) | instid1(VALU_DEP_2)
	v_add_co_u32 v1, vcc_lo, 0, v5
	s_waitcnt lgkmcnt(0)
	v_add_co_ci_u32_e32 v2, vcc_lo, v6, v2, vcc_lo
.LBB251_540:
	s_or_b32 exec_lo, exec_lo, s4
	v_cmp_gt_u32_e32 vcc_lo, 2, v4
	v_add_nc_u32_e32 v4, 2, v4
	s_waitcnt lgkmcnt(0)
	v_cndmask_b32_e64 v6, 0, 1, vcc_lo
	s_delay_alu instid0(VALU_DEP_2) | instskip(NEXT) | instid1(VALU_DEP_2)
	v_cmp_gt_u32_e32 vcc_lo, s2, v4
	v_lshlrev_b32_e32 v6, 1, v6
	s_delay_alu instid0(VALU_DEP_1)
	v_add_lshl_u32 v3, v6, v3, 2
	ds_bpermute_b32 v5, v3, v5
	ds_bpermute_b32 v3, v3, v2
	s_and_saveexec_b32 s2, vcc_lo
	s_cbranch_execz .LBB251_542
; %bb.541:
	s_waitcnt lgkmcnt(1)
	v_add_co_u32 v1, vcc_lo, v1, v5
	v_add_co_ci_u32_e32 v2, vcc_lo, 0, v2, vcc_lo
	s_delay_alu instid0(VALU_DEP_2) | instskip(SKIP_1) | instid1(VALU_DEP_2)
	v_add_co_u32 v1, vcc_lo, v1, 0
	s_waitcnt lgkmcnt(0)
	v_add_co_ci_u32_e32 v2, vcc_lo, v2, v3, vcc_lo
.LBB251_542:
	s_or_b32 exec_lo, exec_lo, s2
.LBB251_543:
	s_delay_alu instid0(SALU_CYCLE_1)
	s_or_b32 exec_lo, exec_lo, s3
	v_cmp_eq_u32_e64 s2, 0, v0
	s_branch .LBB251_605
.LBB251_544:
	s_cmp_eq_u32 s26, 16
                                        ; implicit-def: $vgpr1_vgpr2
	s_cbranch_scc0 .LBB251_605
; %bb.545:
	s_mov_b32 s19, 0
	s_lshl_b32 s4, s18, 11
	s_mov_b32 s5, s19
	s_lshr_b64 s[6:7], s[20:21], 11
	s_lshl_b64 s[2:3], s[4:5], 2
	s_delay_alu instid0(SALU_CYCLE_1)
	s_add_u32 s16, s24, s2
	s_addc_u32 s17, s25, s3
	s_cmp_lg_u64 s[6:7], s[18:19]
	s_cbranch_scc0 .LBB251_551
; %bb.546:
	v_lshlrev_b32_e32 v1, 2, v0
	s_waitcnt lgkmcnt(0)
	s_clause 0x6
	global_load_b32 v3, v1, s[16:17]
	global_load_b32 v4, v1, s[16:17] offset:512
	global_load_b32 v5, v1, s[16:17] offset:1024
	;; [unrolled: 1-line block ×6, first 2 shown]
	v_add_co_u32 v2, s2, s16, v1
	global_load_b32 v11, v1, s[16:17] offset:3584
	v_add_co_ci_u32_e64 v10, null, s17, 0, s2
	v_add_co_u32 v1, vcc_lo, 0x1000, v2
	s_delay_alu instid0(VALU_DEP_2)
	v_add_co_ci_u32_e32 v2, vcc_lo, 0, v10, vcc_lo
	s_clause 0x7
	global_load_b32 v10, v[1:2], off
	global_load_b32 v12, v[1:2], off offset:512
	global_load_b32 v13, v[1:2], off offset:1024
	global_load_b32 v14, v[1:2], off offset:1536
	global_load_b32 v15, v[1:2], off offset:2048
	global_load_b32 v16, v[1:2], off offset:2560
	global_load_b32 v17, v[1:2], off offset:3072
	global_load_b32 v1, v[1:2], off offset:3584
	s_waitcnt vmcnt(15)
	v_cmp_neq_f32_e32 vcc_lo, 0, v3
	v_cndmask_b32_e64 v2, 0, 1, vcc_lo
	s_waitcnt vmcnt(14)
	v_cmp_neq_f32_e32 vcc_lo, 0, v4
	v_cndmask_b32_e64 v3, 0, 1, vcc_lo
	s_waitcnt vmcnt(13)
	v_cmp_neq_f32_e32 vcc_lo, 0, v5
	s_delay_alu instid0(VALU_DEP_2)
	v_add_co_u32 v2, s2, v3, v2
	v_cndmask_b32_e64 v4, 0, 1, vcc_lo
	s_waitcnt vmcnt(12)
	v_cmp_neq_f32_e32 vcc_lo, 0, v6
	v_add_co_ci_u32_e64 v5, null, 0, 0, s2
	s_waitcnt vmcnt(11)
	v_cmp_neq_f32_e64 s2, 0, v7
	v_cndmask_b32_e64 v3, 0, 1, vcc_lo
	v_add_co_u32 v2, vcc_lo, v2, v4
	v_add_co_ci_u32_e32 v5, vcc_lo, 0, v5, vcc_lo
	s_delay_alu instid0(VALU_DEP_4) | instskip(NEXT) | instid1(VALU_DEP_3)
	v_cndmask_b32_e64 v4, 0, 1, s2
	v_add_co_u32 v2, vcc_lo, v2, v3
	s_waitcnt vmcnt(10)
	v_cmp_neq_f32_e64 s2, 0, v8
	v_add_co_ci_u32_e32 v5, vcc_lo, 0, v5, vcc_lo
	s_delay_alu instid0(VALU_DEP_3) | instskip(NEXT) | instid1(VALU_DEP_3)
	v_add_co_u32 v2, vcc_lo, v2, v4
	v_cndmask_b32_e64 v3, 0, 1, s2
	s_waitcnt vmcnt(9)
	v_cmp_neq_f32_e64 s2, 0, v9
	v_add_co_ci_u32_e32 v5, vcc_lo, 0, v5, vcc_lo
	s_delay_alu instid0(VALU_DEP_3) | instskip(NEXT) | instid1(VALU_DEP_3)
	v_add_co_u32 v2, vcc_lo, v2, v3
	v_cndmask_b32_e64 v4, 0, 1, s2
	;; [unrolled: 6-line block ×10, first 2 shown]
	s_waitcnt vmcnt(0)
	v_cmp_neq_f32_e64 s2, 0, v1
	v_add_co_ci_u32_e32 v3, vcc_lo, 0, v5, vcc_lo
	s_delay_alu instid0(VALU_DEP_3) | instskip(SKIP_1) | instid1(VALU_DEP_4)
	v_add_co_u32 v2, vcc_lo, v2, v4
	v_mov_b32_e32 v4, 0
	v_cndmask_b32_e64 v1, 0, 1, s2
	s_delay_alu instid0(VALU_DEP_4) | instskip(SKIP_1) | instid1(VALU_DEP_2)
	v_add_co_ci_u32_e32 v3, vcc_lo, 0, v3, vcc_lo
	s_mov_b32 s2, exec_lo
	v_add_co_u32 v1, vcc_lo, v2, v1
	s_delay_alu instid0(VALU_DEP_2) | instskip(NEXT) | instid1(VALU_DEP_2)
	v_add_co_ci_u32_e32 v2, vcc_lo, 0, v3, vcc_lo
	v_mov_b32_dpp v3, v1 quad_perm:[1,0,3,2] row_mask:0xf bank_mask:0xf
	s_delay_alu instid0(VALU_DEP_1) | instskip(SKIP_1) | instid1(VALU_DEP_4)
	v_add_co_u32 v1, vcc_lo, v1, v3
	v_mov_b32_dpp v3, v4 quad_perm:[1,0,3,2] row_mask:0xf bank_mask:0xf
	v_add_co_ci_u32_e32 v2, vcc_lo, 0, v2, vcc_lo
	s_delay_alu instid0(VALU_DEP_3) | instskip(SKIP_1) | instid1(VALU_DEP_3)
	v_mov_b32_dpp v5, v1 quad_perm:[2,3,0,1] row_mask:0xf bank_mask:0xf
	v_add_co_u32 v1, vcc_lo, 0, v1
	v_add_co_ci_u32_e32 v2, vcc_lo, v3, v2, vcc_lo
	s_delay_alu instid0(VALU_DEP_2) | instskip(NEXT) | instid1(VALU_DEP_2)
	v_add_co_u32 v1, vcc_lo, v1, v5
	v_mov_b32_dpp v3, v2 quad_perm:[2,3,0,1] row_mask:0xf bank_mask:0xf
	v_add_co_ci_u32_e32 v2, vcc_lo, 0, v2, vcc_lo
	s_delay_alu instid0(VALU_DEP_3) | instskip(SKIP_1) | instid1(VALU_DEP_3)
	v_mov_b32_dpp v5, v1 row_ror:4 row_mask:0xf bank_mask:0xf
	v_add_co_u32 v1, vcc_lo, v1, 0
	v_add_co_ci_u32_e32 v2, vcc_lo, v2, v3, vcc_lo
	s_delay_alu instid0(VALU_DEP_2) | instskip(NEXT) | instid1(VALU_DEP_2)
	v_add_co_u32 v1, vcc_lo, v1, v5
	v_mov_b32_dpp v3, v2 row_ror:4 row_mask:0xf bank_mask:0xf
	v_add_co_ci_u32_e32 v2, vcc_lo, 0, v2, vcc_lo
	s_delay_alu instid0(VALU_DEP_3) | instskip(SKIP_1) | instid1(VALU_DEP_3)
	v_mov_b32_dpp v5, v1 row_ror:8 row_mask:0xf bank_mask:0xf
	v_add_co_u32 v1, vcc_lo, v1, 0
	v_add_co_ci_u32_e32 v2, vcc_lo, v2, v3, vcc_lo
	s_delay_alu instid0(VALU_DEP_2) | instskip(NEXT) | instid1(VALU_DEP_2)
	v_add_co_u32 v1, vcc_lo, v1, v5
	v_mov_b32_dpp v3, v2 row_ror:8 row_mask:0xf bank_mask:0xf
	v_add_co_ci_u32_e32 v2, vcc_lo, 0, v2, vcc_lo
	ds_swizzle_b32 v5, v1 offset:swizzle(BROADCAST,32,15)
	v_add_co_u32 v1, vcc_lo, v1, 0
	v_add_co_ci_u32_e32 v2, vcc_lo, v2, v3, vcc_lo
	ds_swizzle_b32 v3, v2 offset:swizzle(BROADCAST,32,15)
	s_waitcnt lgkmcnt(1)
	v_add_co_u32 v1, vcc_lo, v1, v5
	v_add_co_ci_u32_e32 v2, vcc_lo, 0, v2, vcc_lo
	ds_bpermute_b32 v1, v4, v1 offset:124
	s_waitcnt lgkmcnt(1)
	v_add_nc_u32_e32 v2, v3, v2
	v_mbcnt_lo_u32_b32 v3, -1, 0
	ds_bpermute_b32 v2, v4, v2 offset:124
	v_cmpx_eq_u32_e32 0, v3
	s_cbranch_execz .LBB251_548
; %bb.547:
	v_lshrrev_b32_e32 v4, 2, v0
	s_delay_alu instid0(VALU_DEP_1)
	v_and_b32_e32 v4, 24, v4
	s_waitcnt lgkmcnt(0)
	ds_store_b64 v4, v[1:2] offset:32
.LBB251_548:
	s_or_b32 exec_lo, exec_lo, s2
	s_delay_alu instid0(SALU_CYCLE_1)
	s_mov_b32 s2, exec_lo
	s_waitcnt lgkmcnt(0)
	s_barrier
	buffer_gl0_inv
	v_cmpx_gt_u32_e32 32, v0
	s_cbranch_execz .LBB251_550
; %bb.549:
	v_and_b32_e32 v4, 3, v3
	s_delay_alu instid0(VALU_DEP_1) | instskip(SKIP_4) | instid1(VALU_DEP_2)
	v_lshlrev_b32_e32 v1, 3, v4
	v_cmp_ne_u32_e32 vcc_lo, 3, v4
	ds_load_b64 v[1:2], v1 offset:32
	v_add_co_ci_u32_e32 v5, vcc_lo, 0, v3, vcc_lo
	v_cmp_gt_u32_e32 vcc_lo, 2, v4
	v_lshlrev_b32_e32 v5, 2, v5
	v_cndmask_b32_e64 v4, 0, 1, vcc_lo
	s_delay_alu instid0(VALU_DEP_1) | instskip(NEXT) | instid1(VALU_DEP_1)
	v_lshlrev_b32_e32 v4, 1, v4
	v_add_lshl_u32 v3, v4, v3, 2
	s_waitcnt lgkmcnt(0)
	ds_bpermute_b32 v6, v5, v1
	ds_bpermute_b32 v5, v5, v2
	s_waitcnt lgkmcnt(1)
	v_add_co_u32 v1, vcc_lo, v1, v6
	v_add_co_ci_u32_e32 v2, vcc_lo, 0, v2, vcc_lo
	ds_bpermute_b32 v4, v3, v1
	v_add_co_u32 v1, vcc_lo, 0, v1
	s_waitcnt lgkmcnt(1)
	v_add_co_ci_u32_e32 v2, vcc_lo, v5, v2, vcc_lo
	ds_bpermute_b32 v3, v3, v2
	s_waitcnt lgkmcnt(1)
	v_add_co_u32 v1, vcc_lo, v1, v4
	v_add_co_ci_u32_e32 v2, vcc_lo, 0, v2, vcc_lo
	s_delay_alu instid0(VALU_DEP_2) | instskip(SKIP_1) | instid1(VALU_DEP_2)
	v_add_co_u32 v1, vcc_lo, v1, 0
	s_waitcnt lgkmcnt(0)
	v_add_co_ci_u32_e32 v2, vcc_lo, v2, v3, vcc_lo
.LBB251_550:
	s_or_b32 exec_lo, exec_lo, s2
	s_mov_b32 s2, 0
	s_branch .LBB251_552
.LBB251_551:
	s_mov_b32 s2, -1
                                        ; implicit-def: $vgpr1_vgpr2
.LBB251_552:
	s_delay_alu instid0(SALU_CYCLE_1)
	s_and_b32 vcc_lo, exec_lo, s2
	s_cbranch_vccz .LBB251_604
; %bb.553:
	s_sub_i32 s27, s20, s4
	s_mov_b32 s2, exec_lo
                                        ; implicit-def: $vgpr1_vgpr2_vgpr3_vgpr4_vgpr5_vgpr6_vgpr7_vgpr8_vgpr9_vgpr10_vgpr11_vgpr12_vgpr13_vgpr14_vgpr15_vgpr16_vgpr17_vgpr18_vgpr19_vgpr20_vgpr21_vgpr22_vgpr23_vgpr24_vgpr25_vgpr26_vgpr27_vgpr28_vgpr29_vgpr30_vgpr31_vgpr32
	v_cmpx_gt_u32_e64 s27, v0
	s_cbranch_execz .LBB251_555
; %bb.554:
	v_dual_mov_b32 v2, 0 :: v_dual_lshlrev_b32 v1, 2, v0
	global_load_b32 v1, v1, s[16:17]
	s_waitcnt vmcnt(0)
	v_cmp_neq_f32_e32 vcc_lo, 0, v1
	v_cndmask_b32_e64 v1, 0, 1, vcc_lo
.LBB251_555:
	s_or_b32 exec_lo, exec_lo, s2
	v_or_b32_e32 v33, 0x80, v0
	s_delay_alu instid0(VALU_DEP_1)
	v_cmp_gt_u32_e32 vcc_lo, s27, v33
	s_and_saveexec_b32 s3, vcc_lo
	s_cbranch_execz .LBB251_557
; %bb.556:
	s_waitcnt lgkmcnt(0)
	v_dual_mov_b32 v4, 0 :: v_dual_lshlrev_b32 v3, 2, v0
	global_load_b32 v3, v3, s[16:17] offset:512
	s_waitcnt vmcnt(0)
	v_cmp_neq_f32_e64 s2, 0, v3
	s_delay_alu instid0(VALU_DEP_1)
	v_cndmask_b32_e64 v3, 0, 1, s2
.LBB251_557:
	s_or_b32 exec_lo, exec_lo, s3
	v_or_b32_e32 v33, 0x100, v0
	s_delay_alu instid0(VALU_DEP_1) | instskip(NEXT) | instid1(VALU_DEP_1)
	v_cmp_gt_u32_e64 s2, s27, v33
	s_and_saveexec_b32 s4, s2
	s_cbranch_execz .LBB251_559
; %bb.558:
	s_waitcnt lgkmcnt(1)
	v_dual_mov_b32 v6, 0 :: v_dual_lshlrev_b32 v5, 2, v0
	global_load_b32 v5, v5, s[16:17] offset:1024
	s_waitcnt vmcnt(0)
	v_cmp_neq_f32_e64 s3, 0, v5
	s_delay_alu instid0(VALU_DEP_1)
	v_cndmask_b32_e64 v5, 0, 1, s3
.LBB251_559:
	s_or_b32 exec_lo, exec_lo, s4
	v_or_b32_e32 v33, 0x180, v0
	s_delay_alu instid0(VALU_DEP_1) | instskip(NEXT) | instid1(VALU_DEP_1)
	v_cmp_gt_u32_e64 s3, s27, v33
	s_and_saveexec_b32 s5, s3
	s_cbranch_execz .LBB251_561
; %bb.560:
	v_dual_mov_b32 v8, 0 :: v_dual_lshlrev_b32 v7, 2, v0
	global_load_b32 v7, v7, s[16:17] offset:1536
	s_waitcnt vmcnt(0)
	v_cmp_neq_f32_e64 s4, 0, v7
	s_delay_alu instid0(VALU_DEP_1)
	v_cndmask_b32_e64 v7, 0, 1, s4
.LBB251_561:
	s_or_b32 exec_lo, exec_lo, s5
	v_or_b32_e32 v33, 0x200, v0
	s_delay_alu instid0(VALU_DEP_1) | instskip(NEXT) | instid1(VALU_DEP_1)
	v_cmp_gt_u32_e64 s4, s27, v33
	s_and_saveexec_b32 s6, s4
	s_cbranch_execz .LBB251_563
; %bb.562:
	v_dual_mov_b32 v10, 0 :: v_dual_lshlrev_b32 v9, 2, v0
	global_load_b32 v9, v9, s[16:17] offset:2048
	s_waitcnt vmcnt(0)
	v_cmp_neq_f32_e64 s5, 0, v9
	s_delay_alu instid0(VALU_DEP_1)
	v_cndmask_b32_e64 v9, 0, 1, s5
.LBB251_563:
	;; [unrolled: 14-line block ×5, first 2 shown]
	s_or_b32 exec_lo, exec_lo, s9
	v_or_b32_e32 v33, 0x400, v0
	s_delay_alu instid0(VALU_DEP_1) | instskip(NEXT) | instid1(VALU_DEP_1)
	v_cmp_gt_u32_e64 s8, s27, v33
	s_and_saveexec_b32 s10, s8
	s_cbranch_execz .LBB251_571
; %bb.570:
	v_dual_mov_b32 v18, 0 :: v_dual_lshlrev_b32 v17, 2, v33
	global_load_b32 v17, v17, s[16:17]
	s_waitcnt vmcnt(0)
	v_cmp_neq_f32_e64 s9, 0, v17
	s_delay_alu instid0(VALU_DEP_1)
	v_cndmask_b32_e64 v17, 0, 1, s9
.LBB251_571:
	s_or_b32 exec_lo, exec_lo, s10
	v_or_b32_e32 v33, 0x480, v0
	s_delay_alu instid0(VALU_DEP_1) | instskip(NEXT) | instid1(VALU_DEP_1)
	v_cmp_gt_u32_e64 s9, s27, v33
	s_and_saveexec_b32 s11, s9
	s_cbranch_execz .LBB251_573
; %bb.572:
	v_dual_mov_b32 v20, 0 :: v_dual_lshlrev_b32 v19, 2, v33
	global_load_b32 v19, v19, s[16:17]
	s_waitcnt vmcnt(0)
	v_cmp_neq_f32_e64 s10, 0, v19
	s_delay_alu instid0(VALU_DEP_1)
	v_cndmask_b32_e64 v19, 0, 1, s10
.LBB251_573:
	;; [unrolled: 14-line block ×8, first 2 shown]
	s_or_b32 exec_lo, exec_lo, s28
	s_waitcnt lgkmcnt(0)
	v_dual_cndmask_b32 v3, 0, v3 :: v_dual_cndmask_b32 v4, 0, v4
	v_cndmask_b32_e64 v5, 0, v5, s2
	v_cndmask_b32_e64 v6, 0, v6, s2
	s_min_u32 s2, s27, 0x80
	s_delay_alu instid0(VALU_DEP_3) | instskip(SKIP_2) | instid1(VALU_DEP_3)
	v_add_co_u32 v1, vcc_lo, v3, v1
	v_add_co_ci_u32_e32 v2, vcc_lo, v4, v2, vcc_lo
	v_cndmask_b32_e64 v3, 0, v7, s3
	v_add_co_u32 v1, vcc_lo, v1, v5
	s_delay_alu instid0(VALU_DEP_3) | instskip(SKIP_2) | instid1(VALU_DEP_4)
	v_add_co_ci_u32_e32 v2, vcc_lo, v2, v6, vcc_lo
	v_cndmask_b32_e64 v4, 0, v8, s3
	v_cndmask_b32_e64 v5, 0, v9, s4
	v_add_co_u32 v1, vcc_lo, v1, v3
	v_cndmask_b32_e64 v3, 0, v10, s4
	s_delay_alu instid0(VALU_DEP_4) | instskip(SKIP_1) | instid1(VALU_DEP_4)
	v_add_co_ci_u32_e32 v2, vcc_lo, v2, v4, vcc_lo
	v_cndmask_b32_e64 v4, 0, v11, s5
	v_add_co_u32 v1, vcc_lo, v1, v5
	s_delay_alu instid0(VALU_DEP_3) | instskip(SKIP_2) | instid1(VALU_DEP_4)
	v_add_co_ci_u32_e32 v2, vcc_lo, v2, v3, vcc_lo
	v_cndmask_b32_e64 v3, 0, v12, s5
	v_cndmask_b32_e64 v5, 0, v13, s6
	v_add_co_u32 v1, vcc_lo, v1, v4
	v_cndmask_b32_e64 v4, 0, v15, s7
	s_delay_alu instid0(VALU_DEP_4) | instskip(SKIP_1) | instid1(VALU_DEP_4)
	v_add_co_ci_u32_e32 v2, vcc_lo, v2, v3, vcc_lo
	v_cndmask_b32_e64 v3, 0, v14, s6
	v_add_co_u32 v1, vcc_lo, v1, v5
	v_cndmask_b32_e64 v5, 0, v17, s8
	v_cndmask_b32_e64 v6, 0, v31, s15
	s_delay_alu instid0(VALU_DEP_4) | instskip(SKIP_3) | instid1(VALU_DEP_3)
	v_add_co_ci_u32_e32 v2, vcc_lo, v2, v3, vcc_lo
	v_cndmask_b32_e64 v3, 0, v16, s7
	v_add_co_u32 v1, vcc_lo, v1, v4
	v_cndmask_b32_e64 v4, 0, v19, s9
	v_add_co_ci_u32_e32 v2, vcc_lo, v2, v3, vcc_lo
	v_cndmask_b32_e64 v3, 0, v18, s8
	s_delay_alu instid0(VALU_DEP_4) | instskip(SKIP_1) | instid1(VALU_DEP_3)
	v_add_co_u32 v1, vcc_lo, v1, v5
	v_cndmask_b32_e64 v5, 0, v21, s10
	v_add_co_ci_u32_e32 v2, vcc_lo, v2, v3, vcc_lo
	v_cndmask_b32_e64 v3, 0, v20, s9
	s_delay_alu instid0(VALU_DEP_4) | instskip(SKIP_1) | instid1(VALU_DEP_3)
	;; [unrolled: 5-line block ×5, first 2 shown]
	v_add_co_u32 v1, vcc_lo, v1, v5
	v_cndmask_b32_e64 v5, 0, v28, s13
	v_add_co_ci_u32_e32 v2, vcc_lo, v2, v3, vcc_lo
	v_mbcnt_lo_u32_b32 v3, -1, 0
	s_delay_alu instid0(VALU_DEP_4) | instskip(NEXT) | instid1(VALU_DEP_3)
	v_add_co_u32 v1, vcc_lo, v1, v4
	v_add_co_ci_u32_e32 v2, vcc_lo, v2, v5, vcc_lo
	s_delay_alu instid0(VALU_DEP_3) | instskip(SKIP_3) | instid1(VALU_DEP_3)
	v_cmp_ne_u32_e32 vcc_lo, 31, v3
	v_cndmask_b32_e64 v5, 0, v29, s14
	v_cndmask_b32_e64 v4, 0, v30, s14
	v_add_co_ci_u32_e32 v7, vcc_lo, 0, v3, vcc_lo
	v_add_co_u32 v1, vcc_lo, v1, v5
	s_delay_alu instid0(VALU_DEP_3) | instskip(SKIP_1) | instid1(VALU_DEP_3)
	v_add_co_ci_u32_e32 v2, vcc_lo, v2, v4, vcc_lo
	v_cndmask_b32_e64 v4, 0, v32, s15
	v_add_co_u32 v1, vcc_lo, v1, v6
	v_lshlrev_b32_e32 v5, 2, v7
	s_delay_alu instid0(VALU_DEP_3)
	v_add_co_ci_u32_e32 v2, vcc_lo, v2, v4, vcc_lo
	v_and_b32_e32 v4, 0x60, v0
	ds_bpermute_b32 v7, v5, v1
	ds_bpermute_b32 v6, v5, v2
	v_add_nc_u32_e32 v5, 1, v3
	v_sub_nc_u32_e64 v4, s2, v4 clamp
	s_delay_alu instid0(VALU_DEP_1)
	v_cmp_lt_u32_e32 vcc_lo, v5, v4
	v_mov_b32_e32 v5, v1
	s_and_saveexec_b32 s3, vcc_lo
	s_cbranch_execz .LBB251_587
; %bb.586:
	s_waitcnt lgkmcnt(1)
	v_add_co_u32 v5, vcc_lo, v1, v7
	v_add_co_ci_u32_e32 v2, vcc_lo, 0, v2, vcc_lo
	s_delay_alu instid0(VALU_DEP_2) | instskip(SKIP_1) | instid1(VALU_DEP_2)
	v_add_co_u32 v1, vcc_lo, v5, 0
	s_waitcnt lgkmcnt(0)
	v_add_co_ci_u32_e32 v2, vcc_lo, v2, v6, vcc_lo
.LBB251_587:
	s_or_b32 exec_lo, exec_lo, s3
	v_cmp_gt_u32_e32 vcc_lo, 30, v3
	v_add_nc_u32_e32 v8, 2, v3
	s_mov_b32 s3, exec_lo
	s_waitcnt lgkmcnt(0)
	v_cndmask_b32_e64 v6, 0, 1, vcc_lo
	s_delay_alu instid0(VALU_DEP_1) | instskip(NEXT) | instid1(VALU_DEP_1)
	v_lshlrev_b32_e32 v6, 1, v6
	v_add_lshl_u32 v6, v6, v3, 2
	ds_bpermute_b32 v7, v6, v5
	ds_bpermute_b32 v6, v6, v2
	v_cmpx_lt_u32_e64 v8, v4
	s_cbranch_execz .LBB251_589
; %bb.588:
	s_waitcnt lgkmcnt(1)
	v_add_co_u32 v5, vcc_lo, v1, v7
	v_add_co_ci_u32_e32 v2, vcc_lo, 0, v2, vcc_lo
	s_delay_alu instid0(VALU_DEP_2) | instskip(SKIP_1) | instid1(VALU_DEP_2)
	v_add_co_u32 v1, vcc_lo, 0, v5
	s_waitcnt lgkmcnt(0)
	v_add_co_ci_u32_e32 v2, vcc_lo, v6, v2, vcc_lo
.LBB251_589:
	s_or_b32 exec_lo, exec_lo, s3
	v_cmp_gt_u32_e32 vcc_lo, 28, v3
	v_add_nc_u32_e32 v8, 4, v3
	s_mov_b32 s3, exec_lo
	s_waitcnt lgkmcnt(0)
	v_cndmask_b32_e64 v6, 0, 1, vcc_lo
	s_delay_alu instid0(VALU_DEP_1) | instskip(NEXT) | instid1(VALU_DEP_1)
	v_lshlrev_b32_e32 v6, 2, v6
	v_add_lshl_u32 v6, v6, v3, 2
	ds_bpermute_b32 v7, v6, v5
	ds_bpermute_b32 v6, v6, v2
	v_cmpx_lt_u32_e64 v8, v4
	;; [unrolled: 22-line block ×3, first 2 shown]
	s_cbranch_execz .LBB251_593
; %bb.592:
	s_waitcnt lgkmcnt(1)
	v_add_co_u32 v5, vcc_lo, v1, v7
	v_add_co_ci_u32_e32 v2, vcc_lo, 0, v2, vcc_lo
	s_delay_alu instid0(VALU_DEP_2) | instskip(SKIP_1) | instid1(VALU_DEP_2)
	v_add_co_u32 v1, vcc_lo, 0, v5
	s_waitcnt lgkmcnt(0)
	v_add_co_ci_u32_e32 v2, vcc_lo, v6, v2, vcc_lo
.LBB251_593:
	s_or_b32 exec_lo, exec_lo, s3
	v_cmp_gt_u32_e32 vcc_lo, 16, v3
	s_mov_b32 s3, exec_lo
	s_waitcnt lgkmcnt(0)
	v_cndmask_b32_e64 v6, 0, 1, vcc_lo
	s_delay_alu instid0(VALU_DEP_1) | instskip(NEXT) | instid1(VALU_DEP_1)
	v_lshlrev_b32_e32 v6, 4, v6
	v_add_lshl_u32 v7, v6, v3, 2
	ds_bpermute_b32 v6, v7, v5
	ds_bpermute_b32 v5, v7, v2
	v_add_nc_u32_e32 v7, 16, v3
	s_delay_alu instid0(VALU_DEP_1)
	v_cmpx_lt_u32_e64 v7, v4
	s_cbranch_execz .LBB251_595
; %bb.594:
	s_waitcnt lgkmcnt(1)
	v_add_co_u32 v1, vcc_lo, v1, v6
	v_add_co_ci_u32_e32 v2, vcc_lo, 0, v2, vcc_lo
	s_delay_alu instid0(VALU_DEP_2) | instskip(SKIP_1) | instid1(VALU_DEP_2)
	v_add_co_u32 v1, vcc_lo, v1, 0
	s_waitcnt lgkmcnt(0)
	v_add_co_ci_u32_e32 v2, vcc_lo, v2, v5, vcc_lo
.LBB251_595:
	s_or_b32 exec_lo, exec_lo, s3
	s_delay_alu instid0(SALU_CYCLE_1)
	s_mov_b32 s3, exec_lo
	v_cmpx_eq_u32_e32 0, v3
	s_cbranch_execz .LBB251_597
; %bb.596:
	v_lshrrev_b32_e32 v4, 2, v0
	s_delay_alu instid0(VALU_DEP_1)
	v_and_b32_e32 v4, 24, v4
	ds_store_b64 v4, v[1:2] offset:256
.LBB251_597:
	s_or_b32 exec_lo, exec_lo, s3
	s_delay_alu instid0(SALU_CYCLE_1)
	s_mov_b32 s3, exec_lo
	s_waitcnt lgkmcnt(0)
	s_barrier
	buffer_gl0_inv
	v_cmpx_gt_u32_e32 4, v0
	s_cbranch_execz .LBB251_603
; %bb.598:
	v_lshlrev_b32_e32 v1, 3, v3
	s_add_i32 s2, s2, 31
	s_delay_alu instid0(SALU_CYCLE_1) | instskip(SKIP_2) | instid1(VALU_DEP_1)
	s_lshr_b32 s2, s2, 5
	ds_load_b64 v[1:2], v1 offset:256
	v_and_b32_e32 v4, 3, v3
	v_cmp_ne_u32_e32 vcc_lo, 3, v4
	v_add_co_ci_u32_e32 v5, vcc_lo, 0, v3, vcc_lo
	s_delay_alu instid0(VALU_DEP_1) | instskip(SKIP_4) | instid1(VALU_DEP_1)
	v_lshlrev_b32_e32 v5, 2, v5
	s_waitcnt lgkmcnt(0)
	ds_bpermute_b32 v7, v5, v1
	ds_bpermute_b32 v6, v5, v2
	v_add_nc_u32_e32 v5, 1, v4
	v_cmp_gt_u32_e32 vcc_lo, s2, v5
	v_mov_b32_e32 v5, v1
	s_and_saveexec_b32 s4, vcc_lo
	s_cbranch_execz .LBB251_600
; %bb.599:
	s_waitcnt lgkmcnt(1)
	v_add_co_u32 v5, vcc_lo, v1, v7
	v_add_co_ci_u32_e32 v2, vcc_lo, 0, v2, vcc_lo
	s_delay_alu instid0(VALU_DEP_2) | instskip(SKIP_1) | instid1(VALU_DEP_2)
	v_add_co_u32 v1, vcc_lo, 0, v5
	s_waitcnt lgkmcnt(0)
	v_add_co_ci_u32_e32 v2, vcc_lo, v6, v2, vcc_lo
.LBB251_600:
	s_or_b32 exec_lo, exec_lo, s4
	v_cmp_gt_u32_e32 vcc_lo, 2, v4
	v_add_nc_u32_e32 v4, 2, v4
	s_waitcnt lgkmcnt(0)
	v_cndmask_b32_e64 v6, 0, 1, vcc_lo
	s_delay_alu instid0(VALU_DEP_2) | instskip(NEXT) | instid1(VALU_DEP_2)
	v_cmp_gt_u32_e32 vcc_lo, s2, v4
	v_lshlrev_b32_e32 v6, 1, v6
	s_delay_alu instid0(VALU_DEP_1)
	v_add_lshl_u32 v3, v6, v3, 2
	ds_bpermute_b32 v5, v3, v5
	ds_bpermute_b32 v3, v3, v2
	s_and_saveexec_b32 s2, vcc_lo
	s_cbranch_execz .LBB251_602
; %bb.601:
	s_waitcnt lgkmcnt(1)
	v_add_co_u32 v1, vcc_lo, v1, v5
	v_add_co_ci_u32_e32 v2, vcc_lo, 0, v2, vcc_lo
	s_delay_alu instid0(VALU_DEP_2) | instskip(SKIP_1) | instid1(VALU_DEP_2)
	v_add_co_u32 v1, vcc_lo, v1, 0
	s_waitcnt lgkmcnt(0)
	v_add_co_ci_u32_e32 v2, vcc_lo, v2, v3, vcc_lo
.LBB251_602:
	s_or_b32 exec_lo, exec_lo, s2
.LBB251_603:
	s_delay_alu instid0(SALU_CYCLE_1)
	s_or_b32 exec_lo, exec_lo, s3
.LBB251_604:
	v_cmp_eq_u32_e64 s2, 0, v0
.LBB251_605:
	s_branch .LBB251_758
.LBB251_606:
	s_cmp_gt_i32 s26, 3
	s_cbranch_scc0 .LBB251_616
; %bb.607:
	s_cmp_gt_i32 s26, 7
	s_cbranch_scc0 .LBB251_617
; %bb.608:
	s_cmp_eq_u32 s26, 8
                                        ; implicit-def: $vgpr1_vgpr2
	s_cbranch_scc0 .LBB251_618
; %bb.609:
	s_mov_b32 s19, 0
	s_lshl_b32 s4, s18, 10
	s_mov_b32 s5, s19
	s_lshr_b64 s[6:7], s[20:21], 10
	s_lshl_b64 s[2:3], s[4:5], 2
	s_delay_alu instid0(SALU_CYCLE_1)
	s_add_u32 s8, s24, s2
	s_addc_u32 s9, s25, s3
	s_cmp_lg_u64 s[6:7], s[18:19]
	s_cbranch_scc0 .LBB251_619
; %bb.610:
	v_lshlrev_b32_e32 v1, 2, v0
	global_load_b32 v2, v1, s[8:9]
	s_waitcnt lgkmcnt(0)
	s_clause 0x6
	global_load_b32 v3, v1, s[8:9] offset:512
	global_load_b32 v4, v1, s[8:9] offset:1024
	;; [unrolled: 1-line block ×7, first 2 shown]
	s_waitcnt vmcnt(7)
	v_cmp_neq_f32_e32 vcc_lo, 0, v2
	v_cndmask_b32_e64 v2, 0, 1, vcc_lo
	s_waitcnt vmcnt(6)
	v_cmp_neq_f32_e32 vcc_lo, 0, v3
	v_cndmask_b32_e64 v3, 0, 1, vcc_lo
	s_waitcnt vmcnt(5)
	v_cmp_neq_f32_e32 vcc_lo, 0, v4
	s_delay_alu instid0(VALU_DEP_2)
	v_add_co_u32 v2, s2, v3, v2
	v_cndmask_b32_e64 v4, 0, 1, vcc_lo
	s_waitcnt vmcnt(4)
	v_cmp_neq_f32_e32 vcc_lo, 0, v5
	v_add_co_ci_u32_e64 v5, null, 0, 0, s2
	s_waitcnt vmcnt(3)
	v_cmp_neq_f32_e64 s2, 0, v6
	v_cndmask_b32_e64 v3, 0, 1, vcc_lo
	v_add_co_u32 v2, vcc_lo, v2, v4
	v_add_co_ci_u32_e32 v5, vcc_lo, 0, v5, vcc_lo
	s_delay_alu instid0(VALU_DEP_4) | instskip(NEXT) | instid1(VALU_DEP_3)
	v_cndmask_b32_e64 v4, 0, 1, s2
	v_add_co_u32 v2, vcc_lo, v2, v3
	s_waitcnt vmcnt(2)
	v_cmp_neq_f32_e64 s2, 0, v7
	v_add_co_ci_u32_e32 v5, vcc_lo, 0, v5, vcc_lo
	s_delay_alu instid0(VALU_DEP_3) | instskip(NEXT) | instid1(VALU_DEP_3)
	v_add_co_u32 v2, vcc_lo, v2, v4
	v_cndmask_b32_e64 v3, 0, 1, s2
	s_waitcnt vmcnt(1)
	v_cmp_neq_f32_e64 s2, 0, v8
	v_add_co_ci_u32_e32 v5, vcc_lo, 0, v5, vcc_lo
	s_delay_alu instid0(VALU_DEP_3) | instskip(NEXT) | instid1(VALU_DEP_3)
	v_add_co_u32 v2, vcc_lo, v2, v3
	v_cndmask_b32_e64 v4, 0, 1, s2
	s_waitcnt vmcnt(0)
	v_cmp_neq_f32_e64 s2, 0, v1
	v_add_co_ci_u32_e32 v3, vcc_lo, 0, v5, vcc_lo
	s_delay_alu instid0(VALU_DEP_3) | instskip(SKIP_1) | instid1(VALU_DEP_4)
	v_add_co_u32 v2, vcc_lo, v2, v4
	v_mov_b32_e32 v4, 0
	v_cndmask_b32_e64 v1, 0, 1, s2
	s_delay_alu instid0(VALU_DEP_4) | instskip(SKIP_1) | instid1(VALU_DEP_2)
	v_add_co_ci_u32_e32 v3, vcc_lo, 0, v3, vcc_lo
	s_mov_b32 s2, exec_lo
	v_add_co_u32 v1, vcc_lo, v2, v1
	s_delay_alu instid0(VALU_DEP_2) | instskip(NEXT) | instid1(VALU_DEP_2)
	v_add_co_ci_u32_e32 v2, vcc_lo, 0, v3, vcc_lo
	v_mov_b32_dpp v3, v1 quad_perm:[1,0,3,2] row_mask:0xf bank_mask:0xf
	s_delay_alu instid0(VALU_DEP_1) | instskip(SKIP_1) | instid1(VALU_DEP_4)
	v_add_co_u32 v1, vcc_lo, v1, v3
	v_mov_b32_dpp v3, v4 quad_perm:[1,0,3,2] row_mask:0xf bank_mask:0xf
	v_add_co_ci_u32_e32 v2, vcc_lo, 0, v2, vcc_lo
	s_delay_alu instid0(VALU_DEP_3) | instskip(SKIP_1) | instid1(VALU_DEP_3)
	v_mov_b32_dpp v5, v1 quad_perm:[2,3,0,1] row_mask:0xf bank_mask:0xf
	v_add_co_u32 v1, vcc_lo, 0, v1
	v_add_co_ci_u32_e32 v2, vcc_lo, v3, v2, vcc_lo
	s_delay_alu instid0(VALU_DEP_2) | instskip(NEXT) | instid1(VALU_DEP_2)
	v_add_co_u32 v1, vcc_lo, v1, v5
	v_mov_b32_dpp v3, v2 quad_perm:[2,3,0,1] row_mask:0xf bank_mask:0xf
	v_add_co_ci_u32_e32 v2, vcc_lo, 0, v2, vcc_lo
	s_delay_alu instid0(VALU_DEP_3) | instskip(SKIP_1) | instid1(VALU_DEP_3)
	v_mov_b32_dpp v5, v1 row_ror:4 row_mask:0xf bank_mask:0xf
	v_add_co_u32 v1, vcc_lo, v1, 0
	v_add_co_ci_u32_e32 v2, vcc_lo, v2, v3, vcc_lo
	s_delay_alu instid0(VALU_DEP_2) | instskip(NEXT) | instid1(VALU_DEP_2)
	v_add_co_u32 v1, vcc_lo, v1, v5
	v_mov_b32_dpp v3, v2 row_ror:4 row_mask:0xf bank_mask:0xf
	v_add_co_ci_u32_e32 v2, vcc_lo, 0, v2, vcc_lo
	s_delay_alu instid0(VALU_DEP_3) | instskip(SKIP_1) | instid1(VALU_DEP_3)
	v_mov_b32_dpp v5, v1 row_ror:8 row_mask:0xf bank_mask:0xf
	v_add_co_u32 v1, vcc_lo, v1, 0
	v_add_co_ci_u32_e32 v2, vcc_lo, v2, v3, vcc_lo
	s_delay_alu instid0(VALU_DEP_2) | instskip(NEXT) | instid1(VALU_DEP_2)
	v_add_co_u32 v1, vcc_lo, v1, v5
	v_mov_b32_dpp v3, v2 row_ror:8 row_mask:0xf bank_mask:0xf
	v_add_co_ci_u32_e32 v2, vcc_lo, 0, v2, vcc_lo
	ds_swizzle_b32 v5, v1 offset:swizzle(BROADCAST,32,15)
	v_add_co_u32 v1, vcc_lo, v1, 0
	v_add_co_ci_u32_e32 v2, vcc_lo, v2, v3, vcc_lo
	ds_swizzle_b32 v3, v2 offset:swizzle(BROADCAST,32,15)
	s_waitcnt lgkmcnt(1)
	v_add_co_u32 v1, vcc_lo, v1, v5
	v_add_co_ci_u32_e32 v2, vcc_lo, 0, v2, vcc_lo
	ds_bpermute_b32 v1, v4, v1 offset:124
	s_waitcnt lgkmcnt(1)
	v_add_nc_u32_e32 v2, v3, v2
	v_mbcnt_lo_u32_b32 v3, -1, 0
	ds_bpermute_b32 v2, v4, v2 offset:124
	v_cmpx_eq_u32_e32 0, v3
	s_cbranch_execz .LBB251_612
; %bb.611:
	v_lshrrev_b32_e32 v4, 2, v0
	s_delay_alu instid0(VALU_DEP_1)
	v_and_b32_e32 v4, 24, v4
	s_waitcnt lgkmcnt(0)
	ds_store_b64 v4, v[1:2] offset:224
.LBB251_612:
	s_or_b32 exec_lo, exec_lo, s2
	s_delay_alu instid0(SALU_CYCLE_1)
	s_mov_b32 s2, exec_lo
	s_waitcnt lgkmcnt(0)
	s_barrier
	buffer_gl0_inv
	v_cmpx_gt_u32_e32 32, v0
	s_cbranch_execz .LBB251_614
; %bb.613:
	v_lshl_or_b32 v1, v3, 3, 0xe0
	v_and_b32_e32 v4, 3, v3
	ds_load_b64 v[1:2], v1
	v_cmp_ne_u32_e32 vcc_lo, 3, v4
	v_add_co_ci_u32_e32 v5, vcc_lo, 0, v3, vcc_lo
	v_cmp_gt_u32_e32 vcc_lo, 2, v4
	s_delay_alu instid0(VALU_DEP_2) | instskip(SKIP_1) | instid1(VALU_DEP_1)
	v_lshlrev_b32_e32 v5, 2, v5
	v_cndmask_b32_e64 v4, 0, 1, vcc_lo
	v_lshlrev_b32_e32 v4, 1, v4
	s_waitcnt lgkmcnt(0)
	ds_bpermute_b32 v6, v5, v1
	ds_bpermute_b32 v5, v5, v2
	v_add_lshl_u32 v3, v4, v3, 2
	s_waitcnt lgkmcnt(1)
	v_add_co_u32 v1, vcc_lo, v1, v6
	v_add_co_ci_u32_e32 v2, vcc_lo, 0, v2, vcc_lo
	ds_bpermute_b32 v4, v3, v1
	v_add_co_u32 v1, vcc_lo, 0, v1
	s_waitcnt lgkmcnt(1)
	v_add_co_ci_u32_e32 v2, vcc_lo, v5, v2, vcc_lo
	ds_bpermute_b32 v3, v3, v2
	s_waitcnt lgkmcnt(1)
	v_add_co_u32 v1, vcc_lo, v1, v4
	v_add_co_ci_u32_e32 v2, vcc_lo, 0, v2, vcc_lo
	s_delay_alu instid0(VALU_DEP_2) | instskip(SKIP_1) | instid1(VALU_DEP_2)
	v_add_co_u32 v1, vcc_lo, v1, 0
	s_waitcnt lgkmcnt(0)
	v_add_co_ci_u32_e32 v2, vcc_lo, v2, v3, vcc_lo
.LBB251_614:
	s_or_b32 exec_lo, exec_lo, s2
.LBB251_615:
	v_cmp_eq_u32_e64 s2, 0, v0
	s_branch .LBB251_692
.LBB251_616:
                                        ; implicit-def: $vgpr1_vgpr2
	s_cbranch_execnz .LBB251_693
	s_branch .LBB251_758
.LBB251_617:
                                        ; implicit-def: $vgpr1_vgpr2
	s_cbranch_execnz .LBB251_655
	s_branch .LBB251_692
.LBB251_618:
	s_branch .LBB251_692
.LBB251_619:
                                        ; implicit-def: $vgpr1_vgpr2
	s_cbranch_execz .LBB251_615
; %bb.620:
	s_sub_i32 s10, s20, s4
	s_mov_b32 s2, exec_lo
                                        ; implicit-def: $vgpr1_vgpr2_vgpr3_vgpr4_vgpr5_vgpr6_vgpr7_vgpr8_vgpr9_vgpr10_vgpr11_vgpr12_vgpr13_vgpr14_vgpr15_vgpr16
	v_cmpx_gt_u32_e64 s10, v0
	s_cbranch_execz .LBB251_622
; %bb.621:
	v_dual_mov_b32 v2, 0 :: v_dual_lshlrev_b32 v1, 2, v0
	global_load_b32 v1, v1, s[8:9]
	s_waitcnt vmcnt(0)
	v_cmp_neq_f32_e32 vcc_lo, 0, v1
	v_cndmask_b32_e64 v1, 0, 1, vcc_lo
.LBB251_622:
	s_or_b32 exec_lo, exec_lo, s2
	v_or_b32_e32 v17, 0x80, v0
	s_delay_alu instid0(VALU_DEP_1)
	v_cmp_gt_u32_e32 vcc_lo, s10, v17
	s_and_saveexec_b32 s3, vcc_lo
	s_cbranch_execz .LBB251_624
; %bb.623:
	s_waitcnt lgkmcnt(0)
	v_dual_mov_b32 v4, 0 :: v_dual_lshlrev_b32 v3, 2, v0
	global_load_b32 v3, v3, s[8:9] offset:512
	s_waitcnt vmcnt(0)
	v_cmp_neq_f32_e64 s2, 0, v3
	s_delay_alu instid0(VALU_DEP_1)
	v_cndmask_b32_e64 v3, 0, 1, s2
.LBB251_624:
	s_or_b32 exec_lo, exec_lo, s3
	v_or_b32_e32 v17, 0x100, v0
	s_delay_alu instid0(VALU_DEP_1) | instskip(NEXT) | instid1(VALU_DEP_1)
	v_cmp_gt_u32_e64 s2, s10, v17
	s_and_saveexec_b32 s4, s2
	s_cbranch_execz .LBB251_626
; %bb.625:
	s_waitcnt lgkmcnt(1)
	v_dual_mov_b32 v6, 0 :: v_dual_lshlrev_b32 v5, 2, v0
	global_load_b32 v5, v5, s[8:9] offset:1024
	s_waitcnt vmcnt(0)
	v_cmp_neq_f32_e64 s3, 0, v5
	s_delay_alu instid0(VALU_DEP_1)
	v_cndmask_b32_e64 v5, 0, 1, s3
.LBB251_626:
	s_or_b32 exec_lo, exec_lo, s4
	v_or_b32_e32 v17, 0x180, v0
	s_delay_alu instid0(VALU_DEP_1) | instskip(NEXT) | instid1(VALU_DEP_1)
	v_cmp_gt_u32_e64 s3, s10, v17
	s_and_saveexec_b32 s5, s3
	s_cbranch_execz .LBB251_628
; %bb.627:
	v_dual_mov_b32 v8, 0 :: v_dual_lshlrev_b32 v7, 2, v0
	global_load_b32 v7, v7, s[8:9] offset:1536
	s_waitcnt vmcnt(0)
	v_cmp_neq_f32_e64 s4, 0, v7
	s_delay_alu instid0(VALU_DEP_1)
	v_cndmask_b32_e64 v7, 0, 1, s4
.LBB251_628:
	s_or_b32 exec_lo, exec_lo, s5
	v_or_b32_e32 v17, 0x200, v0
	s_delay_alu instid0(VALU_DEP_1) | instskip(NEXT) | instid1(VALU_DEP_1)
	v_cmp_gt_u32_e64 s4, s10, v17
	s_and_saveexec_b32 s6, s4
	s_cbranch_execz .LBB251_630
; %bb.629:
	v_dual_mov_b32 v10, 0 :: v_dual_lshlrev_b32 v9, 2, v0
	global_load_b32 v9, v9, s[8:9] offset:2048
	s_waitcnt vmcnt(0)
	v_cmp_neq_f32_e64 s5, 0, v9
	s_delay_alu instid0(VALU_DEP_1)
	v_cndmask_b32_e64 v9, 0, 1, s5
.LBB251_630:
	s_or_b32 exec_lo, exec_lo, s6
	v_or_b32_e32 v17, 0x280, v0
	s_delay_alu instid0(VALU_DEP_1) | instskip(NEXT) | instid1(VALU_DEP_1)
	v_cmp_gt_u32_e64 s5, s10, v17
	s_and_saveexec_b32 s7, s5
	s_cbranch_execz .LBB251_632
; %bb.631:
	v_dual_mov_b32 v12, 0 :: v_dual_lshlrev_b32 v11, 2, v0
	global_load_b32 v11, v11, s[8:9] offset:2560
	s_waitcnt vmcnt(0)
	v_cmp_neq_f32_e64 s6, 0, v11
	s_delay_alu instid0(VALU_DEP_1)
	v_cndmask_b32_e64 v11, 0, 1, s6
.LBB251_632:
	s_or_b32 exec_lo, exec_lo, s7
	v_or_b32_e32 v17, 0x300, v0
	s_delay_alu instid0(VALU_DEP_1) | instskip(NEXT) | instid1(VALU_DEP_1)
	v_cmp_gt_u32_e64 s6, s10, v17
	s_and_saveexec_b32 s11, s6
	s_cbranch_execz .LBB251_634
; %bb.633:
	v_dual_mov_b32 v14, 0 :: v_dual_lshlrev_b32 v13, 2, v0
	global_load_b32 v13, v13, s[8:9] offset:3072
	s_waitcnt vmcnt(0)
	v_cmp_neq_f32_e64 s7, 0, v13
	s_delay_alu instid0(VALU_DEP_1)
	v_cndmask_b32_e64 v13, 0, 1, s7
.LBB251_634:
	s_or_b32 exec_lo, exec_lo, s11
	v_or_b32_e32 v17, 0x380, v0
	s_delay_alu instid0(VALU_DEP_1) | instskip(NEXT) | instid1(VALU_DEP_1)
	v_cmp_gt_u32_e64 s7, s10, v17
	s_and_saveexec_b32 s11, s7
	s_cbranch_execz .LBB251_636
; %bb.635:
	v_dual_mov_b32 v16, 0 :: v_dual_lshlrev_b32 v15, 2, v0
	global_load_b32 v15, v15, s[8:9] offset:3584
	s_waitcnt vmcnt(0)
	v_cmp_neq_f32_e64 s8, 0, v15
	s_delay_alu instid0(VALU_DEP_1)
	v_cndmask_b32_e64 v15, 0, 1, s8
.LBB251_636:
	s_or_b32 exec_lo, exec_lo, s11
	s_waitcnt lgkmcnt(0)
	v_dual_cndmask_b32 v3, 0, v3 :: v_dual_cndmask_b32 v4, 0, v4
	v_cndmask_b32_e64 v5, 0, v5, s2
	v_cndmask_b32_e64 v6, 0, v6, s2
	s_min_u32 s2, s10, 0x80
	s_delay_alu instid0(VALU_DEP_3) | instskip(SKIP_2) | instid1(VALU_DEP_3)
	v_add_co_u32 v1, vcc_lo, v3, v1
	v_add_co_ci_u32_e32 v2, vcc_lo, v4, v2, vcc_lo
	v_cndmask_b32_e64 v3, 0, v7, s3
	v_add_co_u32 v1, vcc_lo, v1, v5
	s_delay_alu instid0(VALU_DEP_3) | instskip(SKIP_2) | instid1(VALU_DEP_4)
	v_add_co_ci_u32_e32 v2, vcc_lo, v2, v6, vcc_lo
	v_cndmask_b32_e64 v4, 0, v8, s3
	v_cndmask_b32_e64 v5, 0, v9, s4
	v_add_co_u32 v1, vcc_lo, v1, v3
	v_cndmask_b32_e64 v3, 0, v10, s4
	s_delay_alu instid0(VALU_DEP_4) | instskip(SKIP_1) | instid1(VALU_DEP_4)
	v_add_co_ci_u32_e32 v2, vcc_lo, v2, v4, vcc_lo
	v_cndmask_b32_e64 v4, 0, v11, s5
	v_add_co_u32 v1, vcc_lo, v1, v5
	s_delay_alu instid0(VALU_DEP_3) | instskip(SKIP_2) | instid1(VALU_DEP_4)
	v_add_co_ci_u32_e32 v2, vcc_lo, v2, v3, vcc_lo
	v_cndmask_b32_e64 v5, 0, v12, s5
	v_mbcnt_lo_u32_b32 v3, -1, 0
	v_add_co_u32 v1, vcc_lo, v1, v4
	v_cndmask_b32_e64 v4, 0, v14, s6
	s_delay_alu instid0(VALU_DEP_4) | instskip(NEXT) | instid1(VALU_DEP_4)
	v_add_co_ci_u32_e32 v2, vcc_lo, v2, v5, vcc_lo
	v_cmp_ne_u32_e32 vcc_lo, 31, v3
	v_cndmask_b32_e64 v5, 0, v13, s6
	v_cndmask_b32_e64 v6, 0, v15, s7
	v_add_co_ci_u32_e32 v7, vcc_lo, 0, v3, vcc_lo
	s_delay_alu instid0(VALU_DEP_3) | instskip(SKIP_2) | instid1(VALU_DEP_3)
	v_add_co_u32 v1, vcc_lo, v1, v5
	v_add_co_ci_u32_e32 v2, vcc_lo, v2, v4, vcc_lo
	v_cndmask_b32_e64 v4, 0, v16, s7
	v_add_co_u32 v1, vcc_lo, v1, v6
	v_lshlrev_b32_e32 v5, 2, v7
	s_delay_alu instid0(VALU_DEP_3)
	v_add_co_ci_u32_e32 v2, vcc_lo, v2, v4, vcc_lo
	v_and_b32_e32 v4, 0x60, v0
	ds_bpermute_b32 v7, v5, v1
	ds_bpermute_b32 v6, v5, v2
	v_add_nc_u32_e32 v5, 1, v3
	v_sub_nc_u32_e64 v4, s2, v4 clamp
	s_delay_alu instid0(VALU_DEP_1)
	v_cmp_lt_u32_e32 vcc_lo, v5, v4
	v_mov_b32_e32 v5, v1
	s_and_saveexec_b32 s3, vcc_lo
	s_cbranch_execz .LBB251_638
; %bb.637:
	s_waitcnt lgkmcnt(1)
	v_add_co_u32 v5, vcc_lo, v1, v7
	v_add_co_ci_u32_e32 v2, vcc_lo, 0, v2, vcc_lo
	s_delay_alu instid0(VALU_DEP_2) | instskip(SKIP_1) | instid1(VALU_DEP_2)
	v_add_co_u32 v1, vcc_lo, v5, 0
	s_waitcnt lgkmcnt(0)
	v_add_co_ci_u32_e32 v2, vcc_lo, v2, v6, vcc_lo
.LBB251_638:
	s_or_b32 exec_lo, exec_lo, s3
	v_cmp_gt_u32_e32 vcc_lo, 30, v3
	v_add_nc_u32_e32 v8, 2, v3
	s_mov_b32 s3, exec_lo
	s_waitcnt lgkmcnt(0)
	v_cndmask_b32_e64 v6, 0, 1, vcc_lo
	s_delay_alu instid0(VALU_DEP_1) | instskip(NEXT) | instid1(VALU_DEP_1)
	v_lshlrev_b32_e32 v6, 1, v6
	v_add_lshl_u32 v6, v6, v3, 2
	ds_bpermute_b32 v7, v6, v5
	ds_bpermute_b32 v6, v6, v2
	v_cmpx_lt_u32_e64 v8, v4
	s_cbranch_execz .LBB251_640
; %bb.639:
	s_waitcnt lgkmcnt(1)
	v_add_co_u32 v5, vcc_lo, v1, v7
	v_add_co_ci_u32_e32 v2, vcc_lo, 0, v2, vcc_lo
	s_delay_alu instid0(VALU_DEP_2) | instskip(SKIP_1) | instid1(VALU_DEP_2)
	v_add_co_u32 v1, vcc_lo, 0, v5
	s_waitcnt lgkmcnt(0)
	v_add_co_ci_u32_e32 v2, vcc_lo, v6, v2, vcc_lo
.LBB251_640:
	s_or_b32 exec_lo, exec_lo, s3
	v_cmp_gt_u32_e32 vcc_lo, 28, v3
	v_add_nc_u32_e32 v8, 4, v3
	s_mov_b32 s3, exec_lo
	s_waitcnt lgkmcnt(0)
	v_cndmask_b32_e64 v6, 0, 1, vcc_lo
	s_delay_alu instid0(VALU_DEP_1) | instskip(NEXT) | instid1(VALU_DEP_1)
	v_lshlrev_b32_e32 v6, 2, v6
	v_add_lshl_u32 v6, v6, v3, 2
	ds_bpermute_b32 v7, v6, v5
	ds_bpermute_b32 v6, v6, v2
	v_cmpx_lt_u32_e64 v8, v4
	s_cbranch_execz .LBB251_642
; %bb.641:
	s_waitcnt lgkmcnt(1)
	v_add_co_u32 v5, vcc_lo, v1, v7
	v_add_co_ci_u32_e32 v2, vcc_lo, 0, v2, vcc_lo
	s_delay_alu instid0(VALU_DEP_2) | instskip(SKIP_1) | instid1(VALU_DEP_2)
	v_add_co_u32 v1, vcc_lo, 0, v5
	s_waitcnt lgkmcnt(0)
	v_add_co_ci_u32_e32 v2, vcc_lo, v6, v2, vcc_lo
.LBB251_642:
	s_or_b32 exec_lo, exec_lo, s3
	v_cmp_gt_u32_e32 vcc_lo, 24, v3
	v_add_nc_u32_e32 v8, 8, v3
	s_mov_b32 s3, exec_lo
	s_waitcnt lgkmcnt(0)
	v_cndmask_b32_e64 v6, 0, 1, vcc_lo
	s_delay_alu instid0(VALU_DEP_1) | instskip(NEXT) | instid1(VALU_DEP_1)
	v_lshlrev_b32_e32 v6, 3, v6
	v_add_lshl_u32 v6, v6, v3, 2
	ds_bpermute_b32 v7, v6, v5
	ds_bpermute_b32 v6, v6, v2
	v_cmpx_lt_u32_e64 v8, v4
	s_cbranch_execz .LBB251_644
; %bb.643:
	s_waitcnt lgkmcnt(1)
	v_add_co_u32 v5, vcc_lo, v1, v7
	v_add_co_ci_u32_e32 v2, vcc_lo, 0, v2, vcc_lo
	s_delay_alu instid0(VALU_DEP_2) | instskip(SKIP_1) | instid1(VALU_DEP_2)
	v_add_co_u32 v1, vcc_lo, 0, v5
	s_waitcnt lgkmcnt(0)
	v_add_co_ci_u32_e32 v2, vcc_lo, v6, v2, vcc_lo
.LBB251_644:
	s_or_b32 exec_lo, exec_lo, s3
	v_cmp_gt_u32_e32 vcc_lo, 16, v3
	s_mov_b32 s3, exec_lo
	s_waitcnt lgkmcnt(0)
	v_cndmask_b32_e64 v6, 0, 1, vcc_lo
	s_delay_alu instid0(VALU_DEP_1) | instskip(NEXT) | instid1(VALU_DEP_1)
	v_lshlrev_b32_e32 v6, 4, v6
	v_add_lshl_u32 v7, v6, v3, 2
	ds_bpermute_b32 v6, v7, v5
	ds_bpermute_b32 v5, v7, v2
	v_add_nc_u32_e32 v7, 16, v3
	s_delay_alu instid0(VALU_DEP_1)
	v_cmpx_lt_u32_e64 v7, v4
	s_cbranch_execz .LBB251_646
; %bb.645:
	s_waitcnt lgkmcnt(1)
	v_add_co_u32 v1, vcc_lo, v1, v6
	v_add_co_ci_u32_e32 v2, vcc_lo, 0, v2, vcc_lo
	s_delay_alu instid0(VALU_DEP_2) | instskip(SKIP_1) | instid1(VALU_DEP_2)
	v_add_co_u32 v1, vcc_lo, v1, 0
	s_waitcnt lgkmcnt(0)
	v_add_co_ci_u32_e32 v2, vcc_lo, v2, v5, vcc_lo
.LBB251_646:
	s_or_b32 exec_lo, exec_lo, s3
	s_delay_alu instid0(SALU_CYCLE_1)
	s_mov_b32 s3, exec_lo
	v_cmpx_eq_u32_e32 0, v3
	s_cbranch_execz .LBB251_648
; %bb.647:
	v_lshrrev_b32_e32 v4, 2, v0
	s_delay_alu instid0(VALU_DEP_1)
	v_and_b32_e32 v4, 24, v4
	ds_store_b64 v4, v[1:2] offset:256
.LBB251_648:
	s_or_b32 exec_lo, exec_lo, s3
	s_delay_alu instid0(SALU_CYCLE_1)
	s_mov_b32 s3, exec_lo
	s_waitcnt lgkmcnt(0)
	s_barrier
	buffer_gl0_inv
	v_cmpx_gt_u32_e32 4, v0
	s_cbranch_execz .LBB251_654
; %bb.649:
	v_lshlrev_b32_e32 v1, 3, v3
	s_add_i32 s2, s2, 31
	s_delay_alu instid0(SALU_CYCLE_1) | instskip(SKIP_2) | instid1(VALU_DEP_1)
	s_lshr_b32 s2, s2, 5
	ds_load_b64 v[1:2], v1 offset:256
	v_and_b32_e32 v4, 3, v3
	v_cmp_ne_u32_e32 vcc_lo, 3, v4
	v_add_co_ci_u32_e32 v5, vcc_lo, 0, v3, vcc_lo
	s_delay_alu instid0(VALU_DEP_1) | instskip(SKIP_4) | instid1(VALU_DEP_1)
	v_lshlrev_b32_e32 v5, 2, v5
	s_waitcnt lgkmcnt(0)
	ds_bpermute_b32 v7, v5, v1
	ds_bpermute_b32 v6, v5, v2
	v_add_nc_u32_e32 v5, 1, v4
	v_cmp_gt_u32_e32 vcc_lo, s2, v5
	v_mov_b32_e32 v5, v1
	s_and_saveexec_b32 s4, vcc_lo
	s_cbranch_execz .LBB251_651
; %bb.650:
	s_waitcnt lgkmcnt(1)
	v_add_co_u32 v5, vcc_lo, v1, v7
	v_add_co_ci_u32_e32 v2, vcc_lo, 0, v2, vcc_lo
	s_delay_alu instid0(VALU_DEP_2) | instskip(SKIP_1) | instid1(VALU_DEP_2)
	v_add_co_u32 v1, vcc_lo, 0, v5
	s_waitcnt lgkmcnt(0)
	v_add_co_ci_u32_e32 v2, vcc_lo, v6, v2, vcc_lo
.LBB251_651:
	s_or_b32 exec_lo, exec_lo, s4
	v_cmp_gt_u32_e32 vcc_lo, 2, v4
	v_add_nc_u32_e32 v4, 2, v4
	s_waitcnt lgkmcnt(0)
	v_cndmask_b32_e64 v6, 0, 1, vcc_lo
	s_delay_alu instid0(VALU_DEP_2) | instskip(NEXT) | instid1(VALU_DEP_2)
	v_cmp_gt_u32_e32 vcc_lo, s2, v4
	v_lshlrev_b32_e32 v6, 1, v6
	s_delay_alu instid0(VALU_DEP_1)
	v_add_lshl_u32 v3, v6, v3, 2
	ds_bpermute_b32 v5, v3, v5
	ds_bpermute_b32 v3, v3, v2
	s_and_saveexec_b32 s2, vcc_lo
	s_cbranch_execz .LBB251_653
; %bb.652:
	s_waitcnt lgkmcnt(1)
	v_add_co_u32 v1, vcc_lo, v1, v5
	v_add_co_ci_u32_e32 v2, vcc_lo, 0, v2, vcc_lo
	s_delay_alu instid0(VALU_DEP_2) | instskip(SKIP_1) | instid1(VALU_DEP_2)
	v_add_co_u32 v1, vcc_lo, v1, 0
	s_waitcnt lgkmcnt(0)
	v_add_co_ci_u32_e32 v2, vcc_lo, v2, v3, vcc_lo
.LBB251_653:
	s_or_b32 exec_lo, exec_lo, s2
.LBB251_654:
	s_delay_alu instid0(SALU_CYCLE_1)
	s_or_b32 exec_lo, exec_lo, s3
	v_cmp_eq_u32_e64 s2, 0, v0
	s_branch .LBB251_692
.LBB251_655:
	s_cmp_eq_u32 s26, 4
                                        ; implicit-def: $vgpr1_vgpr2
	s_cbranch_scc0 .LBB251_692
; %bb.656:
	s_mov_b32 s19, 0
	s_lshl_b32 s2, s18, 9
	s_mov_b32 s3, s19
	s_lshr_b64 s[6:7], s[20:21], 9
	s_lshl_b64 s[4:5], s[2:3], 2
	s_delay_alu instid0(SALU_CYCLE_1)
	s_add_u32 s4, s24, s4
	s_addc_u32 s5, s25, s5
	s_cmp_lg_u64 s[6:7], s[18:19]
	s_cbranch_scc0 .LBB251_662
; %bb.657:
	v_lshlrev_b32_e32 v1, 2, v0
	global_load_b32 v2, v1, s[4:5]
	s_waitcnt lgkmcnt(0)
	s_clause 0x2
	global_load_b32 v3, v1, s[4:5] offset:512
	global_load_b32 v4, v1, s[4:5] offset:1024
	;; [unrolled: 1-line block ×3, first 2 shown]
	s_waitcnt vmcnt(3)
	v_cmp_neq_f32_e32 vcc_lo, 0, v2
	v_cndmask_b32_e64 v2, 0, 1, vcc_lo
	s_waitcnt vmcnt(2)
	v_cmp_neq_f32_e32 vcc_lo, 0, v3
	v_cndmask_b32_e64 v3, 0, 1, vcc_lo
	s_waitcnt vmcnt(1)
	v_cmp_neq_f32_e32 vcc_lo, 0, v4
	s_delay_alu instid0(VALU_DEP_2)
	v_add_co_u32 v2, s3, v3, v2
	v_cndmask_b32_e64 v4, 0, 1, vcc_lo
	s_waitcnt vmcnt(0)
	v_cmp_neq_f32_e32 vcc_lo, 0, v1
	v_add_co_ci_u32_e64 v3, null, 0, 0, s3
	s_mov_b32 s3, exec_lo
	v_cndmask_b32_e64 v1, 0, 1, vcc_lo
	v_add_co_u32 v2, vcc_lo, v2, v4
	v_mov_b32_e32 v4, 0
	v_add_co_ci_u32_e32 v3, vcc_lo, 0, v3, vcc_lo
	s_delay_alu instid0(VALU_DEP_3) | instskip(NEXT) | instid1(VALU_DEP_2)
	v_add_co_u32 v1, vcc_lo, v2, v1
	v_add_co_ci_u32_e32 v2, vcc_lo, 0, v3, vcc_lo
	s_delay_alu instid0(VALU_DEP_2) | instskip(NEXT) | instid1(VALU_DEP_1)
	v_mov_b32_dpp v3, v1 quad_perm:[1,0,3,2] row_mask:0xf bank_mask:0xf
	v_add_co_u32 v1, vcc_lo, v1, v3
	v_mov_b32_dpp v3, v4 quad_perm:[1,0,3,2] row_mask:0xf bank_mask:0xf
	s_delay_alu instid0(VALU_DEP_4) | instskip(NEXT) | instid1(VALU_DEP_3)
	v_add_co_ci_u32_e32 v2, vcc_lo, 0, v2, vcc_lo
	v_mov_b32_dpp v5, v1 quad_perm:[2,3,0,1] row_mask:0xf bank_mask:0xf
	v_add_co_u32 v1, vcc_lo, 0, v1
	s_delay_alu instid0(VALU_DEP_3) | instskip(NEXT) | instid1(VALU_DEP_2)
	v_add_co_ci_u32_e32 v2, vcc_lo, v3, v2, vcc_lo
	v_add_co_u32 v1, vcc_lo, v1, v5
	s_delay_alu instid0(VALU_DEP_2) | instskip(SKIP_1) | instid1(VALU_DEP_3)
	v_mov_b32_dpp v3, v2 quad_perm:[2,3,0,1] row_mask:0xf bank_mask:0xf
	v_add_co_ci_u32_e32 v2, vcc_lo, 0, v2, vcc_lo
	v_mov_b32_dpp v5, v1 row_ror:4 row_mask:0xf bank_mask:0xf
	v_add_co_u32 v1, vcc_lo, v1, 0
	s_delay_alu instid0(VALU_DEP_3) | instskip(NEXT) | instid1(VALU_DEP_2)
	v_add_co_ci_u32_e32 v2, vcc_lo, v2, v3, vcc_lo
	v_add_co_u32 v1, vcc_lo, v1, v5
	s_delay_alu instid0(VALU_DEP_2) | instskip(SKIP_1) | instid1(VALU_DEP_3)
	v_mov_b32_dpp v3, v2 row_ror:4 row_mask:0xf bank_mask:0xf
	v_add_co_ci_u32_e32 v2, vcc_lo, 0, v2, vcc_lo
	v_mov_b32_dpp v5, v1 row_ror:8 row_mask:0xf bank_mask:0xf
	v_add_co_u32 v1, vcc_lo, v1, 0
	s_delay_alu instid0(VALU_DEP_3) | instskip(NEXT) | instid1(VALU_DEP_2)
	v_add_co_ci_u32_e32 v2, vcc_lo, v2, v3, vcc_lo
	v_add_co_u32 v1, vcc_lo, v1, v5
	s_delay_alu instid0(VALU_DEP_2)
	v_mov_b32_dpp v3, v2 row_ror:8 row_mask:0xf bank_mask:0xf
	v_add_co_ci_u32_e32 v2, vcc_lo, 0, v2, vcc_lo
	ds_swizzle_b32 v5, v1 offset:swizzle(BROADCAST,32,15)
	v_add_co_u32 v1, vcc_lo, v1, 0
	v_add_co_ci_u32_e32 v2, vcc_lo, v2, v3, vcc_lo
	ds_swizzle_b32 v3, v2 offset:swizzle(BROADCAST,32,15)
	s_waitcnt lgkmcnt(1)
	v_add_co_u32 v1, vcc_lo, v1, v5
	v_add_co_ci_u32_e32 v2, vcc_lo, 0, v2, vcc_lo
	ds_bpermute_b32 v1, v4, v1 offset:124
	s_waitcnt lgkmcnt(1)
	v_add_nc_u32_e32 v2, v3, v2
	v_mbcnt_lo_u32_b32 v3, -1, 0
	ds_bpermute_b32 v2, v4, v2 offset:124
	v_cmpx_eq_u32_e32 0, v3
	s_cbranch_execz .LBB251_659
; %bb.658:
	v_lshrrev_b32_e32 v4, 2, v0
	s_delay_alu instid0(VALU_DEP_1)
	v_and_b32_e32 v4, 24, v4
	s_waitcnt lgkmcnt(0)
	ds_store_b64 v4, v[1:2] offset:160
.LBB251_659:
	s_or_b32 exec_lo, exec_lo, s3
	s_delay_alu instid0(SALU_CYCLE_1)
	s_mov_b32 s3, exec_lo
	s_waitcnt lgkmcnt(0)
	s_barrier
	buffer_gl0_inv
	v_cmpx_gt_u32_e32 32, v0
	s_cbranch_execz .LBB251_661
; %bb.660:
	v_and_b32_e32 v4, 3, v3
	s_delay_alu instid0(VALU_DEP_1) | instskip(SKIP_4) | instid1(VALU_DEP_2)
	v_lshlrev_b32_e32 v1, 3, v4
	v_cmp_ne_u32_e32 vcc_lo, 3, v4
	ds_load_b64 v[1:2], v1 offset:160
	v_add_co_ci_u32_e32 v5, vcc_lo, 0, v3, vcc_lo
	v_cmp_gt_u32_e32 vcc_lo, 2, v4
	v_lshlrev_b32_e32 v5, 2, v5
	v_cndmask_b32_e64 v4, 0, 1, vcc_lo
	s_delay_alu instid0(VALU_DEP_1) | instskip(NEXT) | instid1(VALU_DEP_1)
	v_lshlrev_b32_e32 v4, 1, v4
	v_add_lshl_u32 v3, v4, v3, 2
	s_waitcnt lgkmcnt(0)
	ds_bpermute_b32 v6, v5, v1
	ds_bpermute_b32 v5, v5, v2
	s_waitcnt lgkmcnt(1)
	v_add_co_u32 v1, vcc_lo, v1, v6
	v_add_co_ci_u32_e32 v2, vcc_lo, 0, v2, vcc_lo
	ds_bpermute_b32 v4, v3, v1
	v_add_co_u32 v1, vcc_lo, 0, v1
	s_waitcnt lgkmcnt(1)
	v_add_co_ci_u32_e32 v2, vcc_lo, v5, v2, vcc_lo
	ds_bpermute_b32 v3, v3, v2
	s_waitcnt lgkmcnt(1)
	v_add_co_u32 v1, vcc_lo, v1, v4
	v_add_co_ci_u32_e32 v2, vcc_lo, 0, v2, vcc_lo
	s_delay_alu instid0(VALU_DEP_2) | instskip(SKIP_1) | instid1(VALU_DEP_2)
	v_add_co_u32 v1, vcc_lo, v1, 0
	s_waitcnt lgkmcnt(0)
	v_add_co_ci_u32_e32 v2, vcc_lo, v2, v3, vcc_lo
.LBB251_661:
	s_or_b32 exec_lo, exec_lo, s3
	s_mov_b32 s3, 0
	s_branch .LBB251_663
.LBB251_662:
	s_mov_b32 s3, -1
                                        ; implicit-def: $vgpr1_vgpr2
.LBB251_663:
	s_delay_alu instid0(SALU_CYCLE_1)
	s_and_b32 vcc_lo, exec_lo, s3
	s_cbranch_vccz .LBB251_691
; %bb.664:
	s_sub_i32 s6, s20, s2
	s_mov_b32 s2, exec_lo
                                        ; implicit-def: $vgpr1_vgpr2_vgpr3_vgpr4_vgpr5_vgpr6_vgpr7_vgpr8
	v_cmpx_gt_u32_e64 s6, v0
	s_cbranch_execz .LBB251_666
; %bb.665:
	v_dual_mov_b32 v2, 0 :: v_dual_lshlrev_b32 v1, 2, v0
	global_load_b32 v1, v1, s[4:5]
	s_waitcnt vmcnt(0)
	v_cmp_neq_f32_e32 vcc_lo, 0, v1
	v_cndmask_b32_e64 v1, 0, 1, vcc_lo
.LBB251_666:
	s_or_b32 exec_lo, exec_lo, s2
	v_or_b32_e32 v9, 0x80, v0
	s_delay_alu instid0(VALU_DEP_1)
	v_cmp_gt_u32_e32 vcc_lo, s6, v9
	s_and_saveexec_b32 s3, vcc_lo
	s_cbranch_execz .LBB251_668
; %bb.667:
	s_waitcnt lgkmcnt(0)
	v_dual_mov_b32 v4, 0 :: v_dual_lshlrev_b32 v3, 2, v0
	global_load_b32 v3, v3, s[4:5] offset:512
	s_waitcnt vmcnt(0)
	v_cmp_neq_f32_e64 s2, 0, v3
	s_delay_alu instid0(VALU_DEP_1)
	v_cndmask_b32_e64 v3, 0, 1, s2
.LBB251_668:
	s_or_b32 exec_lo, exec_lo, s3
	v_or_b32_e32 v9, 0x100, v0
	s_delay_alu instid0(VALU_DEP_1) | instskip(NEXT) | instid1(VALU_DEP_1)
	v_cmp_gt_u32_e64 s2, s6, v9
	s_and_saveexec_b32 s7, s2
	s_cbranch_execz .LBB251_670
; %bb.669:
	s_waitcnt lgkmcnt(1)
	v_dual_mov_b32 v6, 0 :: v_dual_lshlrev_b32 v5, 2, v0
	global_load_b32 v5, v5, s[4:5] offset:1024
	s_waitcnt vmcnt(0)
	v_cmp_neq_f32_e64 s3, 0, v5
	s_delay_alu instid0(VALU_DEP_1)
	v_cndmask_b32_e64 v5, 0, 1, s3
.LBB251_670:
	s_or_b32 exec_lo, exec_lo, s7
	v_or_b32_e32 v9, 0x180, v0
	s_delay_alu instid0(VALU_DEP_1) | instskip(NEXT) | instid1(VALU_DEP_1)
	v_cmp_gt_u32_e64 s3, s6, v9
	s_and_saveexec_b32 s7, s3
	s_cbranch_execz .LBB251_672
; %bb.671:
	v_dual_mov_b32 v8, 0 :: v_dual_lshlrev_b32 v7, 2, v0
	global_load_b32 v7, v7, s[4:5] offset:1536
	s_waitcnt vmcnt(0)
	v_cmp_neq_f32_e64 s4, 0, v7
	s_delay_alu instid0(VALU_DEP_1)
	v_cndmask_b32_e64 v7, 0, 1, s4
.LBB251_672:
	s_or_b32 exec_lo, exec_lo, s7
	s_waitcnt lgkmcnt(0)
	v_dual_cndmask_b32 v9, 0, v3 :: v_dual_cndmask_b32 v4, 0, v4
	v_mbcnt_lo_u32_b32 v3, -1, 0
	v_cndmask_b32_e64 v5, 0, v5, s2
	s_delay_alu instid0(VALU_DEP_3) | instskip(NEXT) | instid1(VALU_DEP_4)
	v_add_co_u32 v1, vcc_lo, v9, v1
	v_add_co_ci_u32_e32 v2, vcc_lo, v4, v2, vcc_lo
	s_delay_alu instid0(VALU_DEP_4)
	v_cmp_ne_u32_e32 vcc_lo, 31, v3
	v_cndmask_b32_e64 v4, 0, v6, s2
	v_cndmask_b32_e64 v6, 0, v7, s3
	s_min_u32 s2, s6, 0x80
	v_add_co_ci_u32_e32 v7, vcc_lo, 0, v3, vcc_lo
	v_add_co_u32 v1, vcc_lo, v1, v5
	v_add_co_ci_u32_e32 v2, vcc_lo, v2, v4, vcc_lo
	v_cndmask_b32_e64 v4, 0, v8, s3
	s_delay_alu instid0(VALU_DEP_3) | instskip(SKIP_1) | instid1(VALU_DEP_3)
	v_add_co_u32 v1, vcc_lo, v1, v6
	v_lshlrev_b32_e32 v5, 2, v7
	v_add_co_ci_u32_e32 v2, vcc_lo, v2, v4, vcc_lo
	v_and_b32_e32 v4, 0x60, v0
	ds_bpermute_b32 v7, v5, v1
	ds_bpermute_b32 v6, v5, v2
	v_add_nc_u32_e32 v5, 1, v3
	v_sub_nc_u32_e64 v4, s2, v4 clamp
	s_delay_alu instid0(VALU_DEP_1)
	v_cmp_lt_u32_e32 vcc_lo, v5, v4
	v_mov_b32_e32 v5, v1
	s_and_saveexec_b32 s3, vcc_lo
	s_cbranch_execz .LBB251_674
; %bb.673:
	s_waitcnt lgkmcnt(1)
	v_add_co_u32 v5, vcc_lo, v1, v7
	v_add_co_ci_u32_e32 v2, vcc_lo, 0, v2, vcc_lo
	s_delay_alu instid0(VALU_DEP_2) | instskip(SKIP_1) | instid1(VALU_DEP_2)
	v_add_co_u32 v1, vcc_lo, v5, 0
	s_waitcnt lgkmcnt(0)
	v_add_co_ci_u32_e32 v2, vcc_lo, v2, v6, vcc_lo
.LBB251_674:
	s_or_b32 exec_lo, exec_lo, s3
	v_cmp_gt_u32_e32 vcc_lo, 30, v3
	v_add_nc_u32_e32 v8, 2, v3
	s_mov_b32 s3, exec_lo
	s_waitcnt lgkmcnt(0)
	v_cndmask_b32_e64 v6, 0, 1, vcc_lo
	s_delay_alu instid0(VALU_DEP_1) | instskip(NEXT) | instid1(VALU_DEP_1)
	v_lshlrev_b32_e32 v6, 1, v6
	v_add_lshl_u32 v6, v6, v3, 2
	ds_bpermute_b32 v7, v6, v5
	ds_bpermute_b32 v6, v6, v2
	v_cmpx_lt_u32_e64 v8, v4
	s_cbranch_execz .LBB251_676
; %bb.675:
	s_waitcnt lgkmcnt(1)
	v_add_co_u32 v5, vcc_lo, v1, v7
	v_add_co_ci_u32_e32 v2, vcc_lo, 0, v2, vcc_lo
	s_delay_alu instid0(VALU_DEP_2) | instskip(SKIP_1) | instid1(VALU_DEP_2)
	v_add_co_u32 v1, vcc_lo, 0, v5
	s_waitcnt lgkmcnt(0)
	v_add_co_ci_u32_e32 v2, vcc_lo, v6, v2, vcc_lo
.LBB251_676:
	s_or_b32 exec_lo, exec_lo, s3
	v_cmp_gt_u32_e32 vcc_lo, 28, v3
	v_add_nc_u32_e32 v8, 4, v3
	s_mov_b32 s3, exec_lo
	s_waitcnt lgkmcnt(0)
	v_cndmask_b32_e64 v6, 0, 1, vcc_lo
	s_delay_alu instid0(VALU_DEP_1) | instskip(NEXT) | instid1(VALU_DEP_1)
	v_lshlrev_b32_e32 v6, 2, v6
	v_add_lshl_u32 v6, v6, v3, 2
	ds_bpermute_b32 v7, v6, v5
	ds_bpermute_b32 v6, v6, v2
	v_cmpx_lt_u32_e64 v8, v4
	;; [unrolled: 22-line block ×3, first 2 shown]
	s_cbranch_execz .LBB251_680
; %bb.679:
	s_waitcnt lgkmcnt(1)
	v_add_co_u32 v5, vcc_lo, v1, v7
	v_add_co_ci_u32_e32 v2, vcc_lo, 0, v2, vcc_lo
	s_delay_alu instid0(VALU_DEP_2) | instskip(SKIP_1) | instid1(VALU_DEP_2)
	v_add_co_u32 v1, vcc_lo, 0, v5
	s_waitcnt lgkmcnt(0)
	v_add_co_ci_u32_e32 v2, vcc_lo, v6, v2, vcc_lo
.LBB251_680:
	s_or_b32 exec_lo, exec_lo, s3
	v_cmp_gt_u32_e32 vcc_lo, 16, v3
	s_mov_b32 s3, exec_lo
	s_waitcnt lgkmcnt(0)
	v_cndmask_b32_e64 v6, 0, 1, vcc_lo
	s_delay_alu instid0(VALU_DEP_1) | instskip(NEXT) | instid1(VALU_DEP_1)
	v_lshlrev_b32_e32 v6, 4, v6
	v_add_lshl_u32 v7, v6, v3, 2
	ds_bpermute_b32 v6, v7, v5
	ds_bpermute_b32 v5, v7, v2
	v_add_nc_u32_e32 v7, 16, v3
	s_delay_alu instid0(VALU_DEP_1)
	v_cmpx_lt_u32_e64 v7, v4
	s_cbranch_execz .LBB251_682
; %bb.681:
	s_waitcnt lgkmcnt(1)
	v_add_co_u32 v1, vcc_lo, v1, v6
	v_add_co_ci_u32_e32 v2, vcc_lo, 0, v2, vcc_lo
	s_delay_alu instid0(VALU_DEP_2) | instskip(SKIP_1) | instid1(VALU_DEP_2)
	v_add_co_u32 v1, vcc_lo, v1, 0
	s_waitcnt lgkmcnt(0)
	v_add_co_ci_u32_e32 v2, vcc_lo, v2, v5, vcc_lo
.LBB251_682:
	s_or_b32 exec_lo, exec_lo, s3
	s_delay_alu instid0(SALU_CYCLE_1)
	s_mov_b32 s3, exec_lo
	v_cmpx_eq_u32_e32 0, v3
	s_cbranch_execz .LBB251_684
; %bb.683:
	v_lshrrev_b32_e32 v4, 2, v0
	s_delay_alu instid0(VALU_DEP_1)
	v_and_b32_e32 v4, 24, v4
	ds_store_b64 v4, v[1:2] offset:256
.LBB251_684:
	s_or_b32 exec_lo, exec_lo, s3
	s_delay_alu instid0(SALU_CYCLE_1)
	s_mov_b32 s3, exec_lo
	s_waitcnt lgkmcnt(0)
	s_barrier
	buffer_gl0_inv
	v_cmpx_gt_u32_e32 4, v0
	s_cbranch_execz .LBB251_690
; %bb.685:
	v_lshlrev_b32_e32 v1, 3, v3
	s_add_i32 s2, s2, 31
	s_delay_alu instid0(SALU_CYCLE_1) | instskip(SKIP_2) | instid1(VALU_DEP_1)
	s_lshr_b32 s2, s2, 5
	ds_load_b64 v[1:2], v1 offset:256
	v_and_b32_e32 v4, 3, v3
	v_cmp_ne_u32_e32 vcc_lo, 3, v4
	v_add_co_ci_u32_e32 v5, vcc_lo, 0, v3, vcc_lo
	s_delay_alu instid0(VALU_DEP_1) | instskip(SKIP_4) | instid1(VALU_DEP_1)
	v_lshlrev_b32_e32 v5, 2, v5
	s_waitcnt lgkmcnt(0)
	ds_bpermute_b32 v7, v5, v1
	ds_bpermute_b32 v6, v5, v2
	v_add_nc_u32_e32 v5, 1, v4
	v_cmp_gt_u32_e32 vcc_lo, s2, v5
	v_mov_b32_e32 v5, v1
	s_and_saveexec_b32 s4, vcc_lo
	s_cbranch_execz .LBB251_687
; %bb.686:
	s_waitcnt lgkmcnt(1)
	v_add_co_u32 v5, vcc_lo, v1, v7
	v_add_co_ci_u32_e32 v2, vcc_lo, 0, v2, vcc_lo
	s_delay_alu instid0(VALU_DEP_2) | instskip(SKIP_1) | instid1(VALU_DEP_2)
	v_add_co_u32 v1, vcc_lo, 0, v5
	s_waitcnt lgkmcnt(0)
	v_add_co_ci_u32_e32 v2, vcc_lo, v6, v2, vcc_lo
.LBB251_687:
	s_or_b32 exec_lo, exec_lo, s4
	v_cmp_gt_u32_e32 vcc_lo, 2, v4
	v_add_nc_u32_e32 v4, 2, v4
	s_waitcnt lgkmcnt(0)
	v_cndmask_b32_e64 v6, 0, 1, vcc_lo
	s_delay_alu instid0(VALU_DEP_2) | instskip(NEXT) | instid1(VALU_DEP_2)
	v_cmp_gt_u32_e32 vcc_lo, s2, v4
	v_lshlrev_b32_e32 v6, 1, v6
	s_delay_alu instid0(VALU_DEP_1)
	v_add_lshl_u32 v3, v6, v3, 2
	ds_bpermute_b32 v5, v3, v5
	ds_bpermute_b32 v3, v3, v2
	s_and_saveexec_b32 s2, vcc_lo
	s_cbranch_execz .LBB251_689
; %bb.688:
	s_waitcnt lgkmcnt(1)
	v_add_co_u32 v1, vcc_lo, v1, v5
	v_add_co_ci_u32_e32 v2, vcc_lo, 0, v2, vcc_lo
	s_delay_alu instid0(VALU_DEP_2) | instskip(SKIP_1) | instid1(VALU_DEP_2)
	v_add_co_u32 v1, vcc_lo, v1, 0
	s_waitcnt lgkmcnt(0)
	v_add_co_ci_u32_e32 v2, vcc_lo, v2, v3, vcc_lo
.LBB251_689:
	s_or_b32 exec_lo, exec_lo, s2
.LBB251_690:
	s_delay_alu instid0(SALU_CYCLE_1)
	s_or_b32 exec_lo, exec_lo, s3
.LBB251_691:
	v_cmp_eq_u32_e64 s2, 0, v0
.LBB251_692:
	s_branch .LBB251_758
.LBB251_693:
	s_cmp_gt_i32 s26, 1
	s_cbranch_scc0 .LBB251_702
; %bb.694:
	s_cmp_eq_u32 s26, 2
                                        ; implicit-def: $vgpr1_vgpr2
	s_cbranch_scc0 .LBB251_703
; %bb.695:
	s_mov_b32 s19, 0
	s_lshl_b32 s4, s18, 8
	s_mov_b32 s5, s19
	s_lshr_b64 s[6:7], s[20:21], 8
	s_lshl_b64 s[2:3], s[4:5], 2
	s_delay_alu instid0(SALU_CYCLE_1)
	s_add_u32 s2, s24, s2
	s_addc_u32 s3, s25, s3
	s_cmp_lg_u64 s[6:7], s[18:19]
	s_cbranch_scc0 .LBB251_704
; %bb.696:
	v_dual_mov_b32 v4, 0 :: v_dual_lshlrev_b32 v1, 2, v0
	s_clause 0x1
	global_load_b32 v2, v1, s[2:3]
	global_load_b32 v1, v1, s[2:3] offset:512
	s_waitcnt vmcnt(1)
	v_cmp_neq_f32_e32 vcc_lo, 0, v2
	v_cndmask_b32_e64 v2, 0, 1, vcc_lo
	s_waitcnt vmcnt(0)
	v_cmp_neq_f32_e32 vcc_lo, 0, v1
	v_cndmask_b32_e64 v1, 0, 1, vcc_lo
	s_delay_alu instid0(VALU_DEP_1) | instskip(NEXT) | instid1(VALU_DEP_1)
	v_add_co_u32 v1, s5, v1, v2
	v_add_co_ci_u32_e64 v2, null, 0, 0, s5
	s_mov_b32 s5, exec_lo
	s_waitcnt lgkmcnt(0)
	s_delay_alu instid0(VALU_DEP_2) | instskip(NEXT) | instid1(VALU_DEP_1)
	v_mov_b32_dpp v3, v1 quad_perm:[1,0,3,2] row_mask:0xf bank_mask:0xf
	v_add_co_u32 v1, vcc_lo, v1, v3
	v_mov_b32_dpp v3, v4 quad_perm:[1,0,3,2] row_mask:0xf bank_mask:0xf
	v_add_co_ci_u32_e32 v2, vcc_lo, 0, v2, vcc_lo
	s_delay_alu instid0(VALU_DEP_3) | instskip(SKIP_1) | instid1(VALU_DEP_3)
	v_mov_b32_dpp v5, v1 quad_perm:[2,3,0,1] row_mask:0xf bank_mask:0xf
	v_add_co_u32 v1, vcc_lo, 0, v1
	v_add_co_ci_u32_e32 v2, vcc_lo, v3, v2, vcc_lo
	s_delay_alu instid0(VALU_DEP_2) | instskip(NEXT) | instid1(VALU_DEP_2)
	v_add_co_u32 v1, vcc_lo, v1, v5
	v_mov_b32_dpp v3, v2 quad_perm:[2,3,0,1] row_mask:0xf bank_mask:0xf
	v_add_co_ci_u32_e32 v2, vcc_lo, 0, v2, vcc_lo
	s_delay_alu instid0(VALU_DEP_3) | instskip(SKIP_1) | instid1(VALU_DEP_3)
	v_mov_b32_dpp v5, v1 row_ror:4 row_mask:0xf bank_mask:0xf
	v_add_co_u32 v1, vcc_lo, v1, 0
	v_add_co_ci_u32_e32 v2, vcc_lo, v2, v3, vcc_lo
	s_delay_alu instid0(VALU_DEP_2) | instskip(NEXT) | instid1(VALU_DEP_2)
	v_add_co_u32 v1, vcc_lo, v1, v5
	v_mov_b32_dpp v3, v2 row_ror:4 row_mask:0xf bank_mask:0xf
	v_add_co_ci_u32_e32 v2, vcc_lo, 0, v2, vcc_lo
	s_delay_alu instid0(VALU_DEP_3) | instskip(SKIP_1) | instid1(VALU_DEP_3)
	v_mov_b32_dpp v5, v1 row_ror:8 row_mask:0xf bank_mask:0xf
	v_add_co_u32 v1, vcc_lo, v1, 0
	v_add_co_ci_u32_e32 v2, vcc_lo, v2, v3, vcc_lo
	s_delay_alu instid0(VALU_DEP_2) | instskip(NEXT) | instid1(VALU_DEP_2)
	v_add_co_u32 v1, vcc_lo, v1, v5
	v_mov_b32_dpp v3, v2 row_ror:8 row_mask:0xf bank_mask:0xf
	v_add_co_ci_u32_e32 v2, vcc_lo, 0, v2, vcc_lo
	ds_swizzle_b32 v5, v1 offset:swizzle(BROADCAST,32,15)
	v_add_co_u32 v1, vcc_lo, v1, 0
	v_add_co_ci_u32_e32 v2, vcc_lo, v2, v3, vcc_lo
	ds_swizzle_b32 v3, v2 offset:swizzle(BROADCAST,32,15)
	s_waitcnt lgkmcnt(1)
	v_add_co_u32 v1, vcc_lo, v1, v5
	v_add_co_ci_u32_e32 v2, vcc_lo, 0, v2, vcc_lo
	ds_bpermute_b32 v1, v4, v1 offset:124
	s_waitcnt lgkmcnt(1)
	v_add_nc_u32_e32 v2, v3, v2
	v_mbcnt_lo_u32_b32 v3, -1, 0
	ds_bpermute_b32 v2, v4, v2 offset:124
	v_cmpx_eq_u32_e32 0, v3
	s_cbranch_execz .LBB251_698
; %bb.697:
	v_lshrrev_b32_e32 v4, 2, v0
	s_delay_alu instid0(VALU_DEP_1)
	v_and_b32_e32 v4, 24, v4
	s_waitcnt lgkmcnt(0)
	ds_store_b64 v4, v[1:2] offset:96
.LBB251_698:
	s_or_b32 exec_lo, exec_lo, s5
	s_delay_alu instid0(SALU_CYCLE_1)
	s_mov_b32 s5, exec_lo
	s_waitcnt lgkmcnt(0)
	s_barrier
	buffer_gl0_inv
	v_cmpx_gt_u32_e32 32, v0
	s_cbranch_execz .LBB251_700
; %bb.699:
	v_and_b32_e32 v4, 3, v3
	s_delay_alu instid0(VALU_DEP_1) | instskip(SKIP_4) | instid1(VALU_DEP_2)
	v_lshlrev_b32_e32 v1, 3, v4
	v_cmp_ne_u32_e32 vcc_lo, 3, v4
	ds_load_b64 v[1:2], v1 offset:96
	v_add_co_ci_u32_e32 v5, vcc_lo, 0, v3, vcc_lo
	v_cmp_gt_u32_e32 vcc_lo, 2, v4
	v_lshlrev_b32_e32 v5, 2, v5
	v_cndmask_b32_e64 v4, 0, 1, vcc_lo
	s_delay_alu instid0(VALU_DEP_1) | instskip(NEXT) | instid1(VALU_DEP_1)
	v_lshlrev_b32_e32 v4, 1, v4
	v_add_lshl_u32 v3, v4, v3, 2
	s_waitcnt lgkmcnt(0)
	ds_bpermute_b32 v6, v5, v1
	ds_bpermute_b32 v5, v5, v2
	s_waitcnt lgkmcnt(1)
	v_add_co_u32 v1, vcc_lo, v1, v6
	v_add_co_ci_u32_e32 v2, vcc_lo, 0, v2, vcc_lo
	ds_bpermute_b32 v4, v3, v1
	v_add_co_u32 v1, vcc_lo, 0, v1
	s_waitcnt lgkmcnt(1)
	v_add_co_ci_u32_e32 v2, vcc_lo, v5, v2, vcc_lo
	ds_bpermute_b32 v3, v3, v2
	s_waitcnt lgkmcnt(1)
	v_add_co_u32 v1, vcc_lo, v1, v4
	v_add_co_ci_u32_e32 v2, vcc_lo, 0, v2, vcc_lo
	s_delay_alu instid0(VALU_DEP_2) | instskip(SKIP_1) | instid1(VALU_DEP_2)
	v_add_co_u32 v1, vcc_lo, v1, 0
	s_waitcnt lgkmcnt(0)
	v_add_co_ci_u32_e32 v2, vcc_lo, v2, v3, vcc_lo
.LBB251_700:
	s_or_b32 exec_lo, exec_lo, s5
.LBB251_701:
	v_cmp_eq_u32_e64 s2, 0, v0
	s_branch .LBB251_758
.LBB251_702:
                                        ; implicit-def: $vgpr1_vgpr2
	s_cbranch_execnz .LBB251_728
	s_branch .LBB251_758
.LBB251_703:
	s_branch .LBB251_758
.LBB251_704:
                                        ; implicit-def: $vgpr1_vgpr2
	s_cbranch_execz .LBB251_701
; %bb.705:
	s_sub_i32 s4, s20, s4
	s_mov_b32 s5, exec_lo
                                        ; implicit-def: $vgpr1_vgpr2_vgpr3_vgpr4
	v_cmpx_gt_u32_e64 s4, v0
	s_cbranch_execz .LBB251_707
; %bb.706:
	v_dual_mov_b32 v2, 0 :: v_dual_lshlrev_b32 v1, 2, v0
	global_load_b32 v1, v1, s[2:3]
	s_waitcnt vmcnt(0)
	v_cmp_neq_f32_e32 vcc_lo, 0, v1
	v_cndmask_b32_e64 v1, 0, 1, vcc_lo
.LBB251_707:
	s_or_b32 exec_lo, exec_lo, s5
	s_waitcnt lgkmcnt(1)
	v_or_b32_e32 v5, 0x80, v0
	s_delay_alu instid0(VALU_DEP_1)
	v_cmp_gt_u32_e32 vcc_lo, s4, v5
	s_and_saveexec_b32 s5, vcc_lo
	s_cbranch_execz .LBB251_709
; %bb.708:
	s_waitcnt lgkmcnt(0)
	v_dual_mov_b32 v4, 0 :: v_dual_lshlrev_b32 v3, 2, v0
	global_load_b32 v3, v3, s[2:3] offset:512
	s_waitcnt vmcnt(0)
	v_cmp_neq_f32_e64 s2, 0, v3
	s_delay_alu instid0(VALU_DEP_1)
	v_cndmask_b32_e64 v3, 0, 1, s2
.LBB251_709:
	s_or_b32 exec_lo, exec_lo, s5
	v_mbcnt_lo_u32_b32 v5, -1, 0
	s_waitcnt lgkmcnt(0)
	s_delay_alu instid0(VALU_DEP_2) | instskip(NEXT) | instid1(VALU_DEP_2)
	v_dual_cndmask_b32 v3, 0, v3 :: v_dual_cndmask_b32 v4, 0, v4
	v_cmp_ne_u32_e64 s2, 31, v5
	s_delay_alu instid0(VALU_DEP_2) | instskip(NEXT) | instid1(VALU_DEP_3)
	v_add_co_u32 v1, vcc_lo, v3, v1
	v_add_co_ci_u32_e32 v2, vcc_lo, v4, v2, vcc_lo
	s_delay_alu instid0(VALU_DEP_3) | instskip(SKIP_3) | instid1(VALU_DEP_3)
	v_add_co_ci_u32_e64 v6, s2, 0, v5, s2
	v_and_b32_e32 v3, 0x60, v0
	s_min_u32 s2, s4, 0x80
	v_add_nc_u32_e32 v4, 1, v5
	v_lshlrev_b32_e32 v6, 2, v6
	s_delay_alu instid0(VALU_DEP_3)
	v_sub_nc_u32_e64 v3, s2, v3 clamp
	ds_bpermute_b32 v7, v6, v1
	ds_bpermute_b32 v6, v6, v2
	v_cmp_lt_u32_e32 vcc_lo, v4, v3
	v_mov_b32_e32 v4, v1
	s_and_saveexec_b32 s3, vcc_lo
	s_cbranch_execz .LBB251_711
; %bb.710:
	s_waitcnt lgkmcnt(1)
	v_add_co_u32 v4, vcc_lo, v1, v7
	v_add_co_ci_u32_e32 v2, vcc_lo, 0, v2, vcc_lo
	s_delay_alu instid0(VALU_DEP_2) | instskip(SKIP_1) | instid1(VALU_DEP_2)
	v_add_co_u32 v1, vcc_lo, 0, v4
	s_waitcnt lgkmcnt(0)
	v_add_co_ci_u32_e32 v2, vcc_lo, v6, v2, vcc_lo
.LBB251_711:
	s_or_b32 exec_lo, exec_lo, s3
	v_cmp_gt_u32_e32 vcc_lo, 30, v5
	v_add_nc_u32_e32 v8, 2, v5
	s_mov_b32 s3, exec_lo
	s_waitcnt lgkmcnt(0)
	v_cndmask_b32_e64 v6, 0, 1, vcc_lo
	s_delay_alu instid0(VALU_DEP_1) | instskip(NEXT) | instid1(VALU_DEP_1)
	v_lshlrev_b32_e32 v6, 1, v6
	v_add_lshl_u32 v6, v6, v5, 2
	ds_bpermute_b32 v7, v6, v4
	ds_bpermute_b32 v6, v6, v2
	v_cmpx_lt_u32_e64 v8, v3
	s_cbranch_execz .LBB251_713
; %bb.712:
	s_waitcnt lgkmcnt(1)
	v_add_co_u32 v4, vcc_lo, v1, v7
	v_add_co_ci_u32_e32 v2, vcc_lo, 0, v2, vcc_lo
	s_delay_alu instid0(VALU_DEP_2) | instskip(SKIP_1) | instid1(VALU_DEP_2)
	v_add_co_u32 v1, vcc_lo, 0, v4
	s_waitcnt lgkmcnt(0)
	v_add_co_ci_u32_e32 v2, vcc_lo, v6, v2, vcc_lo
.LBB251_713:
	s_or_b32 exec_lo, exec_lo, s3
	v_cmp_gt_u32_e32 vcc_lo, 28, v5
	v_add_nc_u32_e32 v8, 4, v5
	s_mov_b32 s3, exec_lo
	s_waitcnt lgkmcnt(0)
	v_cndmask_b32_e64 v6, 0, 1, vcc_lo
	s_delay_alu instid0(VALU_DEP_1) | instskip(NEXT) | instid1(VALU_DEP_1)
	v_lshlrev_b32_e32 v6, 2, v6
	v_add_lshl_u32 v6, v6, v5, 2
	ds_bpermute_b32 v7, v6, v4
	ds_bpermute_b32 v6, v6, v2
	v_cmpx_lt_u32_e64 v8, v3
	;; [unrolled: 22-line block ×3, first 2 shown]
	s_cbranch_execz .LBB251_717
; %bb.716:
	s_waitcnt lgkmcnt(1)
	v_add_co_u32 v4, vcc_lo, v1, v7
	v_add_co_ci_u32_e32 v2, vcc_lo, 0, v2, vcc_lo
	s_delay_alu instid0(VALU_DEP_2) | instskip(SKIP_1) | instid1(VALU_DEP_2)
	v_add_co_u32 v1, vcc_lo, 0, v4
	s_waitcnt lgkmcnt(0)
	v_add_co_ci_u32_e32 v2, vcc_lo, v6, v2, vcc_lo
.LBB251_717:
	s_or_b32 exec_lo, exec_lo, s3
	v_cmp_gt_u32_e32 vcc_lo, 16, v5
	s_mov_b32 s3, exec_lo
	s_waitcnt lgkmcnt(0)
	v_cndmask_b32_e64 v6, 0, 1, vcc_lo
	s_delay_alu instid0(VALU_DEP_1) | instskip(NEXT) | instid1(VALU_DEP_1)
	v_lshlrev_b32_e32 v6, 4, v6
	v_add_lshl_u32 v7, v6, v5, 2
	ds_bpermute_b32 v6, v7, v4
	ds_bpermute_b32 v4, v7, v2
	v_add_nc_u32_e32 v7, 16, v5
	s_delay_alu instid0(VALU_DEP_1)
	v_cmpx_lt_u32_e64 v7, v3
	s_cbranch_execz .LBB251_719
; %bb.718:
	s_waitcnt lgkmcnt(1)
	v_add_co_u32 v1, vcc_lo, v1, v6
	v_add_co_ci_u32_e32 v2, vcc_lo, 0, v2, vcc_lo
	s_delay_alu instid0(VALU_DEP_2) | instskip(SKIP_1) | instid1(VALU_DEP_2)
	v_add_co_u32 v1, vcc_lo, v1, 0
	s_waitcnt lgkmcnt(0)
	v_add_co_ci_u32_e32 v2, vcc_lo, v2, v4, vcc_lo
.LBB251_719:
	s_or_b32 exec_lo, exec_lo, s3
	s_delay_alu instid0(SALU_CYCLE_1)
	s_mov_b32 s3, exec_lo
	v_cmpx_eq_u32_e32 0, v5
	s_cbranch_execz .LBB251_721
; %bb.720:
	v_lshrrev_b32_e32 v3, 2, v0
	s_delay_alu instid0(VALU_DEP_1)
	v_and_b32_e32 v3, 24, v3
	ds_store_b64 v3, v[1:2] offset:256
.LBB251_721:
	s_or_b32 exec_lo, exec_lo, s3
	s_delay_alu instid0(SALU_CYCLE_1)
	s_mov_b32 s3, exec_lo
	s_waitcnt lgkmcnt(0)
	s_barrier
	buffer_gl0_inv
	v_cmpx_gt_u32_e32 4, v0
	s_cbranch_execz .LBB251_727
; %bb.722:
	v_lshlrev_b32_e32 v1, 3, v5
	s_add_i32 s2, s2, 31
	s_delay_alu instid0(SALU_CYCLE_1) | instskip(SKIP_2) | instid1(VALU_DEP_1)
	s_lshr_b32 s2, s2, 5
	ds_load_b64 v[1:2], v1 offset:256
	v_and_b32_e32 v3, 3, v5
	v_cmp_ne_u32_e32 vcc_lo, 3, v3
	v_add_co_ci_u32_e32 v4, vcc_lo, 0, v5, vcc_lo
	s_delay_alu instid0(VALU_DEP_1) | instskip(SKIP_4) | instid1(VALU_DEP_1)
	v_lshlrev_b32_e32 v4, 2, v4
	s_waitcnt lgkmcnt(0)
	ds_bpermute_b32 v7, v4, v1
	ds_bpermute_b32 v6, v4, v2
	v_add_nc_u32_e32 v4, 1, v3
	v_cmp_gt_u32_e32 vcc_lo, s2, v4
	v_mov_b32_e32 v4, v1
	s_and_saveexec_b32 s4, vcc_lo
	s_cbranch_execz .LBB251_724
; %bb.723:
	s_waitcnt lgkmcnt(1)
	v_add_co_u32 v4, vcc_lo, v1, v7
	v_add_co_ci_u32_e32 v2, vcc_lo, 0, v2, vcc_lo
	s_delay_alu instid0(VALU_DEP_2) | instskip(SKIP_1) | instid1(VALU_DEP_2)
	v_add_co_u32 v1, vcc_lo, 0, v4
	s_waitcnt lgkmcnt(0)
	v_add_co_ci_u32_e32 v2, vcc_lo, v6, v2, vcc_lo
.LBB251_724:
	s_or_b32 exec_lo, exec_lo, s4
	v_cmp_gt_u32_e32 vcc_lo, 2, v3
	v_add_nc_u32_e32 v3, 2, v3
	s_waitcnt lgkmcnt(0)
	v_cndmask_b32_e64 v6, 0, 1, vcc_lo
	s_delay_alu instid0(VALU_DEP_2) | instskip(NEXT) | instid1(VALU_DEP_2)
	v_cmp_gt_u32_e32 vcc_lo, s2, v3
	v_lshlrev_b32_e32 v6, 1, v6
	s_delay_alu instid0(VALU_DEP_1)
	v_add_lshl_u32 v6, v6, v5, 2
	ds_bpermute_b32 v5, v6, v4
	ds_bpermute_b32 v4, v6, v2
	s_and_saveexec_b32 s2, vcc_lo
	s_cbranch_execz .LBB251_726
; %bb.725:
	s_waitcnt lgkmcnt(1)
	v_add_co_u32 v1, vcc_lo, v1, v5
	v_add_co_ci_u32_e32 v2, vcc_lo, 0, v2, vcc_lo
	s_delay_alu instid0(VALU_DEP_2) | instskip(SKIP_1) | instid1(VALU_DEP_2)
	v_add_co_u32 v1, vcc_lo, v1, 0
	s_waitcnt lgkmcnt(0)
	v_add_co_ci_u32_e32 v2, vcc_lo, v2, v4, vcc_lo
.LBB251_726:
	s_or_b32 exec_lo, exec_lo, s2
.LBB251_727:
	s_delay_alu instid0(SALU_CYCLE_1)
	s_or_b32 exec_lo, exec_lo, s3
	v_cmp_eq_u32_e64 s2, 0, v0
	s_branch .LBB251_758
.LBB251_728:
	s_cmp_eq_u32 s26, 1
                                        ; implicit-def: $vgpr1_vgpr2
	s_cbranch_scc0 .LBB251_758
; %bb.729:
	s_mov_b32 s3, 0
	s_waitcnt lgkmcnt(0)
	v_mbcnt_lo_u32_b32 v3, -1, 0
	s_lshr_b64 s[4:5], s[20:21], 7
	s_mov_b32 s19, s3
	s_lshl_b32 s2, s18, 7
	s_cmp_lg_u64 s[4:5], s[18:19]
	s_cbranch_scc0 .LBB251_735
; %bb.730:
	s_lshl_b64 s[4:5], s[2:3], 2
	v_dual_mov_b32 v4, 0 :: v_dual_lshlrev_b32 v1, 2, v0
	s_add_u32 s4, s24, s4
	s_addc_u32 s5, s25, s5
	global_load_b32 v1, v1, s[4:5]
	s_waitcnt vmcnt(0)
	v_cmp_neq_f32_e32 vcc_lo, 0, v1
	v_cndmask_b32_e64 v1, 0, 1, vcc_lo
	s_delay_alu instid0(VALU_DEP_1) | instskip(NEXT) | instid1(VALU_DEP_1)
	v_mov_b32_dpp v2, v1 quad_perm:[1,0,3,2] row_mask:0xf bank_mask:0xf
	v_add_co_u32 v1, s4, v2, v1
	v_mov_b32_dpp v2, v4 quad_perm:[1,0,3,2] row_mask:0xf bank_mask:0xf
	v_add_co_ci_u32_e64 v5, null, 0, 0, s4
	s_delay_alu instid0(VALU_DEP_3) | instskip(SKIP_1) | instid1(VALU_DEP_3)
	v_mov_b32_dpp v6, v1 quad_perm:[2,3,0,1] row_mask:0xf bank_mask:0xf
	v_add_co_u32 v1, vcc_lo, 0, v1
	v_add_co_ci_u32_e32 v2, vcc_lo, v2, v5, vcc_lo
	s_mov_b32 s4, exec_lo
	s_delay_alu instid0(VALU_DEP_2) | instskip(NEXT) | instid1(VALU_DEP_2)
	v_add_co_u32 v1, vcc_lo, v1, v6
	v_mov_b32_dpp v5, v2 quad_perm:[2,3,0,1] row_mask:0xf bank_mask:0xf
	v_add_co_ci_u32_e32 v2, vcc_lo, 0, v2, vcc_lo
	s_delay_alu instid0(VALU_DEP_3) | instskip(SKIP_1) | instid1(VALU_DEP_3)
	v_mov_b32_dpp v6, v1 row_ror:4 row_mask:0xf bank_mask:0xf
	v_add_co_u32 v1, vcc_lo, v1, 0
	v_add_co_ci_u32_e32 v2, vcc_lo, v2, v5, vcc_lo
	s_delay_alu instid0(VALU_DEP_2) | instskip(NEXT) | instid1(VALU_DEP_2)
	v_add_co_u32 v1, vcc_lo, v1, v6
	v_mov_b32_dpp v5, v2 row_ror:4 row_mask:0xf bank_mask:0xf
	v_add_co_ci_u32_e32 v2, vcc_lo, 0, v2, vcc_lo
	s_delay_alu instid0(VALU_DEP_3) | instskip(SKIP_1) | instid1(VALU_DEP_3)
	v_mov_b32_dpp v6, v1 row_ror:8 row_mask:0xf bank_mask:0xf
	v_add_co_u32 v1, vcc_lo, v1, 0
	v_add_co_ci_u32_e32 v2, vcc_lo, v2, v5, vcc_lo
	s_delay_alu instid0(VALU_DEP_2) | instskip(NEXT) | instid1(VALU_DEP_2)
	v_add_co_u32 v1, vcc_lo, v1, v6
	v_mov_b32_dpp v5, v2 row_ror:8 row_mask:0xf bank_mask:0xf
	v_add_co_ci_u32_e32 v2, vcc_lo, 0, v2, vcc_lo
	ds_swizzle_b32 v6, v1 offset:swizzle(BROADCAST,32,15)
	v_add_co_u32 v1, vcc_lo, v1, 0
	v_add_co_ci_u32_e32 v2, vcc_lo, v2, v5, vcc_lo
	ds_swizzle_b32 v5, v2 offset:swizzle(BROADCAST,32,15)
	s_waitcnt lgkmcnt(1)
	v_add_co_u32 v1, vcc_lo, v1, v6
	v_add_co_ci_u32_e32 v2, vcc_lo, 0, v2, vcc_lo
	ds_bpermute_b32 v1, v4, v1 offset:124
	s_waitcnt lgkmcnt(1)
	v_add_nc_u32_e32 v2, v5, v2
	ds_bpermute_b32 v2, v4, v2 offset:124
	v_cmpx_eq_u32_e32 0, v3
	s_cbranch_execz .LBB251_732
; %bb.731:
	v_lshrrev_b32_e32 v4, 2, v0
	s_delay_alu instid0(VALU_DEP_1)
	v_and_b32_e32 v4, 24, v4
	s_waitcnt lgkmcnt(0)
	ds_store_b64 v4, v[1:2] offset:64
.LBB251_732:
	s_or_b32 exec_lo, exec_lo, s4
	s_delay_alu instid0(SALU_CYCLE_1)
	s_mov_b32 s4, exec_lo
	s_waitcnt lgkmcnt(0)
	s_barrier
	buffer_gl0_inv
	v_cmpx_gt_u32_e32 32, v0
	s_cbranch_execz .LBB251_734
; %bb.733:
	v_and_b32_e32 v4, 3, v3
	s_delay_alu instid0(VALU_DEP_1) | instskip(SKIP_4) | instid1(VALU_DEP_2)
	v_lshlrev_b32_e32 v1, 3, v4
	v_cmp_ne_u32_e32 vcc_lo, 3, v4
	ds_load_b64 v[1:2], v1 offset:64
	v_add_co_ci_u32_e32 v5, vcc_lo, 0, v3, vcc_lo
	v_cmp_gt_u32_e32 vcc_lo, 2, v4
	v_lshlrev_b32_e32 v5, 2, v5
	v_cndmask_b32_e64 v4, 0, 1, vcc_lo
	s_delay_alu instid0(VALU_DEP_1) | instskip(NEXT) | instid1(VALU_DEP_1)
	v_lshlrev_b32_e32 v4, 1, v4
	v_add_lshl_u32 v4, v4, v3, 2
	s_waitcnt lgkmcnt(0)
	ds_bpermute_b32 v6, v5, v1
	ds_bpermute_b32 v5, v5, v2
	s_waitcnt lgkmcnt(1)
	v_add_co_u32 v1, vcc_lo, v1, v6
	v_add_co_ci_u32_e32 v2, vcc_lo, 0, v2, vcc_lo
	ds_bpermute_b32 v6, v4, v1
	v_add_co_u32 v1, vcc_lo, 0, v1
	s_waitcnt lgkmcnt(1)
	v_add_co_ci_u32_e32 v2, vcc_lo, v5, v2, vcc_lo
	ds_bpermute_b32 v4, v4, v2
	s_waitcnt lgkmcnt(1)
	v_add_co_u32 v1, vcc_lo, v1, v6
	v_add_co_ci_u32_e32 v2, vcc_lo, 0, v2, vcc_lo
	s_delay_alu instid0(VALU_DEP_2) | instskip(SKIP_1) | instid1(VALU_DEP_2)
	v_add_co_u32 v1, vcc_lo, v1, 0
	s_waitcnt lgkmcnt(0)
	v_add_co_ci_u32_e32 v2, vcc_lo, v2, v4, vcc_lo
.LBB251_734:
	s_or_b32 exec_lo, exec_lo, s4
	s_branch .LBB251_757
.LBB251_735:
                                        ; implicit-def: $vgpr1_vgpr2
	s_cbranch_execz .LBB251_757
; %bb.736:
	s_sub_i32 s4, s20, s2
	s_mov_b32 s5, exec_lo
                                        ; implicit-def: $vgpr1_vgpr2
	v_cmpx_gt_u32_e64 s4, v0
	s_cbranch_execz .LBB251_738
; %bb.737:
	s_lshl_b64 s[2:3], s[2:3], 2
	v_lshlrev_b32_e32 v1, 2, v0
	s_add_u32 s2, s24, s2
	s_addc_u32 s3, s25, s3
	global_load_b32 v1, v1, s[2:3]
	s_mov_b32 s2, 0
	s_delay_alu instid0(SALU_CYCLE_1)
	v_mov_b32_e32 v2, s2
	s_waitcnt vmcnt(0)
	v_cmp_neq_f32_e32 vcc_lo, 0, v1
	v_cndmask_b32_e64 v1, 0, 1, vcc_lo
.LBB251_738:
	s_or_b32 exec_lo, exec_lo, s5
	v_cmp_ne_u32_e32 vcc_lo, 31, v3
	s_min_u32 s2, s4, 0x80
	v_add_nc_u32_e32 v5, 1, v3
	v_add_co_ci_u32_e32 v4, vcc_lo, 0, v3, vcc_lo
	s_delay_alu instid0(VALU_DEP_1) | instskip(SKIP_3) | instid1(VALU_DEP_1)
	v_lshlrev_b32_e32 v4, 2, v4
	ds_bpermute_b32 v7, v4, v1
	ds_bpermute_b32 v6, v4, v2
	v_and_b32_e32 v4, 0x60, v0
	v_sub_nc_u32_e64 v4, s2, v4 clamp
	s_delay_alu instid0(VALU_DEP_1)
	v_cmp_lt_u32_e32 vcc_lo, v5, v4
	v_mov_b32_e32 v5, v1
	s_and_saveexec_b32 s3, vcc_lo
	s_cbranch_execz .LBB251_740
; %bb.739:
	s_waitcnt lgkmcnt(1)
	v_add_co_u32 v5, vcc_lo, v1, v7
	v_add_co_ci_u32_e32 v2, vcc_lo, 0, v2, vcc_lo
	s_delay_alu instid0(VALU_DEP_2) | instskip(SKIP_1) | instid1(VALU_DEP_2)
	v_add_co_u32 v1, vcc_lo, 0, v5
	s_waitcnt lgkmcnt(0)
	v_add_co_ci_u32_e32 v2, vcc_lo, v6, v2, vcc_lo
.LBB251_740:
	s_or_b32 exec_lo, exec_lo, s3
	v_cmp_gt_u32_e32 vcc_lo, 30, v3
	v_add_nc_u32_e32 v8, 2, v3
	s_mov_b32 s3, exec_lo
	s_waitcnt lgkmcnt(0)
	v_cndmask_b32_e64 v6, 0, 1, vcc_lo
	s_delay_alu instid0(VALU_DEP_1) | instskip(NEXT) | instid1(VALU_DEP_1)
	v_lshlrev_b32_e32 v6, 1, v6
	v_add_lshl_u32 v6, v6, v3, 2
	ds_bpermute_b32 v7, v6, v5
	ds_bpermute_b32 v6, v6, v2
	v_cmpx_lt_u32_e64 v8, v4
	s_cbranch_execz .LBB251_742
; %bb.741:
	s_waitcnt lgkmcnt(1)
	v_add_co_u32 v5, vcc_lo, v1, v7
	v_add_co_ci_u32_e32 v2, vcc_lo, 0, v2, vcc_lo
	s_delay_alu instid0(VALU_DEP_2) | instskip(SKIP_1) | instid1(VALU_DEP_2)
	v_add_co_u32 v1, vcc_lo, 0, v5
	s_waitcnt lgkmcnt(0)
	v_add_co_ci_u32_e32 v2, vcc_lo, v6, v2, vcc_lo
.LBB251_742:
	s_or_b32 exec_lo, exec_lo, s3
	v_cmp_gt_u32_e32 vcc_lo, 28, v3
	v_add_nc_u32_e32 v8, 4, v3
	s_mov_b32 s3, exec_lo
	s_waitcnt lgkmcnt(0)
	v_cndmask_b32_e64 v6, 0, 1, vcc_lo
	s_delay_alu instid0(VALU_DEP_1) | instskip(NEXT) | instid1(VALU_DEP_1)
	v_lshlrev_b32_e32 v6, 2, v6
	v_add_lshl_u32 v6, v6, v3, 2
	ds_bpermute_b32 v7, v6, v5
	ds_bpermute_b32 v6, v6, v2
	v_cmpx_lt_u32_e64 v8, v4
	s_cbranch_execz .LBB251_744
; %bb.743:
	s_waitcnt lgkmcnt(1)
	v_add_co_u32 v5, vcc_lo, v1, v7
	v_add_co_ci_u32_e32 v2, vcc_lo, 0, v2, vcc_lo
	s_delay_alu instid0(VALU_DEP_2) | instskip(SKIP_1) | instid1(VALU_DEP_2)
	v_add_co_u32 v1, vcc_lo, 0, v5
	s_waitcnt lgkmcnt(0)
	v_add_co_ci_u32_e32 v2, vcc_lo, v6, v2, vcc_lo
.LBB251_744:
	s_or_b32 exec_lo, exec_lo, s3
	v_cmp_gt_u32_e32 vcc_lo, 24, v3
	v_add_nc_u32_e32 v8, 8, v3
	s_mov_b32 s3, exec_lo
	s_waitcnt lgkmcnt(0)
	v_cndmask_b32_e64 v6, 0, 1, vcc_lo
	s_delay_alu instid0(VALU_DEP_1) | instskip(NEXT) | instid1(VALU_DEP_1)
	v_lshlrev_b32_e32 v6, 3, v6
	v_add_lshl_u32 v6, v6, v3, 2
	ds_bpermute_b32 v7, v6, v5
	ds_bpermute_b32 v6, v6, v2
	v_cmpx_lt_u32_e64 v8, v4
	s_cbranch_execz .LBB251_746
; %bb.745:
	s_waitcnt lgkmcnt(1)
	v_add_co_u32 v5, vcc_lo, v1, v7
	v_add_co_ci_u32_e32 v2, vcc_lo, 0, v2, vcc_lo
	s_delay_alu instid0(VALU_DEP_2) | instskip(SKIP_1) | instid1(VALU_DEP_2)
	v_add_co_u32 v1, vcc_lo, 0, v5
	s_waitcnt lgkmcnt(0)
	v_add_co_ci_u32_e32 v2, vcc_lo, v6, v2, vcc_lo
.LBB251_746:
	s_or_b32 exec_lo, exec_lo, s3
	v_cmp_gt_u32_e32 vcc_lo, 16, v3
	s_mov_b32 s3, exec_lo
	s_waitcnt lgkmcnt(0)
	v_cndmask_b32_e64 v6, 0, 1, vcc_lo
	s_delay_alu instid0(VALU_DEP_1) | instskip(NEXT) | instid1(VALU_DEP_1)
	v_lshlrev_b32_e32 v6, 4, v6
	v_add_lshl_u32 v7, v6, v3, 2
	ds_bpermute_b32 v6, v7, v5
	ds_bpermute_b32 v5, v7, v2
	v_add_nc_u32_e32 v7, 16, v3
	s_delay_alu instid0(VALU_DEP_1)
	v_cmpx_lt_u32_e64 v7, v4
	s_cbranch_execz .LBB251_748
; %bb.747:
	s_waitcnt lgkmcnt(1)
	v_add_co_u32 v1, vcc_lo, v1, v6
	v_add_co_ci_u32_e32 v2, vcc_lo, 0, v2, vcc_lo
	s_delay_alu instid0(VALU_DEP_2) | instskip(SKIP_1) | instid1(VALU_DEP_2)
	v_add_co_u32 v1, vcc_lo, v1, 0
	s_waitcnt lgkmcnt(0)
	v_add_co_ci_u32_e32 v2, vcc_lo, v2, v5, vcc_lo
.LBB251_748:
	s_or_b32 exec_lo, exec_lo, s3
	s_delay_alu instid0(SALU_CYCLE_1)
	s_mov_b32 s3, exec_lo
	v_cmpx_eq_u32_e32 0, v3
	s_cbranch_execz .LBB251_750
; %bb.749:
	v_lshrrev_b32_e32 v4, 2, v0
	s_delay_alu instid0(VALU_DEP_1)
	v_and_b32_e32 v4, 24, v4
	ds_store_b64 v4, v[1:2] offset:256
.LBB251_750:
	s_or_b32 exec_lo, exec_lo, s3
	s_delay_alu instid0(SALU_CYCLE_1)
	s_mov_b32 s3, exec_lo
	s_waitcnt lgkmcnt(0)
	s_barrier
	buffer_gl0_inv
	v_cmpx_gt_u32_e32 4, v0
	s_cbranch_execz .LBB251_756
; %bb.751:
	v_lshlrev_b32_e32 v1, 3, v3
	s_add_i32 s2, s2, 31
	s_delay_alu instid0(SALU_CYCLE_1) | instskip(SKIP_2) | instid1(VALU_DEP_1)
	s_lshr_b32 s2, s2, 5
	ds_load_b64 v[1:2], v1 offset:256
	v_and_b32_e32 v4, 3, v3
	v_cmp_ne_u32_e32 vcc_lo, 3, v4
	v_add_co_ci_u32_e32 v5, vcc_lo, 0, v3, vcc_lo
	s_delay_alu instid0(VALU_DEP_1) | instskip(SKIP_4) | instid1(VALU_DEP_1)
	v_lshlrev_b32_e32 v5, 2, v5
	s_waitcnt lgkmcnt(0)
	ds_bpermute_b32 v7, v5, v1
	ds_bpermute_b32 v6, v5, v2
	v_add_nc_u32_e32 v5, 1, v4
	v_cmp_gt_u32_e32 vcc_lo, s2, v5
	v_mov_b32_e32 v5, v1
	s_and_saveexec_b32 s4, vcc_lo
	s_cbranch_execz .LBB251_753
; %bb.752:
	s_waitcnt lgkmcnt(1)
	v_add_co_u32 v5, vcc_lo, v1, v7
	v_add_co_ci_u32_e32 v2, vcc_lo, 0, v2, vcc_lo
	s_delay_alu instid0(VALU_DEP_2) | instskip(SKIP_1) | instid1(VALU_DEP_2)
	v_add_co_u32 v1, vcc_lo, 0, v5
	s_waitcnt lgkmcnt(0)
	v_add_co_ci_u32_e32 v2, vcc_lo, v6, v2, vcc_lo
.LBB251_753:
	s_or_b32 exec_lo, exec_lo, s4
	v_cmp_gt_u32_e32 vcc_lo, 2, v4
	v_add_nc_u32_e32 v4, 2, v4
	s_waitcnt lgkmcnt(0)
	v_cndmask_b32_e64 v6, 0, 1, vcc_lo
	s_delay_alu instid0(VALU_DEP_2) | instskip(NEXT) | instid1(VALU_DEP_2)
	v_cmp_gt_u32_e32 vcc_lo, s2, v4
	v_lshlrev_b32_e32 v6, 1, v6
	s_delay_alu instid0(VALU_DEP_1)
	v_add_lshl_u32 v3, v6, v3, 2
	ds_bpermute_b32 v5, v3, v5
	ds_bpermute_b32 v3, v3, v2
	s_and_saveexec_b32 s2, vcc_lo
	s_cbranch_execz .LBB251_755
; %bb.754:
	s_waitcnt lgkmcnt(1)
	v_add_co_u32 v1, vcc_lo, v1, v5
	v_add_co_ci_u32_e32 v2, vcc_lo, 0, v2, vcc_lo
	s_delay_alu instid0(VALU_DEP_2) | instskip(SKIP_1) | instid1(VALU_DEP_2)
	v_add_co_u32 v1, vcc_lo, v1, 0
	s_waitcnt lgkmcnt(0)
	v_add_co_ci_u32_e32 v2, vcc_lo, v2, v3, vcc_lo
.LBB251_755:
	s_or_b32 exec_lo, exec_lo, s2
.LBB251_756:
	s_delay_alu instid0(SALU_CYCLE_1)
	s_or_b32 exec_lo, exec_lo, s3
.LBB251_757:
	v_cmp_eq_u32_e64 s2, 0, v0
.LBB251_758:
	s_delay_alu instid0(VALU_DEP_1)
	s_and_saveexec_b32 s3, s2
	s_cbranch_execz .LBB251_760
; %bb.759:
	s_load_b64 s[0:1], s[0:1], 0x28
	s_cmp_lg_u64 s[20:21], 0
	s_cselect_b32 vcc_lo, -1, 0
	s_lshl_b64 s[2:3], s[18:19], 3
	v_cndmask_b32_e32 v0, 0, v1, vcc_lo
	v_cndmask_b32_e32 v2, 0, v2, vcc_lo
	s_waitcnt lgkmcnt(0)
	s_delay_alu instid0(VALU_DEP_2) | instskip(NEXT) | instid1(VALU_DEP_2)
	v_add_co_u32 v0, vcc_lo, v0, s0
	v_add_co_ci_u32_e32 v1, vcc_lo, s1, v2, vcc_lo
	v_mov_b32_e32 v2, 0
	s_add_u32 s0, s22, s2
	s_addc_u32 s1, s23, s3
	global_store_b64 v2, v[0:1], s[0:1]
.LBB251_760:
	s_nop 0
	s_sendmsg sendmsg(MSG_DEALLOC_VGPRS)
	s_endpgm
	.section	.rodata,"a",@progbits
	.p2align	6, 0x0
	.amdhsa_kernel _ZN7rocprim17ROCPRIM_400000_NS6detail17trampoline_kernelINS0_14default_configENS1_22reduce_config_selectorIbEEZNS1_11reduce_implILb1ES3_N6hipcub16HIPCUB_304000_NS22TransformInputIteratorIb7NonZeroIfEPflEEPllNS8_6detail34convert_binary_result_type_wrapperINS8_3SumESD_lEEEE10hipError_tPvRmT1_T2_T3_mT4_P12ihipStream_tbEUlT_E1_NS1_11comp_targetILNS1_3genE9ELNS1_11target_archE1100ELNS1_3gpuE3ELNS1_3repE0EEENS1_30default_config_static_selectorELNS0_4arch9wavefront6targetE0EEEvSM_
		.amdhsa_group_segment_fixed_size 288
		.amdhsa_private_segment_fixed_size 20
		.amdhsa_kernarg_size 56
		.amdhsa_user_sgpr_count 15
		.amdhsa_user_sgpr_dispatch_ptr 0
		.amdhsa_user_sgpr_queue_ptr 0
		.amdhsa_user_sgpr_kernarg_segment_ptr 1
		.amdhsa_user_sgpr_dispatch_id 0
		.amdhsa_user_sgpr_private_segment_size 0
		.amdhsa_wavefront_size32 1
		.amdhsa_uses_dynamic_stack 0
		.amdhsa_enable_private_segment 1
		.amdhsa_system_sgpr_workgroup_id_x 1
		.amdhsa_system_sgpr_workgroup_id_y 0
		.amdhsa_system_sgpr_workgroup_id_z 0
		.amdhsa_system_sgpr_workgroup_info 0
		.amdhsa_system_vgpr_workitem_id 0
		.amdhsa_next_free_vgpr 256
		.amdhsa_next_free_sgpr 29
		.amdhsa_reserve_vcc 1
		.amdhsa_float_round_mode_32 0
		.amdhsa_float_round_mode_16_64 0
		.amdhsa_float_denorm_mode_32 3
		.amdhsa_float_denorm_mode_16_64 3
		.amdhsa_dx10_clamp 1
		.amdhsa_ieee_mode 1
		.amdhsa_fp16_overflow 0
		.amdhsa_workgroup_processor_mode 1
		.amdhsa_memory_ordered 1
		.amdhsa_forward_progress 0
		.amdhsa_shared_vgpr_count 0
		.amdhsa_exception_fp_ieee_invalid_op 0
		.amdhsa_exception_fp_denorm_src 0
		.amdhsa_exception_fp_ieee_div_zero 0
		.amdhsa_exception_fp_ieee_overflow 0
		.amdhsa_exception_fp_ieee_underflow 0
		.amdhsa_exception_fp_ieee_inexact 0
		.amdhsa_exception_int_div_zero 0
	.end_amdhsa_kernel
	.section	.text._ZN7rocprim17ROCPRIM_400000_NS6detail17trampoline_kernelINS0_14default_configENS1_22reduce_config_selectorIbEEZNS1_11reduce_implILb1ES3_N6hipcub16HIPCUB_304000_NS22TransformInputIteratorIb7NonZeroIfEPflEEPllNS8_6detail34convert_binary_result_type_wrapperINS8_3SumESD_lEEEE10hipError_tPvRmT1_T2_T3_mT4_P12ihipStream_tbEUlT_E1_NS1_11comp_targetILNS1_3genE9ELNS1_11target_archE1100ELNS1_3gpuE3ELNS1_3repE0EEENS1_30default_config_static_selectorELNS0_4arch9wavefront6targetE0EEEvSM_,"axG",@progbits,_ZN7rocprim17ROCPRIM_400000_NS6detail17trampoline_kernelINS0_14default_configENS1_22reduce_config_selectorIbEEZNS1_11reduce_implILb1ES3_N6hipcub16HIPCUB_304000_NS22TransformInputIteratorIb7NonZeroIfEPflEEPllNS8_6detail34convert_binary_result_type_wrapperINS8_3SumESD_lEEEE10hipError_tPvRmT1_T2_T3_mT4_P12ihipStream_tbEUlT_E1_NS1_11comp_targetILNS1_3genE9ELNS1_11target_archE1100ELNS1_3gpuE3ELNS1_3repE0EEENS1_30default_config_static_selectorELNS0_4arch9wavefront6targetE0EEEvSM_,comdat
.Lfunc_end251:
	.size	_ZN7rocprim17ROCPRIM_400000_NS6detail17trampoline_kernelINS0_14default_configENS1_22reduce_config_selectorIbEEZNS1_11reduce_implILb1ES3_N6hipcub16HIPCUB_304000_NS22TransformInputIteratorIb7NonZeroIfEPflEEPllNS8_6detail34convert_binary_result_type_wrapperINS8_3SumESD_lEEEE10hipError_tPvRmT1_T2_T3_mT4_P12ihipStream_tbEUlT_E1_NS1_11comp_targetILNS1_3genE9ELNS1_11target_archE1100ELNS1_3gpuE3ELNS1_3repE0EEENS1_30default_config_static_selectorELNS0_4arch9wavefront6targetE0EEEvSM_, .Lfunc_end251-_ZN7rocprim17ROCPRIM_400000_NS6detail17trampoline_kernelINS0_14default_configENS1_22reduce_config_selectorIbEEZNS1_11reduce_implILb1ES3_N6hipcub16HIPCUB_304000_NS22TransformInputIteratorIb7NonZeroIfEPflEEPllNS8_6detail34convert_binary_result_type_wrapperINS8_3SumESD_lEEEE10hipError_tPvRmT1_T2_T3_mT4_P12ihipStream_tbEUlT_E1_NS1_11comp_targetILNS1_3genE9ELNS1_11target_archE1100ELNS1_3gpuE3ELNS1_3repE0EEENS1_30default_config_static_selectorELNS0_4arch9wavefront6targetE0EEEvSM_
                                        ; -- End function
	.section	.AMDGPU.csdata,"",@progbits
; Kernel info:
; codeLenInByte = 47948
; NumSgprs: 31
; NumVgprs: 256
; ScratchSize: 20
; MemoryBound: 0
; FloatMode: 240
; IeeeMode: 1
; LDSByteSize: 288 bytes/workgroup (compile time only)
; SGPRBlocks: 3
; VGPRBlocks: 31
; NumSGPRsForWavesPerEU: 31
; NumVGPRsForWavesPerEU: 256
; Occupancy: 5
; WaveLimiterHint : 1
; COMPUTE_PGM_RSRC2:SCRATCH_EN: 1
; COMPUTE_PGM_RSRC2:USER_SGPR: 15
; COMPUTE_PGM_RSRC2:TRAP_HANDLER: 0
; COMPUTE_PGM_RSRC2:TGID_X_EN: 1
; COMPUTE_PGM_RSRC2:TGID_Y_EN: 0
; COMPUTE_PGM_RSRC2:TGID_Z_EN: 0
; COMPUTE_PGM_RSRC2:TIDIG_COMP_CNT: 0
	.section	.text._ZN7rocprim17ROCPRIM_400000_NS6detail17trampoline_kernelINS0_14default_configENS1_22reduce_config_selectorIbEEZNS1_11reduce_implILb1ES3_N6hipcub16HIPCUB_304000_NS22TransformInputIteratorIb7NonZeroIfEPflEEPllNS8_6detail34convert_binary_result_type_wrapperINS8_3SumESD_lEEEE10hipError_tPvRmT1_T2_T3_mT4_P12ihipStream_tbEUlT_E1_NS1_11comp_targetILNS1_3genE8ELNS1_11target_archE1030ELNS1_3gpuE2ELNS1_3repE0EEENS1_30default_config_static_selectorELNS0_4arch9wavefront6targetE0EEEvSM_,"axG",@progbits,_ZN7rocprim17ROCPRIM_400000_NS6detail17trampoline_kernelINS0_14default_configENS1_22reduce_config_selectorIbEEZNS1_11reduce_implILb1ES3_N6hipcub16HIPCUB_304000_NS22TransformInputIteratorIb7NonZeroIfEPflEEPllNS8_6detail34convert_binary_result_type_wrapperINS8_3SumESD_lEEEE10hipError_tPvRmT1_T2_T3_mT4_P12ihipStream_tbEUlT_E1_NS1_11comp_targetILNS1_3genE8ELNS1_11target_archE1030ELNS1_3gpuE2ELNS1_3repE0EEENS1_30default_config_static_selectorELNS0_4arch9wavefront6targetE0EEEvSM_,comdat
	.protected	_ZN7rocprim17ROCPRIM_400000_NS6detail17trampoline_kernelINS0_14default_configENS1_22reduce_config_selectorIbEEZNS1_11reduce_implILb1ES3_N6hipcub16HIPCUB_304000_NS22TransformInputIteratorIb7NonZeroIfEPflEEPllNS8_6detail34convert_binary_result_type_wrapperINS8_3SumESD_lEEEE10hipError_tPvRmT1_T2_T3_mT4_P12ihipStream_tbEUlT_E1_NS1_11comp_targetILNS1_3genE8ELNS1_11target_archE1030ELNS1_3gpuE2ELNS1_3repE0EEENS1_30default_config_static_selectorELNS0_4arch9wavefront6targetE0EEEvSM_ ; -- Begin function _ZN7rocprim17ROCPRIM_400000_NS6detail17trampoline_kernelINS0_14default_configENS1_22reduce_config_selectorIbEEZNS1_11reduce_implILb1ES3_N6hipcub16HIPCUB_304000_NS22TransformInputIteratorIb7NonZeroIfEPflEEPllNS8_6detail34convert_binary_result_type_wrapperINS8_3SumESD_lEEEE10hipError_tPvRmT1_T2_T3_mT4_P12ihipStream_tbEUlT_E1_NS1_11comp_targetILNS1_3genE8ELNS1_11target_archE1030ELNS1_3gpuE2ELNS1_3repE0EEENS1_30default_config_static_selectorELNS0_4arch9wavefront6targetE0EEEvSM_
	.globl	_ZN7rocprim17ROCPRIM_400000_NS6detail17trampoline_kernelINS0_14default_configENS1_22reduce_config_selectorIbEEZNS1_11reduce_implILb1ES3_N6hipcub16HIPCUB_304000_NS22TransformInputIteratorIb7NonZeroIfEPflEEPllNS8_6detail34convert_binary_result_type_wrapperINS8_3SumESD_lEEEE10hipError_tPvRmT1_T2_T3_mT4_P12ihipStream_tbEUlT_E1_NS1_11comp_targetILNS1_3genE8ELNS1_11target_archE1030ELNS1_3gpuE2ELNS1_3repE0EEENS1_30default_config_static_selectorELNS0_4arch9wavefront6targetE0EEEvSM_
	.p2align	8
	.type	_ZN7rocprim17ROCPRIM_400000_NS6detail17trampoline_kernelINS0_14default_configENS1_22reduce_config_selectorIbEEZNS1_11reduce_implILb1ES3_N6hipcub16HIPCUB_304000_NS22TransformInputIteratorIb7NonZeroIfEPflEEPllNS8_6detail34convert_binary_result_type_wrapperINS8_3SumESD_lEEEE10hipError_tPvRmT1_T2_T3_mT4_P12ihipStream_tbEUlT_E1_NS1_11comp_targetILNS1_3genE8ELNS1_11target_archE1030ELNS1_3gpuE2ELNS1_3repE0EEENS1_30default_config_static_selectorELNS0_4arch9wavefront6targetE0EEEvSM_,@function
_ZN7rocprim17ROCPRIM_400000_NS6detail17trampoline_kernelINS0_14default_configENS1_22reduce_config_selectorIbEEZNS1_11reduce_implILb1ES3_N6hipcub16HIPCUB_304000_NS22TransformInputIteratorIb7NonZeroIfEPflEEPllNS8_6detail34convert_binary_result_type_wrapperINS8_3SumESD_lEEEE10hipError_tPvRmT1_T2_T3_mT4_P12ihipStream_tbEUlT_E1_NS1_11comp_targetILNS1_3genE8ELNS1_11target_archE1030ELNS1_3gpuE2ELNS1_3repE0EEENS1_30default_config_static_selectorELNS0_4arch9wavefront6targetE0EEEvSM_: ; @_ZN7rocprim17ROCPRIM_400000_NS6detail17trampoline_kernelINS0_14default_configENS1_22reduce_config_selectorIbEEZNS1_11reduce_implILb1ES3_N6hipcub16HIPCUB_304000_NS22TransformInputIteratorIb7NonZeroIfEPflEEPllNS8_6detail34convert_binary_result_type_wrapperINS8_3SumESD_lEEEE10hipError_tPvRmT1_T2_T3_mT4_P12ihipStream_tbEUlT_E1_NS1_11comp_targetILNS1_3genE8ELNS1_11target_archE1030ELNS1_3gpuE2ELNS1_3repE0EEENS1_30default_config_static_selectorELNS0_4arch9wavefront6targetE0EEEvSM_
; %bb.0:
	.section	.rodata,"a",@progbits
	.p2align	6, 0x0
	.amdhsa_kernel _ZN7rocprim17ROCPRIM_400000_NS6detail17trampoline_kernelINS0_14default_configENS1_22reduce_config_selectorIbEEZNS1_11reduce_implILb1ES3_N6hipcub16HIPCUB_304000_NS22TransformInputIteratorIb7NonZeroIfEPflEEPllNS8_6detail34convert_binary_result_type_wrapperINS8_3SumESD_lEEEE10hipError_tPvRmT1_T2_T3_mT4_P12ihipStream_tbEUlT_E1_NS1_11comp_targetILNS1_3genE8ELNS1_11target_archE1030ELNS1_3gpuE2ELNS1_3repE0EEENS1_30default_config_static_selectorELNS0_4arch9wavefront6targetE0EEEvSM_
		.amdhsa_group_segment_fixed_size 0
		.amdhsa_private_segment_fixed_size 0
		.amdhsa_kernarg_size 56
		.amdhsa_user_sgpr_count 15
		.amdhsa_user_sgpr_dispatch_ptr 0
		.amdhsa_user_sgpr_queue_ptr 0
		.amdhsa_user_sgpr_kernarg_segment_ptr 1
		.amdhsa_user_sgpr_dispatch_id 0
		.amdhsa_user_sgpr_private_segment_size 0
		.amdhsa_wavefront_size32 1
		.amdhsa_uses_dynamic_stack 0
		.amdhsa_enable_private_segment 0
		.amdhsa_system_sgpr_workgroup_id_x 1
		.amdhsa_system_sgpr_workgroup_id_y 0
		.amdhsa_system_sgpr_workgroup_id_z 0
		.amdhsa_system_sgpr_workgroup_info 0
		.amdhsa_system_vgpr_workitem_id 0
		.amdhsa_next_free_vgpr 1
		.amdhsa_next_free_sgpr 1
		.amdhsa_reserve_vcc 0
		.amdhsa_float_round_mode_32 0
		.amdhsa_float_round_mode_16_64 0
		.amdhsa_float_denorm_mode_32 3
		.amdhsa_float_denorm_mode_16_64 3
		.amdhsa_dx10_clamp 1
		.amdhsa_ieee_mode 1
		.amdhsa_fp16_overflow 0
		.amdhsa_workgroup_processor_mode 1
		.amdhsa_memory_ordered 1
		.amdhsa_forward_progress 0
		.amdhsa_shared_vgpr_count 0
		.amdhsa_exception_fp_ieee_invalid_op 0
		.amdhsa_exception_fp_denorm_src 0
		.amdhsa_exception_fp_ieee_div_zero 0
		.amdhsa_exception_fp_ieee_overflow 0
		.amdhsa_exception_fp_ieee_underflow 0
		.amdhsa_exception_fp_ieee_inexact 0
		.amdhsa_exception_int_div_zero 0
	.end_amdhsa_kernel
	.section	.text._ZN7rocprim17ROCPRIM_400000_NS6detail17trampoline_kernelINS0_14default_configENS1_22reduce_config_selectorIbEEZNS1_11reduce_implILb1ES3_N6hipcub16HIPCUB_304000_NS22TransformInputIteratorIb7NonZeroIfEPflEEPllNS8_6detail34convert_binary_result_type_wrapperINS8_3SumESD_lEEEE10hipError_tPvRmT1_T2_T3_mT4_P12ihipStream_tbEUlT_E1_NS1_11comp_targetILNS1_3genE8ELNS1_11target_archE1030ELNS1_3gpuE2ELNS1_3repE0EEENS1_30default_config_static_selectorELNS0_4arch9wavefront6targetE0EEEvSM_,"axG",@progbits,_ZN7rocprim17ROCPRIM_400000_NS6detail17trampoline_kernelINS0_14default_configENS1_22reduce_config_selectorIbEEZNS1_11reduce_implILb1ES3_N6hipcub16HIPCUB_304000_NS22TransformInputIteratorIb7NonZeroIfEPflEEPllNS8_6detail34convert_binary_result_type_wrapperINS8_3SumESD_lEEEE10hipError_tPvRmT1_T2_T3_mT4_P12ihipStream_tbEUlT_E1_NS1_11comp_targetILNS1_3genE8ELNS1_11target_archE1030ELNS1_3gpuE2ELNS1_3repE0EEENS1_30default_config_static_selectorELNS0_4arch9wavefront6targetE0EEEvSM_,comdat
.Lfunc_end252:
	.size	_ZN7rocprim17ROCPRIM_400000_NS6detail17trampoline_kernelINS0_14default_configENS1_22reduce_config_selectorIbEEZNS1_11reduce_implILb1ES3_N6hipcub16HIPCUB_304000_NS22TransformInputIteratorIb7NonZeroIfEPflEEPllNS8_6detail34convert_binary_result_type_wrapperINS8_3SumESD_lEEEE10hipError_tPvRmT1_T2_T3_mT4_P12ihipStream_tbEUlT_E1_NS1_11comp_targetILNS1_3genE8ELNS1_11target_archE1030ELNS1_3gpuE2ELNS1_3repE0EEENS1_30default_config_static_selectorELNS0_4arch9wavefront6targetE0EEEvSM_, .Lfunc_end252-_ZN7rocprim17ROCPRIM_400000_NS6detail17trampoline_kernelINS0_14default_configENS1_22reduce_config_selectorIbEEZNS1_11reduce_implILb1ES3_N6hipcub16HIPCUB_304000_NS22TransformInputIteratorIb7NonZeroIfEPflEEPllNS8_6detail34convert_binary_result_type_wrapperINS8_3SumESD_lEEEE10hipError_tPvRmT1_T2_T3_mT4_P12ihipStream_tbEUlT_E1_NS1_11comp_targetILNS1_3genE8ELNS1_11target_archE1030ELNS1_3gpuE2ELNS1_3repE0EEENS1_30default_config_static_selectorELNS0_4arch9wavefront6targetE0EEEvSM_
                                        ; -- End function
	.section	.AMDGPU.csdata,"",@progbits
; Kernel info:
; codeLenInByte = 0
; NumSgprs: 0
; NumVgprs: 0
; ScratchSize: 0
; MemoryBound: 0
; FloatMode: 240
; IeeeMode: 1
; LDSByteSize: 0 bytes/workgroup (compile time only)
; SGPRBlocks: 0
; VGPRBlocks: 0
; NumSGPRsForWavesPerEU: 1
; NumVGPRsForWavesPerEU: 1
; Occupancy: 16
; WaveLimiterHint : 0
; COMPUTE_PGM_RSRC2:SCRATCH_EN: 0
; COMPUTE_PGM_RSRC2:USER_SGPR: 15
; COMPUTE_PGM_RSRC2:TRAP_HANDLER: 0
; COMPUTE_PGM_RSRC2:TGID_X_EN: 1
; COMPUTE_PGM_RSRC2:TGID_Y_EN: 0
; COMPUTE_PGM_RSRC2:TGID_Z_EN: 0
; COMPUTE_PGM_RSRC2:TIDIG_COMP_CNT: 0
	.section	.text._ZN7rocprim17ROCPRIM_400000_NS6detail17trampoline_kernelINS0_14default_configENS1_25partition_config_selectorILNS1_17partition_subalgoE5ElNS0_10empty_typeEbEEZZNS1_14partition_implILS5_5ELb0ES3_mN6hipcub16HIPCUB_304000_NS21CountingInputIteratorIllEEPS6_NSA_22TransformInputIteratorIb7NonZeroIfEPflEENS0_5tupleIJPlS6_EEENSJ_IJSD_SD_EEES6_SK_JS6_EEE10hipError_tPvRmT3_T4_T5_T6_T7_T9_mT8_P12ihipStream_tbDpT10_ENKUlT_T0_E_clISt17integral_constantIbLb0EES16_EEDaS11_S12_EUlS11_E_NS1_11comp_targetILNS1_3genE0ELNS1_11target_archE4294967295ELNS1_3gpuE0ELNS1_3repE0EEENS1_30default_config_static_selectorELNS0_4arch9wavefront6targetE0EEEvT1_,"axG",@progbits,_ZN7rocprim17ROCPRIM_400000_NS6detail17trampoline_kernelINS0_14default_configENS1_25partition_config_selectorILNS1_17partition_subalgoE5ElNS0_10empty_typeEbEEZZNS1_14partition_implILS5_5ELb0ES3_mN6hipcub16HIPCUB_304000_NS21CountingInputIteratorIllEEPS6_NSA_22TransformInputIteratorIb7NonZeroIfEPflEENS0_5tupleIJPlS6_EEENSJ_IJSD_SD_EEES6_SK_JS6_EEE10hipError_tPvRmT3_T4_T5_T6_T7_T9_mT8_P12ihipStream_tbDpT10_ENKUlT_T0_E_clISt17integral_constantIbLb0EES16_EEDaS11_S12_EUlS11_E_NS1_11comp_targetILNS1_3genE0ELNS1_11target_archE4294967295ELNS1_3gpuE0ELNS1_3repE0EEENS1_30default_config_static_selectorELNS0_4arch9wavefront6targetE0EEEvT1_,comdat
	.protected	_ZN7rocprim17ROCPRIM_400000_NS6detail17trampoline_kernelINS0_14default_configENS1_25partition_config_selectorILNS1_17partition_subalgoE5ElNS0_10empty_typeEbEEZZNS1_14partition_implILS5_5ELb0ES3_mN6hipcub16HIPCUB_304000_NS21CountingInputIteratorIllEEPS6_NSA_22TransformInputIteratorIb7NonZeroIfEPflEENS0_5tupleIJPlS6_EEENSJ_IJSD_SD_EEES6_SK_JS6_EEE10hipError_tPvRmT3_T4_T5_T6_T7_T9_mT8_P12ihipStream_tbDpT10_ENKUlT_T0_E_clISt17integral_constantIbLb0EES16_EEDaS11_S12_EUlS11_E_NS1_11comp_targetILNS1_3genE0ELNS1_11target_archE4294967295ELNS1_3gpuE0ELNS1_3repE0EEENS1_30default_config_static_selectorELNS0_4arch9wavefront6targetE0EEEvT1_ ; -- Begin function _ZN7rocprim17ROCPRIM_400000_NS6detail17trampoline_kernelINS0_14default_configENS1_25partition_config_selectorILNS1_17partition_subalgoE5ElNS0_10empty_typeEbEEZZNS1_14partition_implILS5_5ELb0ES3_mN6hipcub16HIPCUB_304000_NS21CountingInputIteratorIllEEPS6_NSA_22TransformInputIteratorIb7NonZeroIfEPflEENS0_5tupleIJPlS6_EEENSJ_IJSD_SD_EEES6_SK_JS6_EEE10hipError_tPvRmT3_T4_T5_T6_T7_T9_mT8_P12ihipStream_tbDpT10_ENKUlT_T0_E_clISt17integral_constantIbLb0EES16_EEDaS11_S12_EUlS11_E_NS1_11comp_targetILNS1_3genE0ELNS1_11target_archE4294967295ELNS1_3gpuE0ELNS1_3repE0EEENS1_30default_config_static_selectorELNS0_4arch9wavefront6targetE0EEEvT1_
	.globl	_ZN7rocprim17ROCPRIM_400000_NS6detail17trampoline_kernelINS0_14default_configENS1_25partition_config_selectorILNS1_17partition_subalgoE5ElNS0_10empty_typeEbEEZZNS1_14partition_implILS5_5ELb0ES3_mN6hipcub16HIPCUB_304000_NS21CountingInputIteratorIllEEPS6_NSA_22TransformInputIteratorIb7NonZeroIfEPflEENS0_5tupleIJPlS6_EEENSJ_IJSD_SD_EEES6_SK_JS6_EEE10hipError_tPvRmT3_T4_T5_T6_T7_T9_mT8_P12ihipStream_tbDpT10_ENKUlT_T0_E_clISt17integral_constantIbLb0EES16_EEDaS11_S12_EUlS11_E_NS1_11comp_targetILNS1_3genE0ELNS1_11target_archE4294967295ELNS1_3gpuE0ELNS1_3repE0EEENS1_30default_config_static_selectorELNS0_4arch9wavefront6targetE0EEEvT1_
	.p2align	8
	.type	_ZN7rocprim17ROCPRIM_400000_NS6detail17trampoline_kernelINS0_14default_configENS1_25partition_config_selectorILNS1_17partition_subalgoE5ElNS0_10empty_typeEbEEZZNS1_14partition_implILS5_5ELb0ES3_mN6hipcub16HIPCUB_304000_NS21CountingInputIteratorIllEEPS6_NSA_22TransformInputIteratorIb7NonZeroIfEPflEENS0_5tupleIJPlS6_EEENSJ_IJSD_SD_EEES6_SK_JS6_EEE10hipError_tPvRmT3_T4_T5_T6_T7_T9_mT8_P12ihipStream_tbDpT10_ENKUlT_T0_E_clISt17integral_constantIbLb0EES16_EEDaS11_S12_EUlS11_E_NS1_11comp_targetILNS1_3genE0ELNS1_11target_archE4294967295ELNS1_3gpuE0ELNS1_3repE0EEENS1_30default_config_static_selectorELNS0_4arch9wavefront6targetE0EEEvT1_,@function
_ZN7rocprim17ROCPRIM_400000_NS6detail17trampoline_kernelINS0_14default_configENS1_25partition_config_selectorILNS1_17partition_subalgoE5ElNS0_10empty_typeEbEEZZNS1_14partition_implILS5_5ELb0ES3_mN6hipcub16HIPCUB_304000_NS21CountingInputIteratorIllEEPS6_NSA_22TransformInputIteratorIb7NonZeroIfEPflEENS0_5tupleIJPlS6_EEENSJ_IJSD_SD_EEES6_SK_JS6_EEE10hipError_tPvRmT3_T4_T5_T6_T7_T9_mT8_P12ihipStream_tbDpT10_ENKUlT_T0_E_clISt17integral_constantIbLb0EES16_EEDaS11_S12_EUlS11_E_NS1_11comp_targetILNS1_3genE0ELNS1_11target_archE4294967295ELNS1_3gpuE0ELNS1_3repE0EEENS1_30default_config_static_selectorELNS0_4arch9wavefront6targetE0EEEvT1_: ; @_ZN7rocprim17ROCPRIM_400000_NS6detail17trampoline_kernelINS0_14default_configENS1_25partition_config_selectorILNS1_17partition_subalgoE5ElNS0_10empty_typeEbEEZZNS1_14partition_implILS5_5ELb0ES3_mN6hipcub16HIPCUB_304000_NS21CountingInputIteratorIllEEPS6_NSA_22TransformInputIteratorIb7NonZeroIfEPflEENS0_5tupleIJPlS6_EEENSJ_IJSD_SD_EEES6_SK_JS6_EEE10hipError_tPvRmT3_T4_T5_T6_T7_T9_mT8_P12ihipStream_tbDpT10_ENKUlT_T0_E_clISt17integral_constantIbLb0EES16_EEDaS11_S12_EUlS11_E_NS1_11comp_targetILNS1_3genE0ELNS1_11target_archE4294967295ELNS1_3gpuE0ELNS1_3repE0EEENS1_30default_config_static_selectorELNS0_4arch9wavefront6targetE0EEEvT1_
; %bb.0:
	.section	.rodata,"a",@progbits
	.p2align	6, 0x0
	.amdhsa_kernel _ZN7rocprim17ROCPRIM_400000_NS6detail17trampoline_kernelINS0_14default_configENS1_25partition_config_selectorILNS1_17partition_subalgoE5ElNS0_10empty_typeEbEEZZNS1_14partition_implILS5_5ELb0ES3_mN6hipcub16HIPCUB_304000_NS21CountingInputIteratorIllEEPS6_NSA_22TransformInputIteratorIb7NonZeroIfEPflEENS0_5tupleIJPlS6_EEENSJ_IJSD_SD_EEES6_SK_JS6_EEE10hipError_tPvRmT3_T4_T5_T6_T7_T9_mT8_P12ihipStream_tbDpT10_ENKUlT_T0_E_clISt17integral_constantIbLb0EES16_EEDaS11_S12_EUlS11_E_NS1_11comp_targetILNS1_3genE0ELNS1_11target_archE4294967295ELNS1_3gpuE0ELNS1_3repE0EEENS1_30default_config_static_selectorELNS0_4arch9wavefront6targetE0EEEvT1_
		.amdhsa_group_segment_fixed_size 0
		.amdhsa_private_segment_fixed_size 0
		.amdhsa_kernarg_size 120
		.amdhsa_user_sgpr_count 15
		.amdhsa_user_sgpr_dispatch_ptr 0
		.amdhsa_user_sgpr_queue_ptr 0
		.amdhsa_user_sgpr_kernarg_segment_ptr 1
		.amdhsa_user_sgpr_dispatch_id 0
		.amdhsa_user_sgpr_private_segment_size 0
		.amdhsa_wavefront_size32 1
		.amdhsa_uses_dynamic_stack 0
		.amdhsa_enable_private_segment 0
		.amdhsa_system_sgpr_workgroup_id_x 1
		.amdhsa_system_sgpr_workgroup_id_y 0
		.amdhsa_system_sgpr_workgroup_id_z 0
		.amdhsa_system_sgpr_workgroup_info 0
		.amdhsa_system_vgpr_workitem_id 0
		.amdhsa_next_free_vgpr 1
		.amdhsa_next_free_sgpr 1
		.amdhsa_reserve_vcc 0
		.amdhsa_float_round_mode_32 0
		.amdhsa_float_round_mode_16_64 0
		.amdhsa_float_denorm_mode_32 3
		.amdhsa_float_denorm_mode_16_64 3
		.amdhsa_dx10_clamp 1
		.amdhsa_ieee_mode 1
		.amdhsa_fp16_overflow 0
		.amdhsa_workgroup_processor_mode 1
		.amdhsa_memory_ordered 1
		.amdhsa_forward_progress 0
		.amdhsa_shared_vgpr_count 0
		.amdhsa_exception_fp_ieee_invalid_op 0
		.amdhsa_exception_fp_denorm_src 0
		.amdhsa_exception_fp_ieee_div_zero 0
		.amdhsa_exception_fp_ieee_overflow 0
		.amdhsa_exception_fp_ieee_underflow 0
		.amdhsa_exception_fp_ieee_inexact 0
		.amdhsa_exception_int_div_zero 0
	.end_amdhsa_kernel
	.section	.text._ZN7rocprim17ROCPRIM_400000_NS6detail17trampoline_kernelINS0_14default_configENS1_25partition_config_selectorILNS1_17partition_subalgoE5ElNS0_10empty_typeEbEEZZNS1_14partition_implILS5_5ELb0ES3_mN6hipcub16HIPCUB_304000_NS21CountingInputIteratorIllEEPS6_NSA_22TransformInputIteratorIb7NonZeroIfEPflEENS0_5tupleIJPlS6_EEENSJ_IJSD_SD_EEES6_SK_JS6_EEE10hipError_tPvRmT3_T4_T5_T6_T7_T9_mT8_P12ihipStream_tbDpT10_ENKUlT_T0_E_clISt17integral_constantIbLb0EES16_EEDaS11_S12_EUlS11_E_NS1_11comp_targetILNS1_3genE0ELNS1_11target_archE4294967295ELNS1_3gpuE0ELNS1_3repE0EEENS1_30default_config_static_selectorELNS0_4arch9wavefront6targetE0EEEvT1_,"axG",@progbits,_ZN7rocprim17ROCPRIM_400000_NS6detail17trampoline_kernelINS0_14default_configENS1_25partition_config_selectorILNS1_17partition_subalgoE5ElNS0_10empty_typeEbEEZZNS1_14partition_implILS5_5ELb0ES3_mN6hipcub16HIPCUB_304000_NS21CountingInputIteratorIllEEPS6_NSA_22TransformInputIteratorIb7NonZeroIfEPflEENS0_5tupleIJPlS6_EEENSJ_IJSD_SD_EEES6_SK_JS6_EEE10hipError_tPvRmT3_T4_T5_T6_T7_T9_mT8_P12ihipStream_tbDpT10_ENKUlT_T0_E_clISt17integral_constantIbLb0EES16_EEDaS11_S12_EUlS11_E_NS1_11comp_targetILNS1_3genE0ELNS1_11target_archE4294967295ELNS1_3gpuE0ELNS1_3repE0EEENS1_30default_config_static_selectorELNS0_4arch9wavefront6targetE0EEEvT1_,comdat
.Lfunc_end253:
	.size	_ZN7rocprim17ROCPRIM_400000_NS6detail17trampoline_kernelINS0_14default_configENS1_25partition_config_selectorILNS1_17partition_subalgoE5ElNS0_10empty_typeEbEEZZNS1_14partition_implILS5_5ELb0ES3_mN6hipcub16HIPCUB_304000_NS21CountingInputIteratorIllEEPS6_NSA_22TransformInputIteratorIb7NonZeroIfEPflEENS0_5tupleIJPlS6_EEENSJ_IJSD_SD_EEES6_SK_JS6_EEE10hipError_tPvRmT3_T4_T5_T6_T7_T9_mT8_P12ihipStream_tbDpT10_ENKUlT_T0_E_clISt17integral_constantIbLb0EES16_EEDaS11_S12_EUlS11_E_NS1_11comp_targetILNS1_3genE0ELNS1_11target_archE4294967295ELNS1_3gpuE0ELNS1_3repE0EEENS1_30default_config_static_selectorELNS0_4arch9wavefront6targetE0EEEvT1_, .Lfunc_end253-_ZN7rocprim17ROCPRIM_400000_NS6detail17trampoline_kernelINS0_14default_configENS1_25partition_config_selectorILNS1_17partition_subalgoE5ElNS0_10empty_typeEbEEZZNS1_14partition_implILS5_5ELb0ES3_mN6hipcub16HIPCUB_304000_NS21CountingInputIteratorIllEEPS6_NSA_22TransformInputIteratorIb7NonZeroIfEPflEENS0_5tupleIJPlS6_EEENSJ_IJSD_SD_EEES6_SK_JS6_EEE10hipError_tPvRmT3_T4_T5_T6_T7_T9_mT8_P12ihipStream_tbDpT10_ENKUlT_T0_E_clISt17integral_constantIbLb0EES16_EEDaS11_S12_EUlS11_E_NS1_11comp_targetILNS1_3genE0ELNS1_11target_archE4294967295ELNS1_3gpuE0ELNS1_3repE0EEENS1_30default_config_static_selectorELNS0_4arch9wavefront6targetE0EEEvT1_
                                        ; -- End function
	.section	.AMDGPU.csdata,"",@progbits
; Kernel info:
; codeLenInByte = 0
; NumSgprs: 0
; NumVgprs: 0
; ScratchSize: 0
; MemoryBound: 0
; FloatMode: 240
; IeeeMode: 1
; LDSByteSize: 0 bytes/workgroup (compile time only)
; SGPRBlocks: 0
; VGPRBlocks: 0
; NumSGPRsForWavesPerEU: 1
; NumVGPRsForWavesPerEU: 1
; Occupancy: 16
; WaveLimiterHint : 0
; COMPUTE_PGM_RSRC2:SCRATCH_EN: 0
; COMPUTE_PGM_RSRC2:USER_SGPR: 15
; COMPUTE_PGM_RSRC2:TRAP_HANDLER: 0
; COMPUTE_PGM_RSRC2:TGID_X_EN: 1
; COMPUTE_PGM_RSRC2:TGID_Y_EN: 0
; COMPUTE_PGM_RSRC2:TGID_Z_EN: 0
; COMPUTE_PGM_RSRC2:TIDIG_COMP_CNT: 0
	.section	.text._ZN7rocprim17ROCPRIM_400000_NS6detail17trampoline_kernelINS0_14default_configENS1_25partition_config_selectorILNS1_17partition_subalgoE5ElNS0_10empty_typeEbEEZZNS1_14partition_implILS5_5ELb0ES3_mN6hipcub16HIPCUB_304000_NS21CountingInputIteratorIllEEPS6_NSA_22TransformInputIteratorIb7NonZeroIfEPflEENS0_5tupleIJPlS6_EEENSJ_IJSD_SD_EEES6_SK_JS6_EEE10hipError_tPvRmT3_T4_T5_T6_T7_T9_mT8_P12ihipStream_tbDpT10_ENKUlT_T0_E_clISt17integral_constantIbLb0EES16_EEDaS11_S12_EUlS11_E_NS1_11comp_targetILNS1_3genE5ELNS1_11target_archE942ELNS1_3gpuE9ELNS1_3repE0EEENS1_30default_config_static_selectorELNS0_4arch9wavefront6targetE0EEEvT1_,"axG",@progbits,_ZN7rocprim17ROCPRIM_400000_NS6detail17trampoline_kernelINS0_14default_configENS1_25partition_config_selectorILNS1_17partition_subalgoE5ElNS0_10empty_typeEbEEZZNS1_14partition_implILS5_5ELb0ES3_mN6hipcub16HIPCUB_304000_NS21CountingInputIteratorIllEEPS6_NSA_22TransformInputIteratorIb7NonZeroIfEPflEENS0_5tupleIJPlS6_EEENSJ_IJSD_SD_EEES6_SK_JS6_EEE10hipError_tPvRmT3_T4_T5_T6_T7_T9_mT8_P12ihipStream_tbDpT10_ENKUlT_T0_E_clISt17integral_constantIbLb0EES16_EEDaS11_S12_EUlS11_E_NS1_11comp_targetILNS1_3genE5ELNS1_11target_archE942ELNS1_3gpuE9ELNS1_3repE0EEENS1_30default_config_static_selectorELNS0_4arch9wavefront6targetE0EEEvT1_,comdat
	.protected	_ZN7rocprim17ROCPRIM_400000_NS6detail17trampoline_kernelINS0_14default_configENS1_25partition_config_selectorILNS1_17partition_subalgoE5ElNS0_10empty_typeEbEEZZNS1_14partition_implILS5_5ELb0ES3_mN6hipcub16HIPCUB_304000_NS21CountingInputIteratorIllEEPS6_NSA_22TransformInputIteratorIb7NonZeroIfEPflEENS0_5tupleIJPlS6_EEENSJ_IJSD_SD_EEES6_SK_JS6_EEE10hipError_tPvRmT3_T4_T5_T6_T7_T9_mT8_P12ihipStream_tbDpT10_ENKUlT_T0_E_clISt17integral_constantIbLb0EES16_EEDaS11_S12_EUlS11_E_NS1_11comp_targetILNS1_3genE5ELNS1_11target_archE942ELNS1_3gpuE9ELNS1_3repE0EEENS1_30default_config_static_selectorELNS0_4arch9wavefront6targetE0EEEvT1_ ; -- Begin function _ZN7rocprim17ROCPRIM_400000_NS6detail17trampoline_kernelINS0_14default_configENS1_25partition_config_selectorILNS1_17partition_subalgoE5ElNS0_10empty_typeEbEEZZNS1_14partition_implILS5_5ELb0ES3_mN6hipcub16HIPCUB_304000_NS21CountingInputIteratorIllEEPS6_NSA_22TransformInputIteratorIb7NonZeroIfEPflEENS0_5tupleIJPlS6_EEENSJ_IJSD_SD_EEES6_SK_JS6_EEE10hipError_tPvRmT3_T4_T5_T6_T7_T9_mT8_P12ihipStream_tbDpT10_ENKUlT_T0_E_clISt17integral_constantIbLb0EES16_EEDaS11_S12_EUlS11_E_NS1_11comp_targetILNS1_3genE5ELNS1_11target_archE942ELNS1_3gpuE9ELNS1_3repE0EEENS1_30default_config_static_selectorELNS0_4arch9wavefront6targetE0EEEvT1_
	.globl	_ZN7rocprim17ROCPRIM_400000_NS6detail17trampoline_kernelINS0_14default_configENS1_25partition_config_selectorILNS1_17partition_subalgoE5ElNS0_10empty_typeEbEEZZNS1_14partition_implILS5_5ELb0ES3_mN6hipcub16HIPCUB_304000_NS21CountingInputIteratorIllEEPS6_NSA_22TransformInputIteratorIb7NonZeroIfEPflEENS0_5tupleIJPlS6_EEENSJ_IJSD_SD_EEES6_SK_JS6_EEE10hipError_tPvRmT3_T4_T5_T6_T7_T9_mT8_P12ihipStream_tbDpT10_ENKUlT_T0_E_clISt17integral_constantIbLb0EES16_EEDaS11_S12_EUlS11_E_NS1_11comp_targetILNS1_3genE5ELNS1_11target_archE942ELNS1_3gpuE9ELNS1_3repE0EEENS1_30default_config_static_selectorELNS0_4arch9wavefront6targetE0EEEvT1_
	.p2align	8
	.type	_ZN7rocprim17ROCPRIM_400000_NS6detail17trampoline_kernelINS0_14default_configENS1_25partition_config_selectorILNS1_17partition_subalgoE5ElNS0_10empty_typeEbEEZZNS1_14partition_implILS5_5ELb0ES3_mN6hipcub16HIPCUB_304000_NS21CountingInputIteratorIllEEPS6_NSA_22TransformInputIteratorIb7NonZeroIfEPflEENS0_5tupleIJPlS6_EEENSJ_IJSD_SD_EEES6_SK_JS6_EEE10hipError_tPvRmT3_T4_T5_T6_T7_T9_mT8_P12ihipStream_tbDpT10_ENKUlT_T0_E_clISt17integral_constantIbLb0EES16_EEDaS11_S12_EUlS11_E_NS1_11comp_targetILNS1_3genE5ELNS1_11target_archE942ELNS1_3gpuE9ELNS1_3repE0EEENS1_30default_config_static_selectorELNS0_4arch9wavefront6targetE0EEEvT1_,@function
_ZN7rocprim17ROCPRIM_400000_NS6detail17trampoline_kernelINS0_14default_configENS1_25partition_config_selectorILNS1_17partition_subalgoE5ElNS0_10empty_typeEbEEZZNS1_14partition_implILS5_5ELb0ES3_mN6hipcub16HIPCUB_304000_NS21CountingInputIteratorIllEEPS6_NSA_22TransformInputIteratorIb7NonZeroIfEPflEENS0_5tupleIJPlS6_EEENSJ_IJSD_SD_EEES6_SK_JS6_EEE10hipError_tPvRmT3_T4_T5_T6_T7_T9_mT8_P12ihipStream_tbDpT10_ENKUlT_T0_E_clISt17integral_constantIbLb0EES16_EEDaS11_S12_EUlS11_E_NS1_11comp_targetILNS1_3genE5ELNS1_11target_archE942ELNS1_3gpuE9ELNS1_3repE0EEENS1_30default_config_static_selectorELNS0_4arch9wavefront6targetE0EEEvT1_: ; @_ZN7rocprim17ROCPRIM_400000_NS6detail17trampoline_kernelINS0_14default_configENS1_25partition_config_selectorILNS1_17partition_subalgoE5ElNS0_10empty_typeEbEEZZNS1_14partition_implILS5_5ELb0ES3_mN6hipcub16HIPCUB_304000_NS21CountingInputIteratorIllEEPS6_NSA_22TransformInputIteratorIb7NonZeroIfEPflEENS0_5tupleIJPlS6_EEENSJ_IJSD_SD_EEES6_SK_JS6_EEE10hipError_tPvRmT3_T4_T5_T6_T7_T9_mT8_P12ihipStream_tbDpT10_ENKUlT_T0_E_clISt17integral_constantIbLb0EES16_EEDaS11_S12_EUlS11_E_NS1_11comp_targetILNS1_3genE5ELNS1_11target_archE942ELNS1_3gpuE9ELNS1_3repE0EEENS1_30default_config_static_selectorELNS0_4arch9wavefront6targetE0EEEvT1_
; %bb.0:
	.section	.rodata,"a",@progbits
	.p2align	6, 0x0
	.amdhsa_kernel _ZN7rocprim17ROCPRIM_400000_NS6detail17trampoline_kernelINS0_14default_configENS1_25partition_config_selectorILNS1_17partition_subalgoE5ElNS0_10empty_typeEbEEZZNS1_14partition_implILS5_5ELb0ES3_mN6hipcub16HIPCUB_304000_NS21CountingInputIteratorIllEEPS6_NSA_22TransformInputIteratorIb7NonZeroIfEPflEENS0_5tupleIJPlS6_EEENSJ_IJSD_SD_EEES6_SK_JS6_EEE10hipError_tPvRmT3_T4_T5_T6_T7_T9_mT8_P12ihipStream_tbDpT10_ENKUlT_T0_E_clISt17integral_constantIbLb0EES16_EEDaS11_S12_EUlS11_E_NS1_11comp_targetILNS1_3genE5ELNS1_11target_archE942ELNS1_3gpuE9ELNS1_3repE0EEENS1_30default_config_static_selectorELNS0_4arch9wavefront6targetE0EEEvT1_
		.amdhsa_group_segment_fixed_size 0
		.amdhsa_private_segment_fixed_size 0
		.amdhsa_kernarg_size 120
		.amdhsa_user_sgpr_count 15
		.amdhsa_user_sgpr_dispatch_ptr 0
		.amdhsa_user_sgpr_queue_ptr 0
		.amdhsa_user_sgpr_kernarg_segment_ptr 1
		.amdhsa_user_sgpr_dispatch_id 0
		.amdhsa_user_sgpr_private_segment_size 0
		.amdhsa_wavefront_size32 1
		.amdhsa_uses_dynamic_stack 0
		.amdhsa_enable_private_segment 0
		.amdhsa_system_sgpr_workgroup_id_x 1
		.amdhsa_system_sgpr_workgroup_id_y 0
		.amdhsa_system_sgpr_workgroup_id_z 0
		.amdhsa_system_sgpr_workgroup_info 0
		.amdhsa_system_vgpr_workitem_id 0
		.amdhsa_next_free_vgpr 1
		.amdhsa_next_free_sgpr 1
		.amdhsa_reserve_vcc 0
		.amdhsa_float_round_mode_32 0
		.amdhsa_float_round_mode_16_64 0
		.amdhsa_float_denorm_mode_32 3
		.amdhsa_float_denorm_mode_16_64 3
		.amdhsa_dx10_clamp 1
		.amdhsa_ieee_mode 1
		.amdhsa_fp16_overflow 0
		.amdhsa_workgroup_processor_mode 1
		.amdhsa_memory_ordered 1
		.amdhsa_forward_progress 0
		.amdhsa_shared_vgpr_count 0
		.amdhsa_exception_fp_ieee_invalid_op 0
		.amdhsa_exception_fp_denorm_src 0
		.amdhsa_exception_fp_ieee_div_zero 0
		.amdhsa_exception_fp_ieee_overflow 0
		.amdhsa_exception_fp_ieee_underflow 0
		.amdhsa_exception_fp_ieee_inexact 0
		.amdhsa_exception_int_div_zero 0
	.end_amdhsa_kernel
	.section	.text._ZN7rocprim17ROCPRIM_400000_NS6detail17trampoline_kernelINS0_14default_configENS1_25partition_config_selectorILNS1_17partition_subalgoE5ElNS0_10empty_typeEbEEZZNS1_14partition_implILS5_5ELb0ES3_mN6hipcub16HIPCUB_304000_NS21CountingInputIteratorIllEEPS6_NSA_22TransformInputIteratorIb7NonZeroIfEPflEENS0_5tupleIJPlS6_EEENSJ_IJSD_SD_EEES6_SK_JS6_EEE10hipError_tPvRmT3_T4_T5_T6_T7_T9_mT8_P12ihipStream_tbDpT10_ENKUlT_T0_E_clISt17integral_constantIbLb0EES16_EEDaS11_S12_EUlS11_E_NS1_11comp_targetILNS1_3genE5ELNS1_11target_archE942ELNS1_3gpuE9ELNS1_3repE0EEENS1_30default_config_static_selectorELNS0_4arch9wavefront6targetE0EEEvT1_,"axG",@progbits,_ZN7rocprim17ROCPRIM_400000_NS6detail17trampoline_kernelINS0_14default_configENS1_25partition_config_selectorILNS1_17partition_subalgoE5ElNS0_10empty_typeEbEEZZNS1_14partition_implILS5_5ELb0ES3_mN6hipcub16HIPCUB_304000_NS21CountingInputIteratorIllEEPS6_NSA_22TransformInputIteratorIb7NonZeroIfEPflEENS0_5tupleIJPlS6_EEENSJ_IJSD_SD_EEES6_SK_JS6_EEE10hipError_tPvRmT3_T4_T5_T6_T7_T9_mT8_P12ihipStream_tbDpT10_ENKUlT_T0_E_clISt17integral_constantIbLb0EES16_EEDaS11_S12_EUlS11_E_NS1_11comp_targetILNS1_3genE5ELNS1_11target_archE942ELNS1_3gpuE9ELNS1_3repE0EEENS1_30default_config_static_selectorELNS0_4arch9wavefront6targetE0EEEvT1_,comdat
.Lfunc_end254:
	.size	_ZN7rocprim17ROCPRIM_400000_NS6detail17trampoline_kernelINS0_14default_configENS1_25partition_config_selectorILNS1_17partition_subalgoE5ElNS0_10empty_typeEbEEZZNS1_14partition_implILS5_5ELb0ES3_mN6hipcub16HIPCUB_304000_NS21CountingInputIteratorIllEEPS6_NSA_22TransformInputIteratorIb7NonZeroIfEPflEENS0_5tupleIJPlS6_EEENSJ_IJSD_SD_EEES6_SK_JS6_EEE10hipError_tPvRmT3_T4_T5_T6_T7_T9_mT8_P12ihipStream_tbDpT10_ENKUlT_T0_E_clISt17integral_constantIbLb0EES16_EEDaS11_S12_EUlS11_E_NS1_11comp_targetILNS1_3genE5ELNS1_11target_archE942ELNS1_3gpuE9ELNS1_3repE0EEENS1_30default_config_static_selectorELNS0_4arch9wavefront6targetE0EEEvT1_, .Lfunc_end254-_ZN7rocprim17ROCPRIM_400000_NS6detail17trampoline_kernelINS0_14default_configENS1_25partition_config_selectorILNS1_17partition_subalgoE5ElNS0_10empty_typeEbEEZZNS1_14partition_implILS5_5ELb0ES3_mN6hipcub16HIPCUB_304000_NS21CountingInputIteratorIllEEPS6_NSA_22TransformInputIteratorIb7NonZeroIfEPflEENS0_5tupleIJPlS6_EEENSJ_IJSD_SD_EEES6_SK_JS6_EEE10hipError_tPvRmT3_T4_T5_T6_T7_T9_mT8_P12ihipStream_tbDpT10_ENKUlT_T0_E_clISt17integral_constantIbLb0EES16_EEDaS11_S12_EUlS11_E_NS1_11comp_targetILNS1_3genE5ELNS1_11target_archE942ELNS1_3gpuE9ELNS1_3repE0EEENS1_30default_config_static_selectorELNS0_4arch9wavefront6targetE0EEEvT1_
                                        ; -- End function
	.section	.AMDGPU.csdata,"",@progbits
; Kernel info:
; codeLenInByte = 0
; NumSgprs: 0
; NumVgprs: 0
; ScratchSize: 0
; MemoryBound: 0
; FloatMode: 240
; IeeeMode: 1
; LDSByteSize: 0 bytes/workgroup (compile time only)
; SGPRBlocks: 0
; VGPRBlocks: 0
; NumSGPRsForWavesPerEU: 1
; NumVGPRsForWavesPerEU: 1
; Occupancy: 16
; WaveLimiterHint : 0
; COMPUTE_PGM_RSRC2:SCRATCH_EN: 0
; COMPUTE_PGM_RSRC2:USER_SGPR: 15
; COMPUTE_PGM_RSRC2:TRAP_HANDLER: 0
; COMPUTE_PGM_RSRC2:TGID_X_EN: 1
; COMPUTE_PGM_RSRC2:TGID_Y_EN: 0
; COMPUTE_PGM_RSRC2:TGID_Z_EN: 0
; COMPUTE_PGM_RSRC2:TIDIG_COMP_CNT: 0
	.section	.text._ZN7rocprim17ROCPRIM_400000_NS6detail17trampoline_kernelINS0_14default_configENS1_25partition_config_selectorILNS1_17partition_subalgoE5ElNS0_10empty_typeEbEEZZNS1_14partition_implILS5_5ELb0ES3_mN6hipcub16HIPCUB_304000_NS21CountingInputIteratorIllEEPS6_NSA_22TransformInputIteratorIb7NonZeroIfEPflEENS0_5tupleIJPlS6_EEENSJ_IJSD_SD_EEES6_SK_JS6_EEE10hipError_tPvRmT3_T4_T5_T6_T7_T9_mT8_P12ihipStream_tbDpT10_ENKUlT_T0_E_clISt17integral_constantIbLb0EES16_EEDaS11_S12_EUlS11_E_NS1_11comp_targetILNS1_3genE4ELNS1_11target_archE910ELNS1_3gpuE8ELNS1_3repE0EEENS1_30default_config_static_selectorELNS0_4arch9wavefront6targetE0EEEvT1_,"axG",@progbits,_ZN7rocprim17ROCPRIM_400000_NS6detail17trampoline_kernelINS0_14default_configENS1_25partition_config_selectorILNS1_17partition_subalgoE5ElNS0_10empty_typeEbEEZZNS1_14partition_implILS5_5ELb0ES3_mN6hipcub16HIPCUB_304000_NS21CountingInputIteratorIllEEPS6_NSA_22TransformInputIteratorIb7NonZeroIfEPflEENS0_5tupleIJPlS6_EEENSJ_IJSD_SD_EEES6_SK_JS6_EEE10hipError_tPvRmT3_T4_T5_T6_T7_T9_mT8_P12ihipStream_tbDpT10_ENKUlT_T0_E_clISt17integral_constantIbLb0EES16_EEDaS11_S12_EUlS11_E_NS1_11comp_targetILNS1_3genE4ELNS1_11target_archE910ELNS1_3gpuE8ELNS1_3repE0EEENS1_30default_config_static_selectorELNS0_4arch9wavefront6targetE0EEEvT1_,comdat
	.protected	_ZN7rocprim17ROCPRIM_400000_NS6detail17trampoline_kernelINS0_14default_configENS1_25partition_config_selectorILNS1_17partition_subalgoE5ElNS0_10empty_typeEbEEZZNS1_14partition_implILS5_5ELb0ES3_mN6hipcub16HIPCUB_304000_NS21CountingInputIteratorIllEEPS6_NSA_22TransformInputIteratorIb7NonZeroIfEPflEENS0_5tupleIJPlS6_EEENSJ_IJSD_SD_EEES6_SK_JS6_EEE10hipError_tPvRmT3_T4_T5_T6_T7_T9_mT8_P12ihipStream_tbDpT10_ENKUlT_T0_E_clISt17integral_constantIbLb0EES16_EEDaS11_S12_EUlS11_E_NS1_11comp_targetILNS1_3genE4ELNS1_11target_archE910ELNS1_3gpuE8ELNS1_3repE0EEENS1_30default_config_static_selectorELNS0_4arch9wavefront6targetE0EEEvT1_ ; -- Begin function _ZN7rocprim17ROCPRIM_400000_NS6detail17trampoline_kernelINS0_14default_configENS1_25partition_config_selectorILNS1_17partition_subalgoE5ElNS0_10empty_typeEbEEZZNS1_14partition_implILS5_5ELb0ES3_mN6hipcub16HIPCUB_304000_NS21CountingInputIteratorIllEEPS6_NSA_22TransformInputIteratorIb7NonZeroIfEPflEENS0_5tupleIJPlS6_EEENSJ_IJSD_SD_EEES6_SK_JS6_EEE10hipError_tPvRmT3_T4_T5_T6_T7_T9_mT8_P12ihipStream_tbDpT10_ENKUlT_T0_E_clISt17integral_constantIbLb0EES16_EEDaS11_S12_EUlS11_E_NS1_11comp_targetILNS1_3genE4ELNS1_11target_archE910ELNS1_3gpuE8ELNS1_3repE0EEENS1_30default_config_static_selectorELNS0_4arch9wavefront6targetE0EEEvT1_
	.globl	_ZN7rocprim17ROCPRIM_400000_NS6detail17trampoline_kernelINS0_14default_configENS1_25partition_config_selectorILNS1_17partition_subalgoE5ElNS0_10empty_typeEbEEZZNS1_14partition_implILS5_5ELb0ES3_mN6hipcub16HIPCUB_304000_NS21CountingInputIteratorIllEEPS6_NSA_22TransformInputIteratorIb7NonZeroIfEPflEENS0_5tupleIJPlS6_EEENSJ_IJSD_SD_EEES6_SK_JS6_EEE10hipError_tPvRmT3_T4_T5_T6_T7_T9_mT8_P12ihipStream_tbDpT10_ENKUlT_T0_E_clISt17integral_constantIbLb0EES16_EEDaS11_S12_EUlS11_E_NS1_11comp_targetILNS1_3genE4ELNS1_11target_archE910ELNS1_3gpuE8ELNS1_3repE0EEENS1_30default_config_static_selectorELNS0_4arch9wavefront6targetE0EEEvT1_
	.p2align	8
	.type	_ZN7rocprim17ROCPRIM_400000_NS6detail17trampoline_kernelINS0_14default_configENS1_25partition_config_selectorILNS1_17partition_subalgoE5ElNS0_10empty_typeEbEEZZNS1_14partition_implILS5_5ELb0ES3_mN6hipcub16HIPCUB_304000_NS21CountingInputIteratorIllEEPS6_NSA_22TransformInputIteratorIb7NonZeroIfEPflEENS0_5tupleIJPlS6_EEENSJ_IJSD_SD_EEES6_SK_JS6_EEE10hipError_tPvRmT3_T4_T5_T6_T7_T9_mT8_P12ihipStream_tbDpT10_ENKUlT_T0_E_clISt17integral_constantIbLb0EES16_EEDaS11_S12_EUlS11_E_NS1_11comp_targetILNS1_3genE4ELNS1_11target_archE910ELNS1_3gpuE8ELNS1_3repE0EEENS1_30default_config_static_selectorELNS0_4arch9wavefront6targetE0EEEvT1_,@function
_ZN7rocprim17ROCPRIM_400000_NS6detail17trampoline_kernelINS0_14default_configENS1_25partition_config_selectorILNS1_17partition_subalgoE5ElNS0_10empty_typeEbEEZZNS1_14partition_implILS5_5ELb0ES3_mN6hipcub16HIPCUB_304000_NS21CountingInputIteratorIllEEPS6_NSA_22TransformInputIteratorIb7NonZeroIfEPflEENS0_5tupleIJPlS6_EEENSJ_IJSD_SD_EEES6_SK_JS6_EEE10hipError_tPvRmT3_T4_T5_T6_T7_T9_mT8_P12ihipStream_tbDpT10_ENKUlT_T0_E_clISt17integral_constantIbLb0EES16_EEDaS11_S12_EUlS11_E_NS1_11comp_targetILNS1_3genE4ELNS1_11target_archE910ELNS1_3gpuE8ELNS1_3repE0EEENS1_30default_config_static_selectorELNS0_4arch9wavefront6targetE0EEEvT1_: ; @_ZN7rocprim17ROCPRIM_400000_NS6detail17trampoline_kernelINS0_14default_configENS1_25partition_config_selectorILNS1_17partition_subalgoE5ElNS0_10empty_typeEbEEZZNS1_14partition_implILS5_5ELb0ES3_mN6hipcub16HIPCUB_304000_NS21CountingInputIteratorIllEEPS6_NSA_22TransformInputIteratorIb7NonZeroIfEPflEENS0_5tupleIJPlS6_EEENSJ_IJSD_SD_EEES6_SK_JS6_EEE10hipError_tPvRmT3_T4_T5_T6_T7_T9_mT8_P12ihipStream_tbDpT10_ENKUlT_T0_E_clISt17integral_constantIbLb0EES16_EEDaS11_S12_EUlS11_E_NS1_11comp_targetILNS1_3genE4ELNS1_11target_archE910ELNS1_3gpuE8ELNS1_3repE0EEENS1_30default_config_static_selectorELNS0_4arch9wavefront6targetE0EEEvT1_
; %bb.0:
	.section	.rodata,"a",@progbits
	.p2align	6, 0x0
	.amdhsa_kernel _ZN7rocprim17ROCPRIM_400000_NS6detail17trampoline_kernelINS0_14default_configENS1_25partition_config_selectorILNS1_17partition_subalgoE5ElNS0_10empty_typeEbEEZZNS1_14partition_implILS5_5ELb0ES3_mN6hipcub16HIPCUB_304000_NS21CountingInputIteratorIllEEPS6_NSA_22TransformInputIteratorIb7NonZeroIfEPflEENS0_5tupleIJPlS6_EEENSJ_IJSD_SD_EEES6_SK_JS6_EEE10hipError_tPvRmT3_T4_T5_T6_T7_T9_mT8_P12ihipStream_tbDpT10_ENKUlT_T0_E_clISt17integral_constantIbLb0EES16_EEDaS11_S12_EUlS11_E_NS1_11comp_targetILNS1_3genE4ELNS1_11target_archE910ELNS1_3gpuE8ELNS1_3repE0EEENS1_30default_config_static_selectorELNS0_4arch9wavefront6targetE0EEEvT1_
		.amdhsa_group_segment_fixed_size 0
		.amdhsa_private_segment_fixed_size 0
		.amdhsa_kernarg_size 120
		.amdhsa_user_sgpr_count 15
		.amdhsa_user_sgpr_dispatch_ptr 0
		.amdhsa_user_sgpr_queue_ptr 0
		.amdhsa_user_sgpr_kernarg_segment_ptr 1
		.amdhsa_user_sgpr_dispatch_id 0
		.amdhsa_user_sgpr_private_segment_size 0
		.amdhsa_wavefront_size32 1
		.amdhsa_uses_dynamic_stack 0
		.amdhsa_enable_private_segment 0
		.amdhsa_system_sgpr_workgroup_id_x 1
		.amdhsa_system_sgpr_workgroup_id_y 0
		.amdhsa_system_sgpr_workgroup_id_z 0
		.amdhsa_system_sgpr_workgroup_info 0
		.amdhsa_system_vgpr_workitem_id 0
		.amdhsa_next_free_vgpr 1
		.amdhsa_next_free_sgpr 1
		.amdhsa_reserve_vcc 0
		.amdhsa_float_round_mode_32 0
		.amdhsa_float_round_mode_16_64 0
		.amdhsa_float_denorm_mode_32 3
		.amdhsa_float_denorm_mode_16_64 3
		.amdhsa_dx10_clamp 1
		.amdhsa_ieee_mode 1
		.amdhsa_fp16_overflow 0
		.amdhsa_workgroup_processor_mode 1
		.amdhsa_memory_ordered 1
		.amdhsa_forward_progress 0
		.amdhsa_shared_vgpr_count 0
		.amdhsa_exception_fp_ieee_invalid_op 0
		.amdhsa_exception_fp_denorm_src 0
		.amdhsa_exception_fp_ieee_div_zero 0
		.amdhsa_exception_fp_ieee_overflow 0
		.amdhsa_exception_fp_ieee_underflow 0
		.amdhsa_exception_fp_ieee_inexact 0
		.amdhsa_exception_int_div_zero 0
	.end_amdhsa_kernel
	.section	.text._ZN7rocprim17ROCPRIM_400000_NS6detail17trampoline_kernelINS0_14default_configENS1_25partition_config_selectorILNS1_17partition_subalgoE5ElNS0_10empty_typeEbEEZZNS1_14partition_implILS5_5ELb0ES3_mN6hipcub16HIPCUB_304000_NS21CountingInputIteratorIllEEPS6_NSA_22TransformInputIteratorIb7NonZeroIfEPflEENS0_5tupleIJPlS6_EEENSJ_IJSD_SD_EEES6_SK_JS6_EEE10hipError_tPvRmT3_T4_T5_T6_T7_T9_mT8_P12ihipStream_tbDpT10_ENKUlT_T0_E_clISt17integral_constantIbLb0EES16_EEDaS11_S12_EUlS11_E_NS1_11comp_targetILNS1_3genE4ELNS1_11target_archE910ELNS1_3gpuE8ELNS1_3repE0EEENS1_30default_config_static_selectorELNS0_4arch9wavefront6targetE0EEEvT1_,"axG",@progbits,_ZN7rocprim17ROCPRIM_400000_NS6detail17trampoline_kernelINS0_14default_configENS1_25partition_config_selectorILNS1_17partition_subalgoE5ElNS0_10empty_typeEbEEZZNS1_14partition_implILS5_5ELb0ES3_mN6hipcub16HIPCUB_304000_NS21CountingInputIteratorIllEEPS6_NSA_22TransformInputIteratorIb7NonZeroIfEPflEENS0_5tupleIJPlS6_EEENSJ_IJSD_SD_EEES6_SK_JS6_EEE10hipError_tPvRmT3_T4_T5_T6_T7_T9_mT8_P12ihipStream_tbDpT10_ENKUlT_T0_E_clISt17integral_constantIbLb0EES16_EEDaS11_S12_EUlS11_E_NS1_11comp_targetILNS1_3genE4ELNS1_11target_archE910ELNS1_3gpuE8ELNS1_3repE0EEENS1_30default_config_static_selectorELNS0_4arch9wavefront6targetE0EEEvT1_,comdat
.Lfunc_end255:
	.size	_ZN7rocprim17ROCPRIM_400000_NS6detail17trampoline_kernelINS0_14default_configENS1_25partition_config_selectorILNS1_17partition_subalgoE5ElNS0_10empty_typeEbEEZZNS1_14partition_implILS5_5ELb0ES3_mN6hipcub16HIPCUB_304000_NS21CountingInputIteratorIllEEPS6_NSA_22TransformInputIteratorIb7NonZeroIfEPflEENS0_5tupleIJPlS6_EEENSJ_IJSD_SD_EEES6_SK_JS6_EEE10hipError_tPvRmT3_T4_T5_T6_T7_T9_mT8_P12ihipStream_tbDpT10_ENKUlT_T0_E_clISt17integral_constantIbLb0EES16_EEDaS11_S12_EUlS11_E_NS1_11comp_targetILNS1_3genE4ELNS1_11target_archE910ELNS1_3gpuE8ELNS1_3repE0EEENS1_30default_config_static_selectorELNS0_4arch9wavefront6targetE0EEEvT1_, .Lfunc_end255-_ZN7rocprim17ROCPRIM_400000_NS6detail17trampoline_kernelINS0_14default_configENS1_25partition_config_selectorILNS1_17partition_subalgoE5ElNS0_10empty_typeEbEEZZNS1_14partition_implILS5_5ELb0ES3_mN6hipcub16HIPCUB_304000_NS21CountingInputIteratorIllEEPS6_NSA_22TransformInputIteratorIb7NonZeroIfEPflEENS0_5tupleIJPlS6_EEENSJ_IJSD_SD_EEES6_SK_JS6_EEE10hipError_tPvRmT3_T4_T5_T6_T7_T9_mT8_P12ihipStream_tbDpT10_ENKUlT_T0_E_clISt17integral_constantIbLb0EES16_EEDaS11_S12_EUlS11_E_NS1_11comp_targetILNS1_3genE4ELNS1_11target_archE910ELNS1_3gpuE8ELNS1_3repE0EEENS1_30default_config_static_selectorELNS0_4arch9wavefront6targetE0EEEvT1_
                                        ; -- End function
	.section	.AMDGPU.csdata,"",@progbits
; Kernel info:
; codeLenInByte = 0
; NumSgprs: 0
; NumVgprs: 0
; ScratchSize: 0
; MemoryBound: 0
; FloatMode: 240
; IeeeMode: 1
; LDSByteSize: 0 bytes/workgroup (compile time only)
; SGPRBlocks: 0
; VGPRBlocks: 0
; NumSGPRsForWavesPerEU: 1
; NumVGPRsForWavesPerEU: 1
; Occupancy: 15
; WaveLimiterHint : 0
; COMPUTE_PGM_RSRC2:SCRATCH_EN: 0
; COMPUTE_PGM_RSRC2:USER_SGPR: 15
; COMPUTE_PGM_RSRC2:TRAP_HANDLER: 0
; COMPUTE_PGM_RSRC2:TGID_X_EN: 1
; COMPUTE_PGM_RSRC2:TGID_Y_EN: 0
; COMPUTE_PGM_RSRC2:TGID_Z_EN: 0
; COMPUTE_PGM_RSRC2:TIDIG_COMP_CNT: 0
	.section	.text._ZN7rocprim17ROCPRIM_400000_NS6detail17trampoline_kernelINS0_14default_configENS1_25partition_config_selectorILNS1_17partition_subalgoE5ElNS0_10empty_typeEbEEZZNS1_14partition_implILS5_5ELb0ES3_mN6hipcub16HIPCUB_304000_NS21CountingInputIteratorIllEEPS6_NSA_22TransformInputIteratorIb7NonZeroIfEPflEENS0_5tupleIJPlS6_EEENSJ_IJSD_SD_EEES6_SK_JS6_EEE10hipError_tPvRmT3_T4_T5_T6_T7_T9_mT8_P12ihipStream_tbDpT10_ENKUlT_T0_E_clISt17integral_constantIbLb0EES16_EEDaS11_S12_EUlS11_E_NS1_11comp_targetILNS1_3genE3ELNS1_11target_archE908ELNS1_3gpuE7ELNS1_3repE0EEENS1_30default_config_static_selectorELNS0_4arch9wavefront6targetE0EEEvT1_,"axG",@progbits,_ZN7rocprim17ROCPRIM_400000_NS6detail17trampoline_kernelINS0_14default_configENS1_25partition_config_selectorILNS1_17partition_subalgoE5ElNS0_10empty_typeEbEEZZNS1_14partition_implILS5_5ELb0ES3_mN6hipcub16HIPCUB_304000_NS21CountingInputIteratorIllEEPS6_NSA_22TransformInputIteratorIb7NonZeroIfEPflEENS0_5tupleIJPlS6_EEENSJ_IJSD_SD_EEES6_SK_JS6_EEE10hipError_tPvRmT3_T4_T5_T6_T7_T9_mT8_P12ihipStream_tbDpT10_ENKUlT_T0_E_clISt17integral_constantIbLb0EES16_EEDaS11_S12_EUlS11_E_NS1_11comp_targetILNS1_3genE3ELNS1_11target_archE908ELNS1_3gpuE7ELNS1_3repE0EEENS1_30default_config_static_selectorELNS0_4arch9wavefront6targetE0EEEvT1_,comdat
	.protected	_ZN7rocprim17ROCPRIM_400000_NS6detail17trampoline_kernelINS0_14default_configENS1_25partition_config_selectorILNS1_17partition_subalgoE5ElNS0_10empty_typeEbEEZZNS1_14partition_implILS5_5ELb0ES3_mN6hipcub16HIPCUB_304000_NS21CountingInputIteratorIllEEPS6_NSA_22TransformInputIteratorIb7NonZeroIfEPflEENS0_5tupleIJPlS6_EEENSJ_IJSD_SD_EEES6_SK_JS6_EEE10hipError_tPvRmT3_T4_T5_T6_T7_T9_mT8_P12ihipStream_tbDpT10_ENKUlT_T0_E_clISt17integral_constantIbLb0EES16_EEDaS11_S12_EUlS11_E_NS1_11comp_targetILNS1_3genE3ELNS1_11target_archE908ELNS1_3gpuE7ELNS1_3repE0EEENS1_30default_config_static_selectorELNS0_4arch9wavefront6targetE0EEEvT1_ ; -- Begin function _ZN7rocprim17ROCPRIM_400000_NS6detail17trampoline_kernelINS0_14default_configENS1_25partition_config_selectorILNS1_17partition_subalgoE5ElNS0_10empty_typeEbEEZZNS1_14partition_implILS5_5ELb0ES3_mN6hipcub16HIPCUB_304000_NS21CountingInputIteratorIllEEPS6_NSA_22TransformInputIteratorIb7NonZeroIfEPflEENS0_5tupleIJPlS6_EEENSJ_IJSD_SD_EEES6_SK_JS6_EEE10hipError_tPvRmT3_T4_T5_T6_T7_T9_mT8_P12ihipStream_tbDpT10_ENKUlT_T0_E_clISt17integral_constantIbLb0EES16_EEDaS11_S12_EUlS11_E_NS1_11comp_targetILNS1_3genE3ELNS1_11target_archE908ELNS1_3gpuE7ELNS1_3repE0EEENS1_30default_config_static_selectorELNS0_4arch9wavefront6targetE0EEEvT1_
	.globl	_ZN7rocprim17ROCPRIM_400000_NS6detail17trampoline_kernelINS0_14default_configENS1_25partition_config_selectorILNS1_17partition_subalgoE5ElNS0_10empty_typeEbEEZZNS1_14partition_implILS5_5ELb0ES3_mN6hipcub16HIPCUB_304000_NS21CountingInputIteratorIllEEPS6_NSA_22TransformInputIteratorIb7NonZeroIfEPflEENS0_5tupleIJPlS6_EEENSJ_IJSD_SD_EEES6_SK_JS6_EEE10hipError_tPvRmT3_T4_T5_T6_T7_T9_mT8_P12ihipStream_tbDpT10_ENKUlT_T0_E_clISt17integral_constantIbLb0EES16_EEDaS11_S12_EUlS11_E_NS1_11comp_targetILNS1_3genE3ELNS1_11target_archE908ELNS1_3gpuE7ELNS1_3repE0EEENS1_30default_config_static_selectorELNS0_4arch9wavefront6targetE0EEEvT1_
	.p2align	8
	.type	_ZN7rocprim17ROCPRIM_400000_NS6detail17trampoline_kernelINS0_14default_configENS1_25partition_config_selectorILNS1_17partition_subalgoE5ElNS0_10empty_typeEbEEZZNS1_14partition_implILS5_5ELb0ES3_mN6hipcub16HIPCUB_304000_NS21CountingInputIteratorIllEEPS6_NSA_22TransformInputIteratorIb7NonZeroIfEPflEENS0_5tupleIJPlS6_EEENSJ_IJSD_SD_EEES6_SK_JS6_EEE10hipError_tPvRmT3_T4_T5_T6_T7_T9_mT8_P12ihipStream_tbDpT10_ENKUlT_T0_E_clISt17integral_constantIbLb0EES16_EEDaS11_S12_EUlS11_E_NS1_11comp_targetILNS1_3genE3ELNS1_11target_archE908ELNS1_3gpuE7ELNS1_3repE0EEENS1_30default_config_static_selectorELNS0_4arch9wavefront6targetE0EEEvT1_,@function
_ZN7rocprim17ROCPRIM_400000_NS6detail17trampoline_kernelINS0_14default_configENS1_25partition_config_selectorILNS1_17partition_subalgoE5ElNS0_10empty_typeEbEEZZNS1_14partition_implILS5_5ELb0ES3_mN6hipcub16HIPCUB_304000_NS21CountingInputIteratorIllEEPS6_NSA_22TransformInputIteratorIb7NonZeroIfEPflEENS0_5tupleIJPlS6_EEENSJ_IJSD_SD_EEES6_SK_JS6_EEE10hipError_tPvRmT3_T4_T5_T6_T7_T9_mT8_P12ihipStream_tbDpT10_ENKUlT_T0_E_clISt17integral_constantIbLb0EES16_EEDaS11_S12_EUlS11_E_NS1_11comp_targetILNS1_3genE3ELNS1_11target_archE908ELNS1_3gpuE7ELNS1_3repE0EEENS1_30default_config_static_selectorELNS0_4arch9wavefront6targetE0EEEvT1_: ; @_ZN7rocprim17ROCPRIM_400000_NS6detail17trampoline_kernelINS0_14default_configENS1_25partition_config_selectorILNS1_17partition_subalgoE5ElNS0_10empty_typeEbEEZZNS1_14partition_implILS5_5ELb0ES3_mN6hipcub16HIPCUB_304000_NS21CountingInputIteratorIllEEPS6_NSA_22TransformInputIteratorIb7NonZeroIfEPflEENS0_5tupleIJPlS6_EEENSJ_IJSD_SD_EEES6_SK_JS6_EEE10hipError_tPvRmT3_T4_T5_T6_T7_T9_mT8_P12ihipStream_tbDpT10_ENKUlT_T0_E_clISt17integral_constantIbLb0EES16_EEDaS11_S12_EUlS11_E_NS1_11comp_targetILNS1_3genE3ELNS1_11target_archE908ELNS1_3gpuE7ELNS1_3repE0EEENS1_30default_config_static_selectorELNS0_4arch9wavefront6targetE0EEEvT1_
; %bb.0:
	.section	.rodata,"a",@progbits
	.p2align	6, 0x0
	.amdhsa_kernel _ZN7rocprim17ROCPRIM_400000_NS6detail17trampoline_kernelINS0_14default_configENS1_25partition_config_selectorILNS1_17partition_subalgoE5ElNS0_10empty_typeEbEEZZNS1_14partition_implILS5_5ELb0ES3_mN6hipcub16HIPCUB_304000_NS21CountingInputIteratorIllEEPS6_NSA_22TransformInputIteratorIb7NonZeroIfEPflEENS0_5tupleIJPlS6_EEENSJ_IJSD_SD_EEES6_SK_JS6_EEE10hipError_tPvRmT3_T4_T5_T6_T7_T9_mT8_P12ihipStream_tbDpT10_ENKUlT_T0_E_clISt17integral_constantIbLb0EES16_EEDaS11_S12_EUlS11_E_NS1_11comp_targetILNS1_3genE3ELNS1_11target_archE908ELNS1_3gpuE7ELNS1_3repE0EEENS1_30default_config_static_selectorELNS0_4arch9wavefront6targetE0EEEvT1_
		.amdhsa_group_segment_fixed_size 0
		.amdhsa_private_segment_fixed_size 0
		.amdhsa_kernarg_size 120
		.amdhsa_user_sgpr_count 15
		.amdhsa_user_sgpr_dispatch_ptr 0
		.amdhsa_user_sgpr_queue_ptr 0
		.amdhsa_user_sgpr_kernarg_segment_ptr 1
		.amdhsa_user_sgpr_dispatch_id 0
		.amdhsa_user_sgpr_private_segment_size 0
		.amdhsa_wavefront_size32 1
		.amdhsa_uses_dynamic_stack 0
		.amdhsa_enable_private_segment 0
		.amdhsa_system_sgpr_workgroup_id_x 1
		.amdhsa_system_sgpr_workgroup_id_y 0
		.amdhsa_system_sgpr_workgroup_id_z 0
		.amdhsa_system_sgpr_workgroup_info 0
		.amdhsa_system_vgpr_workitem_id 0
		.amdhsa_next_free_vgpr 1
		.amdhsa_next_free_sgpr 1
		.amdhsa_reserve_vcc 0
		.amdhsa_float_round_mode_32 0
		.amdhsa_float_round_mode_16_64 0
		.amdhsa_float_denorm_mode_32 3
		.amdhsa_float_denorm_mode_16_64 3
		.amdhsa_dx10_clamp 1
		.amdhsa_ieee_mode 1
		.amdhsa_fp16_overflow 0
		.amdhsa_workgroup_processor_mode 1
		.amdhsa_memory_ordered 1
		.amdhsa_forward_progress 0
		.amdhsa_shared_vgpr_count 0
		.amdhsa_exception_fp_ieee_invalid_op 0
		.amdhsa_exception_fp_denorm_src 0
		.amdhsa_exception_fp_ieee_div_zero 0
		.amdhsa_exception_fp_ieee_overflow 0
		.amdhsa_exception_fp_ieee_underflow 0
		.amdhsa_exception_fp_ieee_inexact 0
		.amdhsa_exception_int_div_zero 0
	.end_amdhsa_kernel
	.section	.text._ZN7rocprim17ROCPRIM_400000_NS6detail17trampoline_kernelINS0_14default_configENS1_25partition_config_selectorILNS1_17partition_subalgoE5ElNS0_10empty_typeEbEEZZNS1_14partition_implILS5_5ELb0ES3_mN6hipcub16HIPCUB_304000_NS21CountingInputIteratorIllEEPS6_NSA_22TransformInputIteratorIb7NonZeroIfEPflEENS0_5tupleIJPlS6_EEENSJ_IJSD_SD_EEES6_SK_JS6_EEE10hipError_tPvRmT3_T4_T5_T6_T7_T9_mT8_P12ihipStream_tbDpT10_ENKUlT_T0_E_clISt17integral_constantIbLb0EES16_EEDaS11_S12_EUlS11_E_NS1_11comp_targetILNS1_3genE3ELNS1_11target_archE908ELNS1_3gpuE7ELNS1_3repE0EEENS1_30default_config_static_selectorELNS0_4arch9wavefront6targetE0EEEvT1_,"axG",@progbits,_ZN7rocprim17ROCPRIM_400000_NS6detail17trampoline_kernelINS0_14default_configENS1_25partition_config_selectorILNS1_17partition_subalgoE5ElNS0_10empty_typeEbEEZZNS1_14partition_implILS5_5ELb0ES3_mN6hipcub16HIPCUB_304000_NS21CountingInputIteratorIllEEPS6_NSA_22TransformInputIteratorIb7NonZeroIfEPflEENS0_5tupleIJPlS6_EEENSJ_IJSD_SD_EEES6_SK_JS6_EEE10hipError_tPvRmT3_T4_T5_T6_T7_T9_mT8_P12ihipStream_tbDpT10_ENKUlT_T0_E_clISt17integral_constantIbLb0EES16_EEDaS11_S12_EUlS11_E_NS1_11comp_targetILNS1_3genE3ELNS1_11target_archE908ELNS1_3gpuE7ELNS1_3repE0EEENS1_30default_config_static_selectorELNS0_4arch9wavefront6targetE0EEEvT1_,comdat
.Lfunc_end256:
	.size	_ZN7rocprim17ROCPRIM_400000_NS6detail17trampoline_kernelINS0_14default_configENS1_25partition_config_selectorILNS1_17partition_subalgoE5ElNS0_10empty_typeEbEEZZNS1_14partition_implILS5_5ELb0ES3_mN6hipcub16HIPCUB_304000_NS21CountingInputIteratorIllEEPS6_NSA_22TransformInputIteratorIb7NonZeroIfEPflEENS0_5tupleIJPlS6_EEENSJ_IJSD_SD_EEES6_SK_JS6_EEE10hipError_tPvRmT3_T4_T5_T6_T7_T9_mT8_P12ihipStream_tbDpT10_ENKUlT_T0_E_clISt17integral_constantIbLb0EES16_EEDaS11_S12_EUlS11_E_NS1_11comp_targetILNS1_3genE3ELNS1_11target_archE908ELNS1_3gpuE7ELNS1_3repE0EEENS1_30default_config_static_selectorELNS0_4arch9wavefront6targetE0EEEvT1_, .Lfunc_end256-_ZN7rocprim17ROCPRIM_400000_NS6detail17trampoline_kernelINS0_14default_configENS1_25partition_config_selectorILNS1_17partition_subalgoE5ElNS0_10empty_typeEbEEZZNS1_14partition_implILS5_5ELb0ES3_mN6hipcub16HIPCUB_304000_NS21CountingInputIteratorIllEEPS6_NSA_22TransformInputIteratorIb7NonZeroIfEPflEENS0_5tupleIJPlS6_EEENSJ_IJSD_SD_EEES6_SK_JS6_EEE10hipError_tPvRmT3_T4_T5_T6_T7_T9_mT8_P12ihipStream_tbDpT10_ENKUlT_T0_E_clISt17integral_constantIbLb0EES16_EEDaS11_S12_EUlS11_E_NS1_11comp_targetILNS1_3genE3ELNS1_11target_archE908ELNS1_3gpuE7ELNS1_3repE0EEENS1_30default_config_static_selectorELNS0_4arch9wavefront6targetE0EEEvT1_
                                        ; -- End function
	.section	.AMDGPU.csdata,"",@progbits
; Kernel info:
; codeLenInByte = 0
; NumSgprs: 0
; NumVgprs: 0
; ScratchSize: 0
; MemoryBound: 0
; FloatMode: 240
; IeeeMode: 1
; LDSByteSize: 0 bytes/workgroup (compile time only)
; SGPRBlocks: 0
; VGPRBlocks: 0
; NumSGPRsForWavesPerEU: 1
; NumVGPRsForWavesPerEU: 1
; Occupancy: 16
; WaveLimiterHint : 0
; COMPUTE_PGM_RSRC2:SCRATCH_EN: 0
; COMPUTE_PGM_RSRC2:USER_SGPR: 15
; COMPUTE_PGM_RSRC2:TRAP_HANDLER: 0
; COMPUTE_PGM_RSRC2:TGID_X_EN: 1
; COMPUTE_PGM_RSRC2:TGID_Y_EN: 0
; COMPUTE_PGM_RSRC2:TGID_Z_EN: 0
; COMPUTE_PGM_RSRC2:TIDIG_COMP_CNT: 0
	.section	.text._ZN7rocprim17ROCPRIM_400000_NS6detail17trampoline_kernelINS0_14default_configENS1_25partition_config_selectorILNS1_17partition_subalgoE5ElNS0_10empty_typeEbEEZZNS1_14partition_implILS5_5ELb0ES3_mN6hipcub16HIPCUB_304000_NS21CountingInputIteratorIllEEPS6_NSA_22TransformInputIteratorIb7NonZeroIfEPflEENS0_5tupleIJPlS6_EEENSJ_IJSD_SD_EEES6_SK_JS6_EEE10hipError_tPvRmT3_T4_T5_T6_T7_T9_mT8_P12ihipStream_tbDpT10_ENKUlT_T0_E_clISt17integral_constantIbLb0EES16_EEDaS11_S12_EUlS11_E_NS1_11comp_targetILNS1_3genE2ELNS1_11target_archE906ELNS1_3gpuE6ELNS1_3repE0EEENS1_30default_config_static_selectorELNS0_4arch9wavefront6targetE0EEEvT1_,"axG",@progbits,_ZN7rocprim17ROCPRIM_400000_NS6detail17trampoline_kernelINS0_14default_configENS1_25partition_config_selectorILNS1_17partition_subalgoE5ElNS0_10empty_typeEbEEZZNS1_14partition_implILS5_5ELb0ES3_mN6hipcub16HIPCUB_304000_NS21CountingInputIteratorIllEEPS6_NSA_22TransformInputIteratorIb7NonZeroIfEPflEENS0_5tupleIJPlS6_EEENSJ_IJSD_SD_EEES6_SK_JS6_EEE10hipError_tPvRmT3_T4_T5_T6_T7_T9_mT8_P12ihipStream_tbDpT10_ENKUlT_T0_E_clISt17integral_constantIbLb0EES16_EEDaS11_S12_EUlS11_E_NS1_11comp_targetILNS1_3genE2ELNS1_11target_archE906ELNS1_3gpuE6ELNS1_3repE0EEENS1_30default_config_static_selectorELNS0_4arch9wavefront6targetE0EEEvT1_,comdat
	.protected	_ZN7rocprim17ROCPRIM_400000_NS6detail17trampoline_kernelINS0_14default_configENS1_25partition_config_selectorILNS1_17partition_subalgoE5ElNS0_10empty_typeEbEEZZNS1_14partition_implILS5_5ELb0ES3_mN6hipcub16HIPCUB_304000_NS21CountingInputIteratorIllEEPS6_NSA_22TransformInputIteratorIb7NonZeroIfEPflEENS0_5tupleIJPlS6_EEENSJ_IJSD_SD_EEES6_SK_JS6_EEE10hipError_tPvRmT3_T4_T5_T6_T7_T9_mT8_P12ihipStream_tbDpT10_ENKUlT_T0_E_clISt17integral_constantIbLb0EES16_EEDaS11_S12_EUlS11_E_NS1_11comp_targetILNS1_3genE2ELNS1_11target_archE906ELNS1_3gpuE6ELNS1_3repE0EEENS1_30default_config_static_selectorELNS0_4arch9wavefront6targetE0EEEvT1_ ; -- Begin function _ZN7rocprim17ROCPRIM_400000_NS6detail17trampoline_kernelINS0_14default_configENS1_25partition_config_selectorILNS1_17partition_subalgoE5ElNS0_10empty_typeEbEEZZNS1_14partition_implILS5_5ELb0ES3_mN6hipcub16HIPCUB_304000_NS21CountingInputIteratorIllEEPS6_NSA_22TransformInputIteratorIb7NonZeroIfEPflEENS0_5tupleIJPlS6_EEENSJ_IJSD_SD_EEES6_SK_JS6_EEE10hipError_tPvRmT3_T4_T5_T6_T7_T9_mT8_P12ihipStream_tbDpT10_ENKUlT_T0_E_clISt17integral_constantIbLb0EES16_EEDaS11_S12_EUlS11_E_NS1_11comp_targetILNS1_3genE2ELNS1_11target_archE906ELNS1_3gpuE6ELNS1_3repE0EEENS1_30default_config_static_selectorELNS0_4arch9wavefront6targetE0EEEvT1_
	.globl	_ZN7rocprim17ROCPRIM_400000_NS6detail17trampoline_kernelINS0_14default_configENS1_25partition_config_selectorILNS1_17partition_subalgoE5ElNS0_10empty_typeEbEEZZNS1_14partition_implILS5_5ELb0ES3_mN6hipcub16HIPCUB_304000_NS21CountingInputIteratorIllEEPS6_NSA_22TransformInputIteratorIb7NonZeroIfEPflEENS0_5tupleIJPlS6_EEENSJ_IJSD_SD_EEES6_SK_JS6_EEE10hipError_tPvRmT3_T4_T5_T6_T7_T9_mT8_P12ihipStream_tbDpT10_ENKUlT_T0_E_clISt17integral_constantIbLb0EES16_EEDaS11_S12_EUlS11_E_NS1_11comp_targetILNS1_3genE2ELNS1_11target_archE906ELNS1_3gpuE6ELNS1_3repE0EEENS1_30default_config_static_selectorELNS0_4arch9wavefront6targetE0EEEvT1_
	.p2align	8
	.type	_ZN7rocprim17ROCPRIM_400000_NS6detail17trampoline_kernelINS0_14default_configENS1_25partition_config_selectorILNS1_17partition_subalgoE5ElNS0_10empty_typeEbEEZZNS1_14partition_implILS5_5ELb0ES3_mN6hipcub16HIPCUB_304000_NS21CountingInputIteratorIllEEPS6_NSA_22TransformInputIteratorIb7NonZeroIfEPflEENS0_5tupleIJPlS6_EEENSJ_IJSD_SD_EEES6_SK_JS6_EEE10hipError_tPvRmT3_T4_T5_T6_T7_T9_mT8_P12ihipStream_tbDpT10_ENKUlT_T0_E_clISt17integral_constantIbLb0EES16_EEDaS11_S12_EUlS11_E_NS1_11comp_targetILNS1_3genE2ELNS1_11target_archE906ELNS1_3gpuE6ELNS1_3repE0EEENS1_30default_config_static_selectorELNS0_4arch9wavefront6targetE0EEEvT1_,@function
_ZN7rocprim17ROCPRIM_400000_NS6detail17trampoline_kernelINS0_14default_configENS1_25partition_config_selectorILNS1_17partition_subalgoE5ElNS0_10empty_typeEbEEZZNS1_14partition_implILS5_5ELb0ES3_mN6hipcub16HIPCUB_304000_NS21CountingInputIteratorIllEEPS6_NSA_22TransformInputIteratorIb7NonZeroIfEPflEENS0_5tupleIJPlS6_EEENSJ_IJSD_SD_EEES6_SK_JS6_EEE10hipError_tPvRmT3_T4_T5_T6_T7_T9_mT8_P12ihipStream_tbDpT10_ENKUlT_T0_E_clISt17integral_constantIbLb0EES16_EEDaS11_S12_EUlS11_E_NS1_11comp_targetILNS1_3genE2ELNS1_11target_archE906ELNS1_3gpuE6ELNS1_3repE0EEENS1_30default_config_static_selectorELNS0_4arch9wavefront6targetE0EEEvT1_: ; @_ZN7rocprim17ROCPRIM_400000_NS6detail17trampoline_kernelINS0_14default_configENS1_25partition_config_selectorILNS1_17partition_subalgoE5ElNS0_10empty_typeEbEEZZNS1_14partition_implILS5_5ELb0ES3_mN6hipcub16HIPCUB_304000_NS21CountingInputIteratorIllEEPS6_NSA_22TransformInputIteratorIb7NonZeroIfEPflEENS0_5tupleIJPlS6_EEENSJ_IJSD_SD_EEES6_SK_JS6_EEE10hipError_tPvRmT3_T4_T5_T6_T7_T9_mT8_P12ihipStream_tbDpT10_ENKUlT_T0_E_clISt17integral_constantIbLb0EES16_EEDaS11_S12_EUlS11_E_NS1_11comp_targetILNS1_3genE2ELNS1_11target_archE906ELNS1_3gpuE6ELNS1_3repE0EEENS1_30default_config_static_selectorELNS0_4arch9wavefront6targetE0EEEvT1_
; %bb.0:
	.section	.rodata,"a",@progbits
	.p2align	6, 0x0
	.amdhsa_kernel _ZN7rocprim17ROCPRIM_400000_NS6detail17trampoline_kernelINS0_14default_configENS1_25partition_config_selectorILNS1_17partition_subalgoE5ElNS0_10empty_typeEbEEZZNS1_14partition_implILS5_5ELb0ES3_mN6hipcub16HIPCUB_304000_NS21CountingInputIteratorIllEEPS6_NSA_22TransformInputIteratorIb7NonZeroIfEPflEENS0_5tupleIJPlS6_EEENSJ_IJSD_SD_EEES6_SK_JS6_EEE10hipError_tPvRmT3_T4_T5_T6_T7_T9_mT8_P12ihipStream_tbDpT10_ENKUlT_T0_E_clISt17integral_constantIbLb0EES16_EEDaS11_S12_EUlS11_E_NS1_11comp_targetILNS1_3genE2ELNS1_11target_archE906ELNS1_3gpuE6ELNS1_3repE0EEENS1_30default_config_static_selectorELNS0_4arch9wavefront6targetE0EEEvT1_
		.amdhsa_group_segment_fixed_size 0
		.amdhsa_private_segment_fixed_size 0
		.amdhsa_kernarg_size 120
		.amdhsa_user_sgpr_count 15
		.amdhsa_user_sgpr_dispatch_ptr 0
		.amdhsa_user_sgpr_queue_ptr 0
		.amdhsa_user_sgpr_kernarg_segment_ptr 1
		.amdhsa_user_sgpr_dispatch_id 0
		.amdhsa_user_sgpr_private_segment_size 0
		.amdhsa_wavefront_size32 1
		.amdhsa_uses_dynamic_stack 0
		.amdhsa_enable_private_segment 0
		.amdhsa_system_sgpr_workgroup_id_x 1
		.amdhsa_system_sgpr_workgroup_id_y 0
		.amdhsa_system_sgpr_workgroup_id_z 0
		.amdhsa_system_sgpr_workgroup_info 0
		.amdhsa_system_vgpr_workitem_id 0
		.amdhsa_next_free_vgpr 1
		.amdhsa_next_free_sgpr 1
		.amdhsa_reserve_vcc 0
		.amdhsa_float_round_mode_32 0
		.amdhsa_float_round_mode_16_64 0
		.amdhsa_float_denorm_mode_32 3
		.amdhsa_float_denorm_mode_16_64 3
		.amdhsa_dx10_clamp 1
		.amdhsa_ieee_mode 1
		.amdhsa_fp16_overflow 0
		.amdhsa_workgroup_processor_mode 1
		.amdhsa_memory_ordered 1
		.amdhsa_forward_progress 0
		.amdhsa_shared_vgpr_count 0
		.amdhsa_exception_fp_ieee_invalid_op 0
		.amdhsa_exception_fp_denorm_src 0
		.amdhsa_exception_fp_ieee_div_zero 0
		.amdhsa_exception_fp_ieee_overflow 0
		.amdhsa_exception_fp_ieee_underflow 0
		.amdhsa_exception_fp_ieee_inexact 0
		.amdhsa_exception_int_div_zero 0
	.end_amdhsa_kernel
	.section	.text._ZN7rocprim17ROCPRIM_400000_NS6detail17trampoline_kernelINS0_14default_configENS1_25partition_config_selectorILNS1_17partition_subalgoE5ElNS0_10empty_typeEbEEZZNS1_14partition_implILS5_5ELb0ES3_mN6hipcub16HIPCUB_304000_NS21CountingInputIteratorIllEEPS6_NSA_22TransformInputIteratorIb7NonZeroIfEPflEENS0_5tupleIJPlS6_EEENSJ_IJSD_SD_EEES6_SK_JS6_EEE10hipError_tPvRmT3_T4_T5_T6_T7_T9_mT8_P12ihipStream_tbDpT10_ENKUlT_T0_E_clISt17integral_constantIbLb0EES16_EEDaS11_S12_EUlS11_E_NS1_11comp_targetILNS1_3genE2ELNS1_11target_archE906ELNS1_3gpuE6ELNS1_3repE0EEENS1_30default_config_static_selectorELNS0_4arch9wavefront6targetE0EEEvT1_,"axG",@progbits,_ZN7rocprim17ROCPRIM_400000_NS6detail17trampoline_kernelINS0_14default_configENS1_25partition_config_selectorILNS1_17partition_subalgoE5ElNS0_10empty_typeEbEEZZNS1_14partition_implILS5_5ELb0ES3_mN6hipcub16HIPCUB_304000_NS21CountingInputIteratorIllEEPS6_NSA_22TransformInputIteratorIb7NonZeroIfEPflEENS0_5tupleIJPlS6_EEENSJ_IJSD_SD_EEES6_SK_JS6_EEE10hipError_tPvRmT3_T4_T5_T6_T7_T9_mT8_P12ihipStream_tbDpT10_ENKUlT_T0_E_clISt17integral_constantIbLb0EES16_EEDaS11_S12_EUlS11_E_NS1_11comp_targetILNS1_3genE2ELNS1_11target_archE906ELNS1_3gpuE6ELNS1_3repE0EEENS1_30default_config_static_selectorELNS0_4arch9wavefront6targetE0EEEvT1_,comdat
.Lfunc_end257:
	.size	_ZN7rocprim17ROCPRIM_400000_NS6detail17trampoline_kernelINS0_14default_configENS1_25partition_config_selectorILNS1_17partition_subalgoE5ElNS0_10empty_typeEbEEZZNS1_14partition_implILS5_5ELb0ES3_mN6hipcub16HIPCUB_304000_NS21CountingInputIteratorIllEEPS6_NSA_22TransformInputIteratorIb7NonZeroIfEPflEENS0_5tupleIJPlS6_EEENSJ_IJSD_SD_EEES6_SK_JS6_EEE10hipError_tPvRmT3_T4_T5_T6_T7_T9_mT8_P12ihipStream_tbDpT10_ENKUlT_T0_E_clISt17integral_constantIbLb0EES16_EEDaS11_S12_EUlS11_E_NS1_11comp_targetILNS1_3genE2ELNS1_11target_archE906ELNS1_3gpuE6ELNS1_3repE0EEENS1_30default_config_static_selectorELNS0_4arch9wavefront6targetE0EEEvT1_, .Lfunc_end257-_ZN7rocprim17ROCPRIM_400000_NS6detail17trampoline_kernelINS0_14default_configENS1_25partition_config_selectorILNS1_17partition_subalgoE5ElNS0_10empty_typeEbEEZZNS1_14partition_implILS5_5ELb0ES3_mN6hipcub16HIPCUB_304000_NS21CountingInputIteratorIllEEPS6_NSA_22TransformInputIteratorIb7NonZeroIfEPflEENS0_5tupleIJPlS6_EEENSJ_IJSD_SD_EEES6_SK_JS6_EEE10hipError_tPvRmT3_T4_T5_T6_T7_T9_mT8_P12ihipStream_tbDpT10_ENKUlT_T0_E_clISt17integral_constantIbLb0EES16_EEDaS11_S12_EUlS11_E_NS1_11comp_targetILNS1_3genE2ELNS1_11target_archE906ELNS1_3gpuE6ELNS1_3repE0EEENS1_30default_config_static_selectorELNS0_4arch9wavefront6targetE0EEEvT1_
                                        ; -- End function
	.section	.AMDGPU.csdata,"",@progbits
; Kernel info:
; codeLenInByte = 0
; NumSgprs: 0
; NumVgprs: 0
; ScratchSize: 0
; MemoryBound: 0
; FloatMode: 240
; IeeeMode: 1
; LDSByteSize: 0 bytes/workgroup (compile time only)
; SGPRBlocks: 0
; VGPRBlocks: 0
; NumSGPRsForWavesPerEU: 1
; NumVGPRsForWavesPerEU: 1
; Occupancy: 16
; WaveLimiterHint : 0
; COMPUTE_PGM_RSRC2:SCRATCH_EN: 0
; COMPUTE_PGM_RSRC2:USER_SGPR: 15
; COMPUTE_PGM_RSRC2:TRAP_HANDLER: 0
; COMPUTE_PGM_RSRC2:TGID_X_EN: 1
; COMPUTE_PGM_RSRC2:TGID_Y_EN: 0
; COMPUTE_PGM_RSRC2:TGID_Z_EN: 0
; COMPUTE_PGM_RSRC2:TIDIG_COMP_CNT: 0
	.section	.text._ZN7rocprim17ROCPRIM_400000_NS6detail17trampoline_kernelINS0_14default_configENS1_25partition_config_selectorILNS1_17partition_subalgoE5ElNS0_10empty_typeEbEEZZNS1_14partition_implILS5_5ELb0ES3_mN6hipcub16HIPCUB_304000_NS21CountingInputIteratorIllEEPS6_NSA_22TransformInputIteratorIb7NonZeroIfEPflEENS0_5tupleIJPlS6_EEENSJ_IJSD_SD_EEES6_SK_JS6_EEE10hipError_tPvRmT3_T4_T5_T6_T7_T9_mT8_P12ihipStream_tbDpT10_ENKUlT_T0_E_clISt17integral_constantIbLb0EES16_EEDaS11_S12_EUlS11_E_NS1_11comp_targetILNS1_3genE10ELNS1_11target_archE1200ELNS1_3gpuE4ELNS1_3repE0EEENS1_30default_config_static_selectorELNS0_4arch9wavefront6targetE0EEEvT1_,"axG",@progbits,_ZN7rocprim17ROCPRIM_400000_NS6detail17trampoline_kernelINS0_14default_configENS1_25partition_config_selectorILNS1_17partition_subalgoE5ElNS0_10empty_typeEbEEZZNS1_14partition_implILS5_5ELb0ES3_mN6hipcub16HIPCUB_304000_NS21CountingInputIteratorIllEEPS6_NSA_22TransformInputIteratorIb7NonZeroIfEPflEENS0_5tupleIJPlS6_EEENSJ_IJSD_SD_EEES6_SK_JS6_EEE10hipError_tPvRmT3_T4_T5_T6_T7_T9_mT8_P12ihipStream_tbDpT10_ENKUlT_T0_E_clISt17integral_constantIbLb0EES16_EEDaS11_S12_EUlS11_E_NS1_11comp_targetILNS1_3genE10ELNS1_11target_archE1200ELNS1_3gpuE4ELNS1_3repE0EEENS1_30default_config_static_selectorELNS0_4arch9wavefront6targetE0EEEvT1_,comdat
	.protected	_ZN7rocprim17ROCPRIM_400000_NS6detail17trampoline_kernelINS0_14default_configENS1_25partition_config_selectorILNS1_17partition_subalgoE5ElNS0_10empty_typeEbEEZZNS1_14partition_implILS5_5ELb0ES3_mN6hipcub16HIPCUB_304000_NS21CountingInputIteratorIllEEPS6_NSA_22TransformInputIteratorIb7NonZeroIfEPflEENS0_5tupleIJPlS6_EEENSJ_IJSD_SD_EEES6_SK_JS6_EEE10hipError_tPvRmT3_T4_T5_T6_T7_T9_mT8_P12ihipStream_tbDpT10_ENKUlT_T0_E_clISt17integral_constantIbLb0EES16_EEDaS11_S12_EUlS11_E_NS1_11comp_targetILNS1_3genE10ELNS1_11target_archE1200ELNS1_3gpuE4ELNS1_3repE0EEENS1_30default_config_static_selectorELNS0_4arch9wavefront6targetE0EEEvT1_ ; -- Begin function _ZN7rocprim17ROCPRIM_400000_NS6detail17trampoline_kernelINS0_14default_configENS1_25partition_config_selectorILNS1_17partition_subalgoE5ElNS0_10empty_typeEbEEZZNS1_14partition_implILS5_5ELb0ES3_mN6hipcub16HIPCUB_304000_NS21CountingInputIteratorIllEEPS6_NSA_22TransformInputIteratorIb7NonZeroIfEPflEENS0_5tupleIJPlS6_EEENSJ_IJSD_SD_EEES6_SK_JS6_EEE10hipError_tPvRmT3_T4_T5_T6_T7_T9_mT8_P12ihipStream_tbDpT10_ENKUlT_T0_E_clISt17integral_constantIbLb0EES16_EEDaS11_S12_EUlS11_E_NS1_11comp_targetILNS1_3genE10ELNS1_11target_archE1200ELNS1_3gpuE4ELNS1_3repE0EEENS1_30default_config_static_selectorELNS0_4arch9wavefront6targetE0EEEvT1_
	.globl	_ZN7rocprim17ROCPRIM_400000_NS6detail17trampoline_kernelINS0_14default_configENS1_25partition_config_selectorILNS1_17partition_subalgoE5ElNS0_10empty_typeEbEEZZNS1_14partition_implILS5_5ELb0ES3_mN6hipcub16HIPCUB_304000_NS21CountingInputIteratorIllEEPS6_NSA_22TransformInputIteratorIb7NonZeroIfEPflEENS0_5tupleIJPlS6_EEENSJ_IJSD_SD_EEES6_SK_JS6_EEE10hipError_tPvRmT3_T4_T5_T6_T7_T9_mT8_P12ihipStream_tbDpT10_ENKUlT_T0_E_clISt17integral_constantIbLb0EES16_EEDaS11_S12_EUlS11_E_NS1_11comp_targetILNS1_3genE10ELNS1_11target_archE1200ELNS1_3gpuE4ELNS1_3repE0EEENS1_30default_config_static_selectorELNS0_4arch9wavefront6targetE0EEEvT1_
	.p2align	8
	.type	_ZN7rocprim17ROCPRIM_400000_NS6detail17trampoline_kernelINS0_14default_configENS1_25partition_config_selectorILNS1_17partition_subalgoE5ElNS0_10empty_typeEbEEZZNS1_14partition_implILS5_5ELb0ES3_mN6hipcub16HIPCUB_304000_NS21CountingInputIteratorIllEEPS6_NSA_22TransformInputIteratorIb7NonZeroIfEPflEENS0_5tupleIJPlS6_EEENSJ_IJSD_SD_EEES6_SK_JS6_EEE10hipError_tPvRmT3_T4_T5_T6_T7_T9_mT8_P12ihipStream_tbDpT10_ENKUlT_T0_E_clISt17integral_constantIbLb0EES16_EEDaS11_S12_EUlS11_E_NS1_11comp_targetILNS1_3genE10ELNS1_11target_archE1200ELNS1_3gpuE4ELNS1_3repE0EEENS1_30default_config_static_selectorELNS0_4arch9wavefront6targetE0EEEvT1_,@function
_ZN7rocprim17ROCPRIM_400000_NS6detail17trampoline_kernelINS0_14default_configENS1_25partition_config_selectorILNS1_17partition_subalgoE5ElNS0_10empty_typeEbEEZZNS1_14partition_implILS5_5ELb0ES3_mN6hipcub16HIPCUB_304000_NS21CountingInputIteratorIllEEPS6_NSA_22TransformInputIteratorIb7NonZeroIfEPflEENS0_5tupleIJPlS6_EEENSJ_IJSD_SD_EEES6_SK_JS6_EEE10hipError_tPvRmT3_T4_T5_T6_T7_T9_mT8_P12ihipStream_tbDpT10_ENKUlT_T0_E_clISt17integral_constantIbLb0EES16_EEDaS11_S12_EUlS11_E_NS1_11comp_targetILNS1_3genE10ELNS1_11target_archE1200ELNS1_3gpuE4ELNS1_3repE0EEENS1_30default_config_static_selectorELNS0_4arch9wavefront6targetE0EEEvT1_: ; @_ZN7rocprim17ROCPRIM_400000_NS6detail17trampoline_kernelINS0_14default_configENS1_25partition_config_selectorILNS1_17partition_subalgoE5ElNS0_10empty_typeEbEEZZNS1_14partition_implILS5_5ELb0ES3_mN6hipcub16HIPCUB_304000_NS21CountingInputIteratorIllEEPS6_NSA_22TransformInputIteratorIb7NonZeroIfEPflEENS0_5tupleIJPlS6_EEENSJ_IJSD_SD_EEES6_SK_JS6_EEE10hipError_tPvRmT3_T4_T5_T6_T7_T9_mT8_P12ihipStream_tbDpT10_ENKUlT_T0_E_clISt17integral_constantIbLb0EES16_EEDaS11_S12_EUlS11_E_NS1_11comp_targetILNS1_3genE10ELNS1_11target_archE1200ELNS1_3gpuE4ELNS1_3repE0EEENS1_30default_config_static_selectorELNS0_4arch9wavefront6targetE0EEEvT1_
; %bb.0:
	.section	.rodata,"a",@progbits
	.p2align	6, 0x0
	.amdhsa_kernel _ZN7rocprim17ROCPRIM_400000_NS6detail17trampoline_kernelINS0_14default_configENS1_25partition_config_selectorILNS1_17partition_subalgoE5ElNS0_10empty_typeEbEEZZNS1_14partition_implILS5_5ELb0ES3_mN6hipcub16HIPCUB_304000_NS21CountingInputIteratorIllEEPS6_NSA_22TransformInputIteratorIb7NonZeroIfEPflEENS0_5tupleIJPlS6_EEENSJ_IJSD_SD_EEES6_SK_JS6_EEE10hipError_tPvRmT3_T4_T5_T6_T7_T9_mT8_P12ihipStream_tbDpT10_ENKUlT_T0_E_clISt17integral_constantIbLb0EES16_EEDaS11_S12_EUlS11_E_NS1_11comp_targetILNS1_3genE10ELNS1_11target_archE1200ELNS1_3gpuE4ELNS1_3repE0EEENS1_30default_config_static_selectorELNS0_4arch9wavefront6targetE0EEEvT1_
		.amdhsa_group_segment_fixed_size 0
		.amdhsa_private_segment_fixed_size 0
		.amdhsa_kernarg_size 120
		.amdhsa_user_sgpr_count 15
		.amdhsa_user_sgpr_dispatch_ptr 0
		.amdhsa_user_sgpr_queue_ptr 0
		.amdhsa_user_sgpr_kernarg_segment_ptr 1
		.amdhsa_user_sgpr_dispatch_id 0
		.amdhsa_user_sgpr_private_segment_size 0
		.amdhsa_wavefront_size32 1
		.amdhsa_uses_dynamic_stack 0
		.amdhsa_enable_private_segment 0
		.amdhsa_system_sgpr_workgroup_id_x 1
		.amdhsa_system_sgpr_workgroup_id_y 0
		.amdhsa_system_sgpr_workgroup_id_z 0
		.amdhsa_system_sgpr_workgroup_info 0
		.amdhsa_system_vgpr_workitem_id 0
		.amdhsa_next_free_vgpr 1
		.amdhsa_next_free_sgpr 1
		.amdhsa_reserve_vcc 0
		.amdhsa_float_round_mode_32 0
		.amdhsa_float_round_mode_16_64 0
		.amdhsa_float_denorm_mode_32 3
		.amdhsa_float_denorm_mode_16_64 3
		.amdhsa_dx10_clamp 1
		.amdhsa_ieee_mode 1
		.amdhsa_fp16_overflow 0
		.amdhsa_workgroup_processor_mode 1
		.amdhsa_memory_ordered 1
		.amdhsa_forward_progress 0
		.amdhsa_shared_vgpr_count 0
		.amdhsa_exception_fp_ieee_invalid_op 0
		.amdhsa_exception_fp_denorm_src 0
		.amdhsa_exception_fp_ieee_div_zero 0
		.amdhsa_exception_fp_ieee_overflow 0
		.amdhsa_exception_fp_ieee_underflow 0
		.amdhsa_exception_fp_ieee_inexact 0
		.amdhsa_exception_int_div_zero 0
	.end_amdhsa_kernel
	.section	.text._ZN7rocprim17ROCPRIM_400000_NS6detail17trampoline_kernelINS0_14default_configENS1_25partition_config_selectorILNS1_17partition_subalgoE5ElNS0_10empty_typeEbEEZZNS1_14partition_implILS5_5ELb0ES3_mN6hipcub16HIPCUB_304000_NS21CountingInputIteratorIllEEPS6_NSA_22TransformInputIteratorIb7NonZeroIfEPflEENS0_5tupleIJPlS6_EEENSJ_IJSD_SD_EEES6_SK_JS6_EEE10hipError_tPvRmT3_T4_T5_T6_T7_T9_mT8_P12ihipStream_tbDpT10_ENKUlT_T0_E_clISt17integral_constantIbLb0EES16_EEDaS11_S12_EUlS11_E_NS1_11comp_targetILNS1_3genE10ELNS1_11target_archE1200ELNS1_3gpuE4ELNS1_3repE0EEENS1_30default_config_static_selectorELNS0_4arch9wavefront6targetE0EEEvT1_,"axG",@progbits,_ZN7rocprim17ROCPRIM_400000_NS6detail17trampoline_kernelINS0_14default_configENS1_25partition_config_selectorILNS1_17partition_subalgoE5ElNS0_10empty_typeEbEEZZNS1_14partition_implILS5_5ELb0ES3_mN6hipcub16HIPCUB_304000_NS21CountingInputIteratorIllEEPS6_NSA_22TransformInputIteratorIb7NonZeroIfEPflEENS0_5tupleIJPlS6_EEENSJ_IJSD_SD_EEES6_SK_JS6_EEE10hipError_tPvRmT3_T4_T5_T6_T7_T9_mT8_P12ihipStream_tbDpT10_ENKUlT_T0_E_clISt17integral_constantIbLb0EES16_EEDaS11_S12_EUlS11_E_NS1_11comp_targetILNS1_3genE10ELNS1_11target_archE1200ELNS1_3gpuE4ELNS1_3repE0EEENS1_30default_config_static_selectorELNS0_4arch9wavefront6targetE0EEEvT1_,comdat
.Lfunc_end258:
	.size	_ZN7rocprim17ROCPRIM_400000_NS6detail17trampoline_kernelINS0_14default_configENS1_25partition_config_selectorILNS1_17partition_subalgoE5ElNS0_10empty_typeEbEEZZNS1_14partition_implILS5_5ELb0ES3_mN6hipcub16HIPCUB_304000_NS21CountingInputIteratorIllEEPS6_NSA_22TransformInputIteratorIb7NonZeroIfEPflEENS0_5tupleIJPlS6_EEENSJ_IJSD_SD_EEES6_SK_JS6_EEE10hipError_tPvRmT3_T4_T5_T6_T7_T9_mT8_P12ihipStream_tbDpT10_ENKUlT_T0_E_clISt17integral_constantIbLb0EES16_EEDaS11_S12_EUlS11_E_NS1_11comp_targetILNS1_3genE10ELNS1_11target_archE1200ELNS1_3gpuE4ELNS1_3repE0EEENS1_30default_config_static_selectorELNS0_4arch9wavefront6targetE0EEEvT1_, .Lfunc_end258-_ZN7rocprim17ROCPRIM_400000_NS6detail17trampoline_kernelINS0_14default_configENS1_25partition_config_selectorILNS1_17partition_subalgoE5ElNS0_10empty_typeEbEEZZNS1_14partition_implILS5_5ELb0ES3_mN6hipcub16HIPCUB_304000_NS21CountingInputIteratorIllEEPS6_NSA_22TransformInputIteratorIb7NonZeroIfEPflEENS0_5tupleIJPlS6_EEENSJ_IJSD_SD_EEES6_SK_JS6_EEE10hipError_tPvRmT3_T4_T5_T6_T7_T9_mT8_P12ihipStream_tbDpT10_ENKUlT_T0_E_clISt17integral_constantIbLb0EES16_EEDaS11_S12_EUlS11_E_NS1_11comp_targetILNS1_3genE10ELNS1_11target_archE1200ELNS1_3gpuE4ELNS1_3repE0EEENS1_30default_config_static_selectorELNS0_4arch9wavefront6targetE0EEEvT1_
                                        ; -- End function
	.section	.AMDGPU.csdata,"",@progbits
; Kernel info:
; codeLenInByte = 0
; NumSgprs: 0
; NumVgprs: 0
; ScratchSize: 0
; MemoryBound: 0
; FloatMode: 240
; IeeeMode: 1
; LDSByteSize: 0 bytes/workgroup (compile time only)
; SGPRBlocks: 0
; VGPRBlocks: 0
; NumSGPRsForWavesPerEU: 1
; NumVGPRsForWavesPerEU: 1
; Occupancy: 16
; WaveLimiterHint : 0
; COMPUTE_PGM_RSRC2:SCRATCH_EN: 0
; COMPUTE_PGM_RSRC2:USER_SGPR: 15
; COMPUTE_PGM_RSRC2:TRAP_HANDLER: 0
; COMPUTE_PGM_RSRC2:TGID_X_EN: 1
; COMPUTE_PGM_RSRC2:TGID_Y_EN: 0
; COMPUTE_PGM_RSRC2:TGID_Z_EN: 0
; COMPUTE_PGM_RSRC2:TIDIG_COMP_CNT: 0
	.section	.text._ZN7rocprim17ROCPRIM_400000_NS6detail17trampoline_kernelINS0_14default_configENS1_25partition_config_selectorILNS1_17partition_subalgoE5ElNS0_10empty_typeEbEEZZNS1_14partition_implILS5_5ELb0ES3_mN6hipcub16HIPCUB_304000_NS21CountingInputIteratorIllEEPS6_NSA_22TransformInputIteratorIb7NonZeroIfEPflEENS0_5tupleIJPlS6_EEENSJ_IJSD_SD_EEES6_SK_JS6_EEE10hipError_tPvRmT3_T4_T5_T6_T7_T9_mT8_P12ihipStream_tbDpT10_ENKUlT_T0_E_clISt17integral_constantIbLb0EES16_EEDaS11_S12_EUlS11_E_NS1_11comp_targetILNS1_3genE9ELNS1_11target_archE1100ELNS1_3gpuE3ELNS1_3repE0EEENS1_30default_config_static_selectorELNS0_4arch9wavefront6targetE0EEEvT1_,"axG",@progbits,_ZN7rocprim17ROCPRIM_400000_NS6detail17trampoline_kernelINS0_14default_configENS1_25partition_config_selectorILNS1_17partition_subalgoE5ElNS0_10empty_typeEbEEZZNS1_14partition_implILS5_5ELb0ES3_mN6hipcub16HIPCUB_304000_NS21CountingInputIteratorIllEEPS6_NSA_22TransformInputIteratorIb7NonZeroIfEPflEENS0_5tupleIJPlS6_EEENSJ_IJSD_SD_EEES6_SK_JS6_EEE10hipError_tPvRmT3_T4_T5_T6_T7_T9_mT8_P12ihipStream_tbDpT10_ENKUlT_T0_E_clISt17integral_constantIbLb0EES16_EEDaS11_S12_EUlS11_E_NS1_11comp_targetILNS1_3genE9ELNS1_11target_archE1100ELNS1_3gpuE3ELNS1_3repE0EEENS1_30default_config_static_selectorELNS0_4arch9wavefront6targetE0EEEvT1_,comdat
	.protected	_ZN7rocprim17ROCPRIM_400000_NS6detail17trampoline_kernelINS0_14default_configENS1_25partition_config_selectorILNS1_17partition_subalgoE5ElNS0_10empty_typeEbEEZZNS1_14partition_implILS5_5ELb0ES3_mN6hipcub16HIPCUB_304000_NS21CountingInputIteratorIllEEPS6_NSA_22TransformInputIteratorIb7NonZeroIfEPflEENS0_5tupleIJPlS6_EEENSJ_IJSD_SD_EEES6_SK_JS6_EEE10hipError_tPvRmT3_T4_T5_T6_T7_T9_mT8_P12ihipStream_tbDpT10_ENKUlT_T0_E_clISt17integral_constantIbLb0EES16_EEDaS11_S12_EUlS11_E_NS1_11comp_targetILNS1_3genE9ELNS1_11target_archE1100ELNS1_3gpuE3ELNS1_3repE0EEENS1_30default_config_static_selectorELNS0_4arch9wavefront6targetE0EEEvT1_ ; -- Begin function _ZN7rocprim17ROCPRIM_400000_NS6detail17trampoline_kernelINS0_14default_configENS1_25partition_config_selectorILNS1_17partition_subalgoE5ElNS0_10empty_typeEbEEZZNS1_14partition_implILS5_5ELb0ES3_mN6hipcub16HIPCUB_304000_NS21CountingInputIteratorIllEEPS6_NSA_22TransformInputIteratorIb7NonZeroIfEPflEENS0_5tupleIJPlS6_EEENSJ_IJSD_SD_EEES6_SK_JS6_EEE10hipError_tPvRmT3_T4_T5_T6_T7_T9_mT8_P12ihipStream_tbDpT10_ENKUlT_T0_E_clISt17integral_constantIbLb0EES16_EEDaS11_S12_EUlS11_E_NS1_11comp_targetILNS1_3genE9ELNS1_11target_archE1100ELNS1_3gpuE3ELNS1_3repE0EEENS1_30default_config_static_selectorELNS0_4arch9wavefront6targetE0EEEvT1_
	.globl	_ZN7rocprim17ROCPRIM_400000_NS6detail17trampoline_kernelINS0_14default_configENS1_25partition_config_selectorILNS1_17partition_subalgoE5ElNS0_10empty_typeEbEEZZNS1_14partition_implILS5_5ELb0ES3_mN6hipcub16HIPCUB_304000_NS21CountingInputIteratorIllEEPS6_NSA_22TransformInputIteratorIb7NonZeroIfEPflEENS0_5tupleIJPlS6_EEENSJ_IJSD_SD_EEES6_SK_JS6_EEE10hipError_tPvRmT3_T4_T5_T6_T7_T9_mT8_P12ihipStream_tbDpT10_ENKUlT_T0_E_clISt17integral_constantIbLb0EES16_EEDaS11_S12_EUlS11_E_NS1_11comp_targetILNS1_3genE9ELNS1_11target_archE1100ELNS1_3gpuE3ELNS1_3repE0EEENS1_30default_config_static_selectorELNS0_4arch9wavefront6targetE0EEEvT1_
	.p2align	8
	.type	_ZN7rocprim17ROCPRIM_400000_NS6detail17trampoline_kernelINS0_14default_configENS1_25partition_config_selectorILNS1_17partition_subalgoE5ElNS0_10empty_typeEbEEZZNS1_14partition_implILS5_5ELb0ES3_mN6hipcub16HIPCUB_304000_NS21CountingInputIteratorIllEEPS6_NSA_22TransformInputIteratorIb7NonZeroIfEPflEENS0_5tupleIJPlS6_EEENSJ_IJSD_SD_EEES6_SK_JS6_EEE10hipError_tPvRmT3_T4_T5_T6_T7_T9_mT8_P12ihipStream_tbDpT10_ENKUlT_T0_E_clISt17integral_constantIbLb0EES16_EEDaS11_S12_EUlS11_E_NS1_11comp_targetILNS1_3genE9ELNS1_11target_archE1100ELNS1_3gpuE3ELNS1_3repE0EEENS1_30default_config_static_selectorELNS0_4arch9wavefront6targetE0EEEvT1_,@function
_ZN7rocprim17ROCPRIM_400000_NS6detail17trampoline_kernelINS0_14default_configENS1_25partition_config_selectorILNS1_17partition_subalgoE5ElNS0_10empty_typeEbEEZZNS1_14partition_implILS5_5ELb0ES3_mN6hipcub16HIPCUB_304000_NS21CountingInputIteratorIllEEPS6_NSA_22TransformInputIteratorIb7NonZeroIfEPflEENS0_5tupleIJPlS6_EEENSJ_IJSD_SD_EEES6_SK_JS6_EEE10hipError_tPvRmT3_T4_T5_T6_T7_T9_mT8_P12ihipStream_tbDpT10_ENKUlT_T0_E_clISt17integral_constantIbLb0EES16_EEDaS11_S12_EUlS11_E_NS1_11comp_targetILNS1_3genE9ELNS1_11target_archE1100ELNS1_3gpuE3ELNS1_3repE0EEENS1_30default_config_static_selectorELNS0_4arch9wavefront6targetE0EEEvT1_: ; @_ZN7rocprim17ROCPRIM_400000_NS6detail17trampoline_kernelINS0_14default_configENS1_25partition_config_selectorILNS1_17partition_subalgoE5ElNS0_10empty_typeEbEEZZNS1_14partition_implILS5_5ELb0ES3_mN6hipcub16HIPCUB_304000_NS21CountingInputIteratorIllEEPS6_NSA_22TransformInputIteratorIb7NonZeroIfEPflEENS0_5tupleIJPlS6_EEENSJ_IJSD_SD_EEES6_SK_JS6_EEE10hipError_tPvRmT3_T4_T5_T6_T7_T9_mT8_P12ihipStream_tbDpT10_ENKUlT_T0_E_clISt17integral_constantIbLb0EES16_EEDaS11_S12_EUlS11_E_NS1_11comp_targetILNS1_3genE9ELNS1_11target_archE1100ELNS1_3gpuE3ELNS1_3repE0EEENS1_30default_config_static_selectorELNS0_4arch9wavefront6targetE0EEEvT1_
; %bb.0:
	s_clause 0x4
	s_load_b128 s[8:11], s[0:1], 0x8
	s_load_b128 s[4:7], s[0:1], 0x48
	s_load_b32 s14, s[0:1], 0x70
	s_load_b64 s[2:3], s[0:1], 0x58
	s_load_b64 s[12:13], s[0:1], 0x20
	s_waitcnt lgkmcnt(0)
	s_add_u32 s18, s10, s8
	s_load_b64 s[6:7], s[6:7], 0x0
	s_mul_i32 s17, s14, 0x300
	s_addc_u32 s19, s11, s9
	s_add_i32 s14, s14, -1
	s_add_u32 s8, s10, s17
	s_addc_u32 s9, s11, 0
	s_cmp_eq_u32 s15, s14
	v_cmp_ge_u64_e64 s3, s[8:9], s[2:3]
	s_cselect_b32 s14, -1, 0
	s_mul_i32 s8, s15, 0x300
	s_mov_b32 s9, 0
	s_delay_alu instid0(VALU_DEP_1) | instskip(NEXT) | instid1(SALU_CYCLE_1)
	s_and_b32 s3, s14, s3
	s_xor_b32 s16, s3, -1
	s_mov_b32 s3, -1
	s_and_b32 vcc_lo, exec_lo, s16
	s_cbranch_vccz .LBB259_2
; %bb.1:
	s_add_u32 s3, s18, s8
	s_addc_u32 s20, s19, 0
	v_add_co_u32 v1, s3, s3, v0
	s_delay_alu instid0(VALU_DEP_1) | instskip(SKIP_1) | instid1(VALU_DEP_3)
	v_add_co_ci_u32_e64 v2, null, s20, 0, s3
	v_lshlrev_b32_e32 v13, 3, v0
	v_add_co_u32 v3, vcc_lo, 0x80, v1
	s_delay_alu instid0(VALU_DEP_3)
	v_add_co_ci_u32_e32 v4, vcc_lo, 0, v2, vcc_lo
	v_add_co_u32 v5, vcc_lo, 0x100, v1
	v_add_co_ci_u32_e32 v6, vcc_lo, 0, v2, vcc_lo
	v_add_co_u32 v7, vcc_lo, 0x180, v1
	;; [unrolled: 2-line block ×4, first 2 shown]
	v_add_co_ci_u32_e32 v12, vcc_lo, 0, v2, vcc_lo
	ds_store_2addr_stride64_b64 v13, v[1:2], v[3:4] offset1:2
	ds_store_2addr_stride64_b64 v13, v[5:6], v[7:8] offset0:4 offset1:6
	ds_store_2addr_stride64_b64 v13, v[9:10], v[11:12] offset0:8 offset1:10
	s_waitcnt lgkmcnt(0)
	s_mov_b32 s3, s9
	s_barrier
.LBB259_2:
	v_or_b32_e32 v17, 0x100, v0
	v_or_b32_e32 v16, 0x180, v0
	;; [unrolled: 1-line block ×4, first 2 shown]
	s_and_not1_b32 vcc_lo, exec_lo, s3
	s_cbranch_vccnz .LBB259_4
; %bb.3:
	v_or_b32_e32 v3, 0x80, v0
	s_add_u32 s3, s18, s8
	s_addc_u32 s18, s19, 0
	v_add_co_u32 v1, s19, s3, v0
	s_delay_alu instid0(VALU_DEP_1) | instskip(SKIP_1) | instid1(VALU_DEP_1)
	v_add_co_ci_u32_e64 v2, null, s18, 0, s19
	v_add_co_u32 v3, s19, s3, v3
	v_add_co_ci_u32_e64 v4, null, s18, 0, s19
	v_add_co_u32 v5, s19, s3, v17
	s_delay_alu instid0(VALU_DEP_1) | instskip(SKIP_1) | instid1(VALU_DEP_1)
	v_add_co_ci_u32_e64 v6, null, s18, 0, s19
	v_add_co_u32 v7, s19, s3, v16
	v_add_co_ci_u32_e64 v8, null, s18, 0, s19
	v_add_co_u32 v9, s19, s3, v14
	v_lshlrev_b32_e32 v15, 3, v0
	v_add_co_u32 v11, s3, s3, v13
	v_add_co_ci_u32_e64 v10, null, s18, 0, s19
	v_add_co_ci_u32_e64 v12, null, s18, 0, s3
	ds_store_2addr_stride64_b64 v15, v[1:2], v[3:4] offset1:2
	ds_store_2addr_stride64_b64 v15, v[5:6], v[7:8] offset0:4 offset1:6
	ds_store_2addr_stride64_b64 v15, v[9:10], v[11:12] offset0:8 offset1:10
	s_waitcnt lgkmcnt(0)
	s_barrier
.LBB259_4:
	v_mul_u32_u24_e32 v1, 6, v0
	s_waitcnt lgkmcnt(0)
	buffer_gl0_inv
	s_lshl_b64 s[18:19], s[10:11], 2
	v_lshlrev_b32_e32 v18, 2, v0
	s_add_u32 s3, s12, s18
	v_lshlrev_b32_e32 v15, 3, v1
	s_addc_u32 s11, s13, s19
	s_lshl_b64 s[8:9], s[8:9], 2
	ds_load_b128 v[9:12], v15
	ds_load_b128 v[5:8], v15 offset:16
	ds_load_b128 v[1:4], v15 offset:32
	s_add_u32 s12, s3, s8
	s_addc_u32 s13, s11, s9
	s_and_b32 vcc_lo, exec_lo, s16
	s_mov_b32 s3, -1
	s_waitcnt lgkmcnt(0)
	s_barrier
	buffer_gl0_inv
	s_cbranch_vccz .LBB259_6
; %bb.5:
	s_clause 0x5
	global_load_b32 v19, v18, s[12:13]
	global_load_b32 v20, v18, s[12:13] offset:512
	global_load_b32 v21, v18, s[12:13] offset:1024
	;; [unrolled: 1-line block ×5, first 2 shown]
	s_mov_b32 s3, 0
	s_waitcnt vmcnt(5)
	v_cmp_neq_f32_e32 vcc_lo, 0, v19
	v_cndmask_b32_e64 v19, 0, 1, vcc_lo
	s_waitcnt vmcnt(4)
	v_cmp_neq_f32_e32 vcc_lo, 0, v20
	v_cndmask_b32_e64 v20, 0, 1, vcc_lo
	;; [unrolled: 3-line block ×6, first 2 shown]
	ds_store_b8 v0, v19
	ds_store_b8 v0, v20 offset:128
	ds_store_b8 v0, v21 offset:256
	ds_store_b8 v0, v22 offset:384
	ds_store_b8 v0, v23 offset:512
	ds_store_b8 v0, v24 offset:640
	s_waitcnt lgkmcnt(0)
	s_barrier
.LBB259_6:
	s_load_b64 s[8:9], s[0:1], 0x68
	s_and_not1_b32 vcc_lo, exec_lo, s3
	s_cbranch_vccnz .LBB259_20
; %bb.7:
	s_add_i32 s17, s17, s10
	v_dual_mov_b32 v19, 0 :: v_dual_mov_b32 v20, 0
	s_sub_i32 s2, s2, s17
	s_mov_b32 s3, exec_lo
	s_addk_i32 s2, 0x300
	s_delay_alu instid0(SALU_CYCLE_1)
	v_cmpx_gt_u32_e64 s2, v0
	s_cbranch_execz .LBB259_9
; %bb.8:
	global_load_b32 v20, v18, s[12:13]
	s_waitcnt vmcnt(0)
	v_cmp_neq_f32_e32 vcc_lo, 0, v20
	v_cndmask_b32_e64 v20, 0, 1, vcc_lo
.LBB259_9:
	s_or_b32 exec_lo, exec_lo, s3
	v_or_b32_e32 v21, 0x80, v0
	s_mov_b32 s3, exec_lo
	s_delay_alu instid0(VALU_DEP_1)
	v_cmpx_gt_u32_e64 s2, v21
	s_cbranch_execz .LBB259_11
; %bb.10:
	global_load_b32 v19, v18, s[12:13] offset:512
	s_waitcnt vmcnt(0)
	v_cmp_neq_f32_e32 vcc_lo, 0, v19
	v_cndmask_b32_e64 v19, 0, 1, vcc_lo
.LBB259_11:
	s_or_b32 exec_lo, exec_lo, s3
	v_cmp_gt_u32_e32 vcc_lo, s2, v17
	v_mov_b32_e32 v17, 0
	v_mov_b32_e32 v21, 0
	s_and_saveexec_b32 s3, vcc_lo
	s_cbranch_execz .LBB259_13
; %bb.12:
	global_load_b32 v21, v18, s[12:13] offset:1024
	s_waitcnt vmcnt(0)
	v_cmp_neq_f32_e32 vcc_lo, 0, v21
	v_cndmask_b32_e64 v21, 0, 1, vcc_lo
.LBB259_13:
	s_or_b32 exec_lo, exec_lo, s3
	s_delay_alu instid0(SALU_CYCLE_1)
	s_mov_b32 s3, exec_lo
	v_cmpx_gt_u32_e64 s2, v16
	s_cbranch_execz .LBB259_15
; %bb.14:
	global_load_b32 v16, v18, s[12:13] offset:1536
	s_waitcnt vmcnt(0)
	v_cmp_neq_f32_e32 vcc_lo, 0, v16
	v_cndmask_b32_e64 v17, 0, 1, vcc_lo
.LBB259_15:
	s_or_b32 exec_lo, exec_lo, s3
	v_cmp_gt_u32_e32 vcc_lo, s2, v14
	v_mov_b32_e32 v14, 0
	v_mov_b32_e32 v16, 0
	s_and_saveexec_b32 s3, vcc_lo
	s_cbranch_execz .LBB259_17
; %bb.16:
	global_load_b32 v16, v18, s[12:13] offset:2048
	s_waitcnt vmcnt(0)
	v_cmp_neq_f32_e32 vcc_lo, 0, v16
	v_cndmask_b32_e64 v16, 0, 1, vcc_lo
.LBB259_17:
	s_or_b32 exec_lo, exec_lo, s3
	v_cmp_gt_u32_e32 vcc_lo, s2, v13
	s_and_saveexec_b32 s2, vcc_lo
	s_cbranch_execz .LBB259_19
; %bb.18:
	global_load_b32 v13, v18, s[12:13] offset:2560
	s_waitcnt vmcnt(0)
	v_cmp_neq_f32_e32 vcc_lo, 0, v13
	v_cndmask_b32_e64 v14, 0, 1, vcc_lo
.LBB259_19:
	s_or_b32 exec_lo, exec_lo, s2
	ds_store_b8 v0, v20
	ds_store_b8 v0, v19 offset:128
	ds_store_b8 v0, v21 offset:256
	;; [unrolled: 1-line block ×5, first 2 shown]
	s_waitcnt lgkmcnt(0)
	s_barrier
.LBB259_20:
	v_mad_i32_i24 v43, 0xffffffd6, v0, v15
	s_waitcnt lgkmcnt(0)
	buffer_gl0_inv
	v_mbcnt_lo_u32_b32 v42, -1, 0
	s_cmp_lg_u32 s15, 0
	s_mov_b32 s3, -1
	ds_load_u16 v36, v43
	ds_load_u16 v33, v43 offset:2
	ds_load_u16 v31, v43 offset:4
	v_mov_b32_e32 v14, 0
	v_and_b32_e32 v44, 15, v42
	s_waitcnt lgkmcnt(0)
	s_barrier
	buffer_gl0_inv
	v_and_b32_e32 v41, 0xff, v36
	v_lshrrev_b16 v34, 8, v36
	v_lshrrev_b16 v35, 8, v33
	v_and_b32_e32 v39, 0xff, v33
	v_lshrrev_b16 v32, 8, v31
	v_and_b32_e32 v37, 0xff, v31
	v_and_b32_e32 v40, 0xffff, v34
	;; [unrolled: 1-line block ×3, first 2 shown]
	s_delay_alu instid0(VALU_DEP_4) | instskip(NEXT) | instid1(VALU_DEP_3)
	v_and_b32_e32 v16, 0xffff, v32
	v_add_co_u32 v13, s2, v40, v41
	s_delay_alu instid0(VALU_DEP_1) | instskip(SKIP_1) | instid1(VALU_DEP_3)
	v_add_co_ci_u32_e64 v15, null, 0, 0, s2
	v_cmp_ne_u32_e64 s2, 0, v44
	v_add_co_u32 v13, vcc_lo, v13, v39
	s_delay_alu instid0(VALU_DEP_3) | instskip(NEXT) | instid1(VALU_DEP_2)
	v_add_co_ci_u32_e32 v15, vcc_lo, 0, v15, vcc_lo
	v_add_co_u32 v13, vcc_lo, v13, v38
	s_delay_alu instid0(VALU_DEP_2) | instskip(NEXT) | instid1(VALU_DEP_2)
	v_add_co_ci_u32_e32 v15, vcc_lo, 0, v15, vcc_lo
	v_add_co_u32 v13, vcc_lo, v13, v37
	s_delay_alu instid0(VALU_DEP_2) | instskip(NEXT) | instid1(VALU_DEP_2)
	v_add_co_ci_u32_e32 v15, vcc_lo, 0, v15, vcc_lo
	v_add_co_u32 v21, vcc_lo, v13, v16
	s_delay_alu instid0(VALU_DEP_2)
	v_add_co_ci_u32_e32 v22, vcc_lo, 0, v15, vcc_lo
	s_cbranch_scc0 .LBB259_84
; %bb.21:
	s_delay_alu instid0(VALU_DEP_2)
	v_mov_b32_e32 v15, v21
	v_mov_b32_dpp v13, v21 row_shr:1 row_mask:0xf bank_mask:0xf
	v_mov_b32_dpp v18, v14 row_shr:1 row_mask:0xf bank_mask:0xf
	v_dual_mov_b32 v17, v21 :: v_dual_mov_b32 v16, v22
	s_and_saveexec_b32 s3, s2
; %bb.22:
	s_delay_alu instid0(VALU_DEP_3) | instskip(SKIP_1) | instid1(VALU_DEP_2)
	v_add_co_u32 v17, vcc_lo, v21, v13
	v_add_co_ci_u32_e32 v14, vcc_lo, 0, v22, vcc_lo
	v_add_co_u32 v13, vcc_lo, 0, v17
	s_delay_alu instid0(VALU_DEP_2) | instskip(NEXT) | instid1(VALU_DEP_1)
	v_add_co_ci_u32_e32 v14, vcc_lo, v18, v14, vcc_lo
	v_dual_mov_b32 v16, v14 :: v_dual_mov_b32 v15, v13
; %bb.23:
	s_or_b32 exec_lo, exec_lo, s3
	v_mov_b32_dpp v13, v17 row_shr:2 row_mask:0xf bank_mask:0xf
	v_mov_b32_dpp v18, v14 row_shr:2 row_mask:0xf bank_mask:0xf
	s_mov_b32 s3, exec_lo
	v_cmpx_lt_u32_e32 1, v44
; %bb.24:
	s_delay_alu instid0(VALU_DEP_3) | instskip(SKIP_1) | instid1(VALU_DEP_2)
	v_add_co_u32 v17, vcc_lo, v15, v13
	v_add_co_ci_u32_e32 v14, vcc_lo, 0, v16, vcc_lo
	v_add_co_u32 v13, vcc_lo, 0, v17
	s_delay_alu instid0(VALU_DEP_2) | instskip(NEXT) | instid1(VALU_DEP_1)
	v_add_co_ci_u32_e32 v14, vcc_lo, v18, v14, vcc_lo
	v_dual_mov_b32 v16, v14 :: v_dual_mov_b32 v15, v13
; %bb.25:
	s_or_b32 exec_lo, exec_lo, s3
	v_mov_b32_dpp v13, v17 row_shr:4 row_mask:0xf bank_mask:0xf
	v_mov_b32_dpp v18, v14 row_shr:4 row_mask:0xf bank_mask:0xf
	s_mov_b32 s3, exec_lo
	v_cmpx_lt_u32_e32 3, v44
	;; [unrolled: 14-line block ×3, first 2 shown]
; %bb.28:
	s_delay_alu instid0(VALU_DEP_3) | instskip(SKIP_1) | instid1(VALU_DEP_2)
	v_add_co_u32 v17, vcc_lo, v15, v18
	v_add_co_ci_u32_e32 v14, vcc_lo, 0, v16, vcc_lo
	v_add_co_u32 v15, vcc_lo, 0, v17
	s_delay_alu instid0(VALU_DEP_2) | instskip(NEXT) | instid1(VALU_DEP_1)
	v_add_co_ci_u32_e32 v16, vcc_lo, v13, v14, vcc_lo
	v_mov_b32_e32 v14, v16
; %bb.29:
	s_or_b32 exec_lo, exec_lo, s3
	ds_swizzle_b32 v13, v17 offset:swizzle(BROADCAST,32,15)
	ds_swizzle_b32 v18, v14 offset:swizzle(BROADCAST,32,15)
	v_and_b32_e32 v19, 16, v42
	s_mov_b32 s3, exec_lo
	s_delay_alu instid0(VALU_DEP_1)
	v_cmpx_ne_u32_e32 0, v19
	s_cbranch_execz .LBB259_31
; %bb.30:
	s_waitcnt lgkmcnt(1)
	v_add_co_u32 v17, vcc_lo, v15, v13
	v_add_co_ci_u32_e32 v14, vcc_lo, 0, v16, vcc_lo
	s_delay_alu instid0(VALU_DEP_2) | instskip(SKIP_1) | instid1(VALU_DEP_2)
	v_add_co_u32 v13, vcc_lo, 0, v17
	s_waitcnt lgkmcnt(0)
	v_add_co_ci_u32_e32 v14, vcc_lo, v18, v14, vcc_lo
	s_delay_alu instid0(VALU_DEP_1)
	v_dual_mov_b32 v16, v14 :: v_dual_mov_b32 v15, v13
.LBB259_31:
	s_or_b32 exec_lo, exec_lo, s3
	s_waitcnt lgkmcnt(0)
	v_or_b32_e32 v18, 31, v0
	v_lshrrev_b32_e32 v13, 5, v0
	s_mov_b32 s3, exec_lo
	s_delay_alu instid0(VALU_DEP_2)
	v_cmpx_eq_u32_e64 v18, v0
	s_cbranch_execz .LBB259_33
; %bb.32:
	s_delay_alu instid0(VALU_DEP_2)
	v_lshlrev_b32_e32 v18, 3, v13
	ds_store_b64 v18, v[15:16]
.LBB259_33:
	s_or_b32 exec_lo, exec_lo, s3
	s_delay_alu instid0(SALU_CYCLE_1)
	s_mov_b32 s3, exec_lo
	s_waitcnt lgkmcnt(0)
	s_barrier
	buffer_gl0_inv
	v_cmpx_gt_u32_e32 4, v0
	s_cbranch_execz .LBB259_39
; %bb.34:
	v_lshlrev_b32_e32 v18, 3, v0
	s_mov_b32 s10, exec_lo
	ds_load_b64 v[15:16], v18
	s_waitcnt lgkmcnt(0)
	v_dual_mov_b32 v20, v15 :: v_dual_and_b32 v19, 3, v42
	v_mov_b32_dpp v24, v15 row_shr:1 row_mask:0xf bank_mask:0xf
	v_mov_b32_dpp v23, v16 row_shr:1 row_mask:0xf bank_mask:0xf
	s_delay_alu instid0(VALU_DEP_3)
	v_cmpx_ne_u32_e32 0, v19
; %bb.35:
	s_delay_alu instid0(VALU_DEP_3) | instskip(SKIP_1) | instid1(VALU_DEP_2)
	v_add_co_u32 v20, vcc_lo, v15, v24
	v_add_co_ci_u32_e32 v16, vcc_lo, 0, v16, vcc_lo
	v_add_co_u32 v15, vcc_lo, 0, v20
	s_delay_alu instid0(VALU_DEP_2)
	v_add_co_ci_u32_e32 v16, vcc_lo, v23, v16, vcc_lo
; %bb.36:
	s_or_b32 exec_lo, exec_lo, s10
	v_mov_b32_dpp v23, v20 row_shr:2 row_mask:0xf bank_mask:0xf
	s_delay_alu instid0(VALU_DEP_2)
	v_mov_b32_dpp v20, v16 row_shr:2 row_mask:0xf bank_mask:0xf
	s_mov_b32 s10, exec_lo
	v_cmpx_lt_u32_e32 1, v19
; %bb.37:
	s_delay_alu instid0(VALU_DEP_3) | instskip(SKIP_1) | instid1(VALU_DEP_2)
	v_add_co_u32 v15, vcc_lo, v15, v23
	v_add_co_ci_u32_e32 v16, vcc_lo, 0, v16, vcc_lo
	v_add_co_u32 v15, vcc_lo, v15, 0
	s_delay_alu instid0(VALU_DEP_2)
	v_add_co_ci_u32_e32 v16, vcc_lo, v16, v20, vcc_lo
; %bb.38:
	s_or_b32 exec_lo, exec_lo, s10
	ds_store_b64 v18, v[15:16]
.LBB259_39:
	s_or_b32 exec_lo, exec_lo, s3
	v_cmp_gt_u32_e32 vcc_lo, 32, v0
	s_mov_b32 s10, exec_lo
	s_waitcnt lgkmcnt(0)
	s_barrier
	buffer_gl0_inv
                                        ; implicit-def: $vgpr23_vgpr24
	v_cmpx_lt_u32_e32 31, v0
	s_cbranch_execz .LBB259_41
; %bb.40:
	v_lshl_add_u32 v13, v13, 3, -8
	ds_load_b64 v[23:24], v13
	s_waitcnt lgkmcnt(0)
	v_add_co_u32 v17, s3, v17, v23
	s_delay_alu instid0(VALU_DEP_1)
	v_add_co_ci_u32_e64 v14, s3, v14, v24, s3
.LBB259_41:
	s_or_b32 exec_lo, exec_lo, s10
	v_add_nc_u32_e32 v13, -1, v42
	s_delay_alu instid0(VALU_DEP_1) | instskip(NEXT) | instid1(VALU_DEP_1)
	v_cmp_gt_i32_e64 s3, 0, v13
	v_cndmask_b32_e64 v13, v13, v42, s3
	v_cmp_eq_u32_e64 s3, 0, v42
	s_delay_alu instid0(VALU_DEP_2)
	v_lshlrev_b32_e32 v13, 2, v13
	ds_bpermute_b32 v29, v13, v17
	ds_bpermute_b32 v30, v13, v14
	s_and_saveexec_b32 s10, vcc_lo
	s_cbranch_execz .LBB259_79
; %bb.42:
	v_mov_b32_e32 v16, 0
	ds_load_b64 v[13:14], v16 offset:24
	s_and_saveexec_b32 s11, s3
	s_cbranch_execz .LBB259_44
; %bb.43:
	s_add_i32 s12, s15, 32
	s_mov_b32 s13, 0
	s_delay_alu instid0(SALU_CYCLE_1) | instskip(NEXT) | instid1(SALU_CYCLE_1)
	s_lshl_b64 s[12:13], s[12:13], 4
	s_add_u32 s12, s8, s12
	s_addc_u32 s13, s9, s13
	s_delay_alu instid0(SALU_CYCLE_1)
	v_dual_mov_b32 v15, 1 :: v_dual_mov_b32 v18, s13
	v_mov_b32_e32 v17, s12
	s_waitcnt lgkmcnt(0)
	;;#ASMSTART
	global_store_dwordx4 v[17:18], v[13:16] off	
s_waitcnt vmcnt(0)
	;;#ASMEND
.LBB259_44:
	s_or_b32 exec_lo, exec_lo, s11
	v_xad_u32 v25, v42, -1, s15
	s_mov_b32 s12, 0
	s_mov_b32 s11, exec_lo
	s_delay_alu instid0(VALU_DEP_1) | instskip(NEXT) | instid1(VALU_DEP_1)
	v_add_nc_u32_e32 v15, 32, v25
	v_lshlrev_b64 v[15:16], 4, v[15:16]
	s_delay_alu instid0(VALU_DEP_1) | instskip(NEXT) | instid1(VALU_DEP_2)
	v_add_co_u32 v15, vcc_lo, s8, v15
	v_add_co_ci_u32_e32 v16, vcc_lo, s9, v16, vcc_lo
	;;#ASMSTART
	global_load_dwordx4 v[17:20], v[15:16] off glc	
s_waitcnt vmcnt(0)
	;;#ASMEND
	v_and_b32_e32 v20, 0xff, v18
	v_and_b32_e32 v26, 0xff00, v18
	;; [unrolled: 1-line block ×3, first 2 shown]
	v_or3_b32 v17, v17, 0, 0
	v_and_b32_e32 v18, 0xff000000, v18
	s_delay_alu instid0(VALU_DEP_4) | instskip(SKIP_1) | instid1(VALU_DEP_4)
	v_or3_b32 v20, 0, v20, v26
	v_and_b32_e32 v26, 0xff, v19
	v_or3_b32 v17, v17, 0, 0
	s_delay_alu instid0(VALU_DEP_3) | instskip(NEXT) | instid1(VALU_DEP_3)
	v_or3_b32 v18, v20, v27, v18
	v_cmpx_eq_u16_e32 0, v26
	s_cbranch_execz .LBB259_47
.LBB259_45:                             ; =>This Inner Loop Header: Depth=1
	;;#ASMSTART
	global_load_dwordx4 v[17:20], v[15:16] off glc	
s_waitcnt vmcnt(0)
	;;#ASMEND
	v_and_b32_e32 v20, 0xff, v19
	s_delay_alu instid0(VALU_DEP_1) | instskip(SKIP_1) | instid1(SALU_CYCLE_1)
	v_cmp_ne_u16_e32 vcc_lo, 0, v20
	s_or_b32 s12, vcc_lo, s12
	s_and_not1_b32 exec_lo, exec_lo, s12
	s_cbranch_execnz .LBB259_45
; %bb.46:
	s_or_b32 exec_lo, exec_lo, s12
.LBB259_47:
	s_delay_alu instid0(SALU_CYCLE_1)
	s_or_b32 exec_lo, exec_lo, s11
	v_cmp_ne_u32_e32 vcc_lo, 31, v42
	v_and_b32_e32 v16, 0xff, v19
	v_lshlrev_b32_e64 v46, v42, -1
	s_mov_b32 s11, exec_lo
	v_add_co_ci_u32_e32 v15, vcc_lo, 0, v42, vcc_lo
	s_delay_alu instid0(VALU_DEP_3) | instskip(NEXT) | instid1(VALU_DEP_2)
	v_cmp_eq_u16_e32 vcc_lo, 2, v16
	v_dual_mov_b32 v16, v17 :: v_dual_lshlrev_b32 v45, 2, v15
	v_and_or_b32 v15, vcc_lo, v46, 0x80000000
	ds_bpermute_b32 v26, v45, v17
	ds_bpermute_b32 v20, v45, v18
	v_ctz_i32_b32_e32 v15, v15
	s_delay_alu instid0(VALU_DEP_1)
	v_cmpx_lt_u32_e64 v42, v15
	s_cbranch_execz .LBB259_49
; %bb.48:
	s_waitcnt lgkmcnt(1)
	v_add_co_u32 v16, vcc_lo, v17, v26
	v_add_co_ci_u32_e32 v18, vcc_lo, 0, v18, vcc_lo
	s_delay_alu instid0(VALU_DEP_2) | instskip(SKIP_1) | instid1(VALU_DEP_2)
	v_add_co_u32 v17, vcc_lo, 0, v16
	s_waitcnt lgkmcnt(0)
	v_add_co_ci_u32_e32 v18, vcc_lo, v20, v18, vcc_lo
.LBB259_49:
	s_or_b32 exec_lo, exec_lo, s11
	v_cmp_gt_u32_e32 vcc_lo, 30, v42
	v_add_nc_u32_e32 v48, 2, v42
	s_mov_b32 s11, exec_lo
	s_waitcnt lgkmcnt(0)
	v_cndmask_b32_e64 v20, 0, 1, vcc_lo
	s_delay_alu instid0(VALU_DEP_1) | instskip(NEXT) | instid1(VALU_DEP_1)
	v_lshlrev_b32_e32 v20, 1, v20
	v_add_lshl_u32 v47, v20, v42, 2
	ds_bpermute_b32 v26, v47, v16
	ds_bpermute_b32 v20, v47, v18
	v_cmpx_le_u32_e64 v48, v15
	s_cbranch_execz .LBB259_51
; %bb.50:
	s_waitcnt lgkmcnt(1)
	v_add_co_u32 v16, vcc_lo, v17, v26
	v_add_co_ci_u32_e32 v18, vcc_lo, 0, v18, vcc_lo
	s_delay_alu instid0(VALU_DEP_2) | instskip(SKIP_1) | instid1(VALU_DEP_2)
	v_add_co_u32 v17, vcc_lo, 0, v16
	s_waitcnt lgkmcnt(0)
	v_add_co_ci_u32_e32 v18, vcc_lo, v20, v18, vcc_lo
.LBB259_51:
	s_or_b32 exec_lo, exec_lo, s11
	v_cmp_gt_u32_e32 vcc_lo, 28, v42
	v_add_nc_u32_e32 v50, 4, v42
	s_mov_b32 s11, exec_lo
	s_waitcnt lgkmcnt(0)
	v_cndmask_b32_e64 v20, 0, 1, vcc_lo
	s_delay_alu instid0(VALU_DEP_1) | instskip(NEXT) | instid1(VALU_DEP_1)
	v_lshlrev_b32_e32 v20, 2, v20
	v_add_lshl_u32 v49, v20, v42, 2
	ds_bpermute_b32 v26, v49, v16
	ds_bpermute_b32 v20, v49, v18
	v_cmpx_le_u32_e64 v50, v15
	s_cbranch_execz .LBB259_53
; %bb.52:
	s_waitcnt lgkmcnt(1)
	v_add_co_u32 v16, vcc_lo, v17, v26
	v_add_co_ci_u32_e32 v18, vcc_lo, 0, v18, vcc_lo
	s_delay_alu instid0(VALU_DEP_2) | instskip(SKIP_1) | instid1(VALU_DEP_2)
	v_add_co_u32 v17, vcc_lo, 0, v16
	s_waitcnt lgkmcnt(0)
	v_add_co_ci_u32_e32 v18, vcc_lo, v20, v18, vcc_lo
.LBB259_53:
	s_or_b32 exec_lo, exec_lo, s11
	v_cmp_gt_u32_e32 vcc_lo, 24, v42
	v_add_nc_u32_e32 v52, 8, v42
	s_mov_b32 s11, exec_lo
	s_waitcnt lgkmcnt(0)
	v_cndmask_b32_e64 v20, 0, 1, vcc_lo
	s_delay_alu instid0(VALU_DEP_1) | instskip(NEXT) | instid1(VALU_DEP_1)
	v_lshlrev_b32_e32 v20, 3, v20
	v_add_lshl_u32 v51, v20, v42, 2
	ds_bpermute_b32 v26, v51, v16
	ds_bpermute_b32 v20, v51, v18
	v_cmpx_le_u32_e64 v52, v15
	s_cbranch_execz .LBB259_55
; %bb.54:
	s_waitcnt lgkmcnt(1)
	v_add_co_u32 v16, vcc_lo, v17, v26
	v_add_co_ci_u32_e32 v18, vcc_lo, 0, v18, vcc_lo
	s_delay_alu instid0(VALU_DEP_2) | instskip(SKIP_1) | instid1(VALU_DEP_2)
	v_add_co_u32 v17, vcc_lo, 0, v16
	s_waitcnt lgkmcnt(0)
	v_add_co_ci_u32_e32 v18, vcc_lo, v20, v18, vcc_lo
.LBB259_55:
	s_or_b32 exec_lo, exec_lo, s11
	v_cmp_gt_u32_e32 vcc_lo, 16, v42
	v_add_nc_u32_e32 v54, 16, v42
	s_mov_b32 s11, exec_lo
	s_waitcnt lgkmcnt(0)
	v_cndmask_b32_e64 v20, 0, 1, vcc_lo
	s_delay_alu instid0(VALU_DEP_1) | instskip(NEXT) | instid1(VALU_DEP_1)
	v_lshlrev_b32_e32 v20, 4, v20
	v_add_lshl_u32 v53, v20, v42, 2
	ds_bpermute_b32 v20, v53, v16
	ds_bpermute_b32 v16, v53, v18
	v_cmpx_le_u32_e64 v54, v15
	s_cbranch_execz .LBB259_57
; %bb.56:
	s_waitcnt lgkmcnt(1)
	v_add_co_u32 v15, vcc_lo, v17, v20
	v_add_co_ci_u32_e32 v18, vcc_lo, 0, v18, vcc_lo
	s_delay_alu instid0(VALU_DEP_2) | instskip(SKIP_1) | instid1(VALU_DEP_2)
	v_add_co_u32 v17, vcc_lo, v15, 0
	s_waitcnt lgkmcnt(0)
	v_add_co_ci_u32_e32 v18, vcc_lo, v18, v16, vcc_lo
.LBB259_57:
	s_or_b32 exec_lo, exec_lo, s11
	v_mov_b32_e32 v26, 0
	s_branch .LBB259_59
.LBB259_58:                             ;   in Loop: Header=BB259_59 Depth=1
	s_or_b32 exec_lo, exec_lo, s11
	v_add_co_u32 v17, vcc_lo, v17, v15
	v_subrev_nc_u32_e32 v25, 32, v25
	v_add_co_ci_u32_e32 v18, vcc_lo, v18, v16, vcc_lo
.LBB259_59:                             ; =>This Loop Header: Depth=1
                                        ;     Child Loop BB259_62 Depth 2
	v_and_b32_e32 v15, 0xff, v19
	s_delay_alu instid0(VALU_DEP_1) | instskip(SKIP_2) | instid1(VALU_DEP_1)
	v_cmp_ne_u16_e32 vcc_lo, 2, v15
	v_cndmask_b32_e64 v15, 0, 1, vcc_lo
	;;#ASMSTART
	;;#ASMEND
	v_cmp_ne_u32_e32 vcc_lo, 0, v15
	s_waitcnt lgkmcnt(0)
	v_dual_mov_b32 v15, v17 :: v_dual_mov_b32 v16, v18
	s_cmp_lg_u32 vcc_lo, exec_lo
	s_cbranch_scc1 .LBB259_74
; %bb.60:                               ;   in Loop: Header=BB259_59 Depth=1
	v_lshlrev_b64 v[17:18], 4, v[25:26]
	s_mov_b32 s11, exec_lo
	s_delay_alu instid0(VALU_DEP_1) | instskip(NEXT) | instid1(VALU_DEP_2)
	v_add_co_u32 v27, vcc_lo, s8, v17
	v_add_co_ci_u32_e32 v28, vcc_lo, s9, v18, vcc_lo
	;;#ASMSTART
	global_load_dwordx4 v[17:20], v[27:28] off glc	
s_waitcnt vmcnt(0)
	;;#ASMEND
	v_and_b32_e32 v20, 0xff, v18
	v_and_b32_e32 v55, 0xff00, v18
	;; [unrolled: 1-line block ×3, first 2 shown]
	v_or3_b32 v17, v17, 0, 0
	v_and_b32_e32 v18, 0xff000000, v18
	s_delay_alu instid0(VALU_DEP_4) | instskip(SKIP_1) | instid1(VALU_DEP_4)
	v_or3_b32 v20, 0, v20, v55
	v_and_b32_e32 v55, 0xff, v19
	v_or3_b32 v17, v17, 0, 0
	s_delay_alu instid0(VALU_DEP_3) | instskip(NEXT) | instid1(VALU_DEP_3)
	v_or3_b32 v18, v20, v56, v18
	v_cmpx_eq_u16_e32 0, v55
	s_cbranch_execz .LBB259_64
; %bb.61:                               ;   in Loop: Header=BB259_59 Depth=1
	s_mov_b32 s12, 0
.LBB259_62:                             ;   Parent Loop BB259_59 Depth=1
                                        ; =>  This Inner Loop Header: Depth=2
	;;#ASMSTART
	global_load_dwordx4 v[17:20], v[27:28] off glc	
s_waitcnt vmcnt(0)
	;;#ASMEND
	v_and_b32_e32 v20, 0xff, v19
	s_delay_alu instid0(VALU_DEP_1) | instskip(SKIP_1) | instid1(SALU_CYCLE_1)
	v_cmp_ne_u16_e32 vcc_lo, 0, v20
	s_or_b32 s12, vcc_lo, s12
	s_and_not1_b32 exec_lo, exec_lo, s12
	s_cbranch_execnz .LBB259_62
; %bb.63:                               ;   in Loop: Header=BB259_59 Depth=1
	s_or_b32 exec_lo, exec_lo, s12
.LBB259_64:                             ;   in Loop: Header=BB259_59 Depth=1
	s_delay_alu instid0(SALU_CYCLE_1)
	s_or_b32 exec_lo, exec_lo, s11
	v_dual_mov_b32 v27, v17 :: v_dual_and_b32 v20, 0xff, v19
	ds_bpermute_b32 v55, v45, v17
	ds_bpermute_b32 v28, v45, v18
	s_mov_b32 s11, exec_lo
	v_cmp_eq_u16_e32 vcc_lo, 2, v20
	v_and_or_b32 v20, vcc_lo, v46, 0x80000000
	s_delay_alu instid0(VALU_DEP_1) | instskip(NEXT) | instid1(VALU_DEP_1)
	v_ctz_i32_b32_e32 v20, v20
	v_cmpx_lt_u32_e64 v42, v20
	s_cbranch_execz .LBB259_66
; %bb.65:                               ;   in Loop: Header=BB259_59 Depth=1
	s_waitcnt lgkmcnt(1)
	v_add_co_u32 v27, vcc_lo, v17, v55
	v_add_co_ci_u32_e32 v18, vcc_lo, 0, v18, vcc_lo
	s_delay_alu instid0(VALU_DEP_2) | instskip(SKIP_1) | instid1(VALU_DEP_2)
	v_add_co_u32 v17, vcc_lo, 0, v27
	s_waitcnt lgkmcnt(0)
	v_add_co_ci_u32_e32 v18, vcc_lo, v28, v18, vcc_lo
.LBB259_66:                             ;   in Loop: Header=BB259_59 Depth=1
	s_or_b32 exec_lo, exec_lo, s11
	s_waitcnt lgkmcnt(1)
	ds_bpermute_b32 v55, v47, v27
	s_waitcnt lgkmcnt(1)
	ds_bpermute_b32 v28, v47, v18
	s_mov_b32 s11, exec_lo
	v_cmpx_le_u32_e64 v48, v20
	s_cbranch_execz .LBB259_68
; %bb.67:                               ;   in Loop: Header=BB259_59 Depth=1
	s_waitcnt lgkmcnt(1)
	v_add_co_u32 v27, vcc_lo, v17, v55
	v_add_co_ci_u32_e32 v18, vcc_lo, 0, v18, vcc_lo
	s_delay_alu instid0(VALU_DEP_2) | instskip(SKIP_1) | instid1(VALU_DEP_2)
	v_add_co_u32 v17, vcc_lo, 0, v27
	s_waitcnt lgkmcnt(0)
	v_add_co_ci_u32_e32 v18, vcc_lo, v28, v18, vcc_lo
.LBB259_68:                             ;   in Loop: Header=BB259_59 Depth=1
	s_or_b32 exec_lo, exec_lo, s11
	s_waitcnt lgkmcnt(1)
	ds_bpermute_b32 v55, v49, v27
	s_waitcnt lgkmcnt(1)
	ds_bpermute_b32 v28, v49, v18
	s_mov_b32 s11, exec_lo
	v_cmpx_le_u32_e64 v50, v20
	;; [unrolled: 17-line block ×3, first 2 shown]
	s_cbranch_execz .LBB259_72
; %bb.71:                               ;   in Loop: Header=BB259_59 Depth=1
	s_waitcnt lgkmcnt(1)
	v_add_co_u32 v27, vcc_lo, v17, v55
	v_add_co_ci_u32_e32 v18, vcc_lo, 0, v18, vcc_lo
	s_delay_alu instid0(VALU_DEP_2) | instskip(SKIP_1) | instid1(VALU_DEP_2)
	v_add_co_u32 v17, vcc_lo, 0, v27
	s_waitcnt lgkmcnt(0)
	v_add_co_ci_u32_e32 v18, vcc_lo, v28, v18, vcc_lo
.LBB259_72:                             ;   in Loop: Header=BB259_59 Depth=1
	s_or_b32 exec_lo, exec_lo, s11
	s_waitcnt lgkmcnt(0)
	ds_bpermute_b32 v28, v53, v27
	ds_bpermute_b32 v27, v53, v18
	s_mov_b32 s11, exec_lo
	v_cmpx_le_u32_e64 v54, v20
	s_cbranch_execz .LBB259_58
; %bb.73:                               ;   in Loop: Header=BB259_59 Depth=1
	s_waitcnt lgkmcnt(1)
	v_add_co_u32 v17, vcc_lo, v17, v28
	v_add_co_ci_u32_e32 v18, vcc_lo, 0, v18, vcc_lo
	s_delay_alu instid0(VALU_DEP_2) | instskip(SKIP_1) | instid1(VALU_DEP_2)
	v_add_co_u32 v17, vcc_lo, v17, 0
	s_waitcnt lgkmcnt(0)
	v_add_co_ci_u32_e32 v18, vcc_lo, v18, v27, vcc_lo
	s_branch .LBB259_58
.LBB259_74:                             ;   in Loop: Header=BB259_59 Depth=1
                                        ; implicit-def: $vgpr17_vgpr18
	s_cbranch_execz .LBB259_59
; %bb.75:
	s_and_saveexec_b32 s11, s3
	s_cbranch_execz .LBB259_77
; %bb.76:
	s_add_i32 s12, s15, 32
	s_mov_b32 s13, 0
	v_add_co_u32 v17, vcc_lo, v15, v13
	s_lshl_b64 s[12:13], s[12:13], 4
	v_dual_mov_b32 v19, 2 :: v_dual_mov_b32 v20, 0
	s_add_u32 s12, s8, s12
	s_addc_u32 s13, s9, s13
	v_add_co_ci_u32_e32 v18, vcc_lo, v16, v14, vcc_lo
	v_dual_mov_b32 v26, s13 :: v_dual_mov_b32 v25, s12
	;;#ASMSTART
	global_store_dwordx4 v[25:26], v[17:20] off	
s_waitcnt vmcnt(0)
	;;#ASMEND
	ds_store_b128 v20, v[13:16] offset:6144
.LBB259_77:
	s_or_b32 exec_lo, exec_lo, s11
	v_cmp_eq_u32_e32 vcc_lo, 0, v0
	s_and_b32 exec_lo, exec_lo, vcc_lo
	s_cbranch_execz .LBB259_79
; %bb.78:
	v_mov_b32_e32 v13, 0
	ds_store_b64 v13, v[15:16] offset:24
.LBB259_79:
	s_or_b32 exec_lo, exec_lo, s10
	s_waitcnt lgkmcnt(1)
	v_cndmask_b32_e64 v16, v29, v23, s3
	v_cmp_ne_u32_e32 vcc_lo, 0, v0
	v_mov_b32_e32 v15, 0
	s_waitcnt lgkmcnt(0)
	s_barrier
	buffer_gl0_inv
	v_cndmask_b32_e32 v16, 0, v16, vcc_lo
	ds_load_b64 v[13:14], v15 offset:24
	v_cndmask_b32_e64 v17, v30, v24, s3
	s_waitcnt lgkmcnt(0)
	s_barrier
	buffer_gl0_inv
	v_cndmask_b32_e32 v17, 0, v17, vcc_lo
	v_add_co_u32 v29, vcc_lo, v13, v16
	s_delay_alu instid0(VALU_DEP_2) | instskip(SKIP_3) | instid1(VALU_DEP_2)
	v_add_co_ci_u32_e32 v30, vcc_lo, v14, v17, vcc_lo
	ds_load_b128 v[13:16], v15 offset:6144
	v_add_co_u32 v27, vcc_lo, v29, v41
	v_add_co_ci_u32_e32 v28, vcc_lo, 0, v30, vcc_lo
	v_add_co_u32 v25, vcc_lo, v27, v40
	s_delay_alu instid0(VALU_DEP_2) | instskip(NEXT) | instid1(VALU_DEP_2)
	v_add_co_ci_u32_e32 v26, vcc_lo, 0, v28, vcc_lo
	v_add_co_u32 v23, vcc_lo, v25, v39
	s_delay_alu instid0(VALU_DEP_2) | instskip(NEXT) | instid1(VALU_DEP_2)
	;; [unrolled: 3-line block ×3, first 2 shown]
	v_add_co_ci_u32_e32 v20, vcc_lo, 0, v24, vcc_lo
	v_add_co_u32 v17, vcc_lo, v19, v37
	s_delay_alu instid0(VALU_DEP_2)
	v_add_co_ci_u32_e32 v18, vcc_lo, 0, v20, vcc_lo
	s_load_b64 s[10:11], s[0:1], 0x30
.LBB259_80:
	s_waitcnt lgkmcnt(0)
	v_cmp_gt_u64_e32 vcc_lo, 0x81, v[13:14]
	s_mov_b32 s0, -1
	s_cbranch_vccnz .LBB259_108
.LBB259_81:
	s_and_b32 vcc_lo, exec_lo, s0
	s_cbranch_vccnz .LBB259_127
.LBB259_82:
	v_cmp_eq_u32_e32 vcc_lo, 0, v0
	s_and_b32 s0, vcc_lo, s14
	s_delay_alu instid0(SALU_CYCLE_1)
	s_and_saveexec_b32 s1, s0
	s_cbranch_execnz .LBB259_143
.LBB259_83:
	s_nop 0
	s_sendmsg sendmsg(MSG_DEALLOC_VGPRS)
	s_endpgm
.LBB259_84:
                                        ; kill: def $vgpr13_vgpr14 killed $sgpr0_sgpr1 killed $exec
                                        ; implicit-def: $vgpr17_vgpr18
                                        ; implicit-def: $vgpr19_vgpr20
                                        ; implicit-def: $vgpr23_vgpr24
                                        ; implicit-def: $vgpr25_vgpr26
                                        ; implicit-def: $vgpr27_vgpr28
                                        ; implicit-def: $vgpr29_vgpr30
                                        ; implicit-def: $vgpr15_vgpr16
	s_load_b64 s[10:11], s[0:1], 0x30
	s_and_b32 vcc_lo, exec_lo, s3
	s_cbranch_vccz .LBB259_80
; %bb.85:
	s_waitcnt lgkmcnt(0)
	v_dual_mov_b32 v14, 0 :: v_dual_mov_b32 v15, v21
	v_mov_b32_dpp v16, v21 row_shr:1 row_mask:0xf bank_mask:0xf
	s_delay_alu instid0(VALU_DEP_2)
	v_mov_b32_dpp v13, v14 row_shr:1 row_mask:0xf bank_mask:0xf
	s_and_saveexec_b32 s0, s2
; %bb.86:
	s_delay_alu instid0(VALU_DEP_2) | instskip(SKIP_1) | instid1(VALU_DEP_2)
	v_add_co_u32 v15, vcc_lo, v21, v16
	v_add_co_ci_u32_e32 v14, vcc_lo, 0, v22, vcc_lo
	v_add_co_u32 v21, vcc_lo, 0, v15
	s_delay_alu instid0(VALU_DEP_2) | instskip(NEXT) | instid1(VALU_DEP_1)
	v_add_co_ci_u32_e32 v22, vcc_lo, v13, v14, vcc_lo
	v_mov_b32_e32 v14, v22
; %bb.87:
	s_or_b32 exec_lo, exec_lo, s0
	v_mov_b32_dpp v13, v15 row_shr:2 row_mask:0xf bank_mask:0xf
	s_delay_alu instid0(VALU_DEP_2)
	v_mov_b32_dpp v16, v14 row_shr:2 row_mask:0xf bank_mask:0xf
	s_mov_b32 s0, exec_lo
	v_cmpx_lt_u32_e32 1, v44
; %bb.88:
	s_delay_alu instid0(VALU_DEP_3) | instskip(SKIP_1) | instid1(VALU_DEP_2)
	v_add_co_u32 v15, vcc_lo, v21, v13
	v_add_co_ci_u32_e32 v14, vcc_lo, 0, v22, vcc_lo
	v_add_co_u32 v13, vcc_lo, 0, v15
	s_delay_alu instid0(VALU_DEP_2) | instskip(NEXT) | instid1(VALU_DEP_1)
	v_add_co_ci_u32_e32 v14, vcc_lo, v16, v14, vcc_lo
	v_dual_mov_b32 v22, v14 :: v_dual_mov_b32 v21, v13
; %bb.89:
	s_or_b32 exec_lo, exec_lo, s0
	v_mov_b32_dpp v13, v15 row_shr:4 row_mask:0xf bank_mask:0xf
	v_mov_b32_dpp v16, v14 row_shr:4 row_mask:0xf bank_mask:0xf
	s_mov_b32 s0, exec_lo
	v_cmpx_lt_u32_e32 3, v44
; %bb.90:
	s_delay_alu instid0(VALU_DEP_3) | instskip(SKIP_1) | instid1(VALU_DEP_2)
	v_add_co_u32 v15, vcc_lo, v21, v13
	v_add_co_ci_u32_e32 v14, vcc_lo, 0, v22, vcc_lo
	v_add_co_u32 v13, vcc_lo, 0, v15
	s_delay_alu instid0(VALU_DEP_2) | instskip(NEXT) | instid1(VALU_DEP_1)
	v_add_co_ci_u32_e32 v14, vcc_lo, v16, v14, vcc_lo
	v_dual_mov_b32 v22, v14 :: v_dual_mov_b32 v21, v13
; %bb.91:
	s_or_b32 exec_lo, exec_lo, s0
	v_mov_b32_dpp v16, v15 row_shr:8 row_mask:0xf bank_mask:0xf
	v_mov_b32_dpp v13, v14 row_shr:8 row_mask:0xf bank_mask:0xf
	s_mov_b32 s0, exec_lo
	v_cmpx_lt_u32_e32 7, v44
; %bb.92:
	s_delay_alu instid0(VALU_DEP_3) | instskip(SKIP_1) | instid1(VALU_DEP_2)
	v_add_co_u32 v15, vcc_lo, v21, v16
	v_add_co_ci_u32_e32 v14, vcc_lo, 0, v22, vcc_lo
	v_add_co_u32 v21, vcc_lo, 0, v15
	s_delay_alu instid0(VALU_DEP_2) | instskip(NEXT) | instid1(VALU_DEP_1)
	v_add_co_ci_u32_e32 v22, vcc_lo, v13, v14, vcc_lo
	v_mov_b32_e32 v14, v22
; %bb.93:
	s_or_b32 exec_lo, exec_lo, s0
	ds_swizzle_b32 v15, v15 offset:swizzle(BROADCAST,32,15)
	ds_swizzle_b32 v13, v14 offset:swizzle(BROADCAST,32,15)
	v_and_b32_e32 v14, 16, v42
	s_mov_b32 s0, exec_lo
	s_delay_alu instid0(VALU_DEP_1)
	v_cmpx_ne_u32_e32 0, v14
	s_cbranch_execz .LBB259_95
; %bb.94:
	s_waitcnt lgkmcnt(1)
	v_add_co_u32 v14, vcc_lo, v21, v15
	v_add_co_ci_u32_e32 v15, vcc_lo, 0, v22, vcc_lo
	s_delay_alu instid0(VALU_DEP_2) | instskip(SKIP_1) | instid1(VALU_DEP_2)
	v_add_co_u32 v21, vcc_lo, v14, 0
	s_waitcnt lgkmcnt(0)
	v_add_co_ci_u32_e32 v22, vcc_lo, v15, v13, vcc_lo
.LBB259_95:
	s_or_b32 exec_lo, exec_lo, s0
	s_waitcnt lgkmcnt(0)
	v_or_b32_e32 v13, 31, v0
	v_lshrrev_b32_e32 v15, 5, v0
	s_mov_b32 s0, exec_lo
	s_delay_alu instid0(VALU_DEP_2)
	v_cmpx_eq_u32_e64 v13, v0
	s_cbranch_execz .LBB259_97
; %bb.96:
	s_delay_alu instid0(VALU_DEP_2)
	v_lshlrev_b32_e32 v13, 3, v15
	ds_store_b64 v13, v[21:22]
.LBB259_97:
	s_or_b32 exec_lo, exec_lo, s0
	s_delay_alu instid0(SALU_CYCLE_1)
	s_mov_b32 s0, exec_lo
	s_waitcnt lgkmcnt(0)
	s_barrier
	buffer_gl0_inv
	v_cmpx_gt_u32_e32 4, v0
	s_cbranch_execz .LBB259_103
; %bb.98:
	v_lshlrev_b32_e32 v13, 1, v0
	s_mov_b32 s1, exec_lo
	s_delay_alu instid0(VALU_DEP_1)
	v_add_nc_u32_e32 v16, v43, v13
	ds_load_b64 v[13:14], v16
	s_waitcnt lgkmcnt(0)
	v_dual_mov_b32 v18, v13 :: v_dual_and_b32 v17, 3, v42
	v_mov_b32_dpp v20, v13 row_shr:1 row_mask:0xf bank_mask:0xf
	v_mov_b32_dpp v19, v14 row_shr:1 row_mask:0xf bank_mask:0xf
	s_delay_alu instid0(VALU_DEP_3)
	v_cmpx_ne_u32_e32 0, v17
; %bb.99:
	s_delay_alu instid0(VALU_DEP_3) | instskip(SKIP_1) | instid1(VALU_DEP_2)
	v_add_co_u32 v18, vcc_lo, v13, v20
	v_add_co_ci_u32_e32 v14, vcc_lo, 0, v14, vcc_lo
	v_add_co_u32 v13, vcc_lo, 0, v18
	s_delay_alu instid0(VALU_DEP_2)
	v_add_co_ci_u32_e32 v14, vcc_lo, v19, v14, vcc_lo
; %bb.100:
	s_or_b32 exec_lo, exec_lo, s1
	v_mov_b32_dpp v19, v18 row_shr:2 row_mask:0xf bank_mask:0xf
	s_delay_alu instid0(VALU_DEP_2)
	v_mov_b32_dpp v18, v14 row_shr:2 row_mask:0xf bank_mask:0xf
	s_mov_b32 s1, exec_lo
	v_cmpx_lt_u32_e32 1, v17
; %bb.101:
	s_delay_alu instid0(VALU_DEP_3) | instskip(SKIP_1) | instid1(VALU_DEP_2)
	v_add_co_u32 v13, vcc_lo, v13, v19
	v_add_co_ci_u32_e32 v14, vcc_lo, 0, v14, vcc_lo
	v_add_co_u32 v13, vcc_lo, v13, 0
	s_delay_alu instid0(VALU_DEP_2)
	v_add_co_ci_u32_e32 v14, vcc_lo, v14, v18, vcc_lo
; %bb.102:
	s_or_b32 exec_lo, exec_lo, s1
	ds_store_b64 v16, v[13:14]
.LBB259_103:
	s_or_b32 exec_lo, exec_lo, s0
	v_mov_b32_e32 v17, 0
	v_mov_b32_e32 v18, 0
	s_mov_b32 s0, exec_lo
	s_waitcnt lgkmcnt(0)
	s_barrier
	buffer_gl0_inv
	v_cmpx_lt_u32_e32 31, v0
	s_cbranch_execz .LBB259_105
; %bb.104:
	v_lshl_add_u32 v13, v15, 3, -8
	ds_load_b64 v[17:18], v13
.LBB259_105:
	s_or_b32 exec_lo, exec_lo, s0
	v_dual_mov_b32 v16, 0 :: v_dual_add_nc_u32 v13, -1, v42
	s_delay_alu instid0(VALU_DEP_1) | instskip(SKIP_4) | instid1(VALU_DEP_3)
	v_cmp_gt_i32_e32 vcc_lo, 0, v13
	v_cndmask_b32_e32 v13, v13, v42, vcc_lo
	s_waitcnt lgkmcnt(0)
	v_add_co_u32 v14, vcc_lo, v17, v21
	v_add_co_ci_u32_e32 v15, vcc_lo, v18, v22, vcc_lo
	v_lshlrev_b32_e32 v13, 2, v13
	v_cmp_eq_u32_e32 vcc_lo, 0, v0
	ds_bpermute_b32 v19, v13, v14
	ds_bpermute_b32 v20, v13, v15
	ds_load_b64 v[13:14], v16 offset:24
	s_and_saveexec_b32 s0, vcc_lo
	s_cbranch_execz .LBB259_107
; %bb.106:
	s_add_u32 s2, s8, 0x200
	s_addc_u32 s3, s9, 0
	s_delay_alu instid0(SALU_CYCLE_1)
	v_dual_mov_b32 v15, 2 :: v_dual_mov_b32 v22, s3
	v_mov_b32_e32 v21, s2
	s_waitcnt lgkmcnt(0)
	;;#ASMSTART
	global_store_dwordx4 v[21:22], v[13:16] off	
s_waitcnt vmcnt(0)
	;;#ASMEND
.LBB259_107:
	s_or_b32 exec_lo, exec_lo, s0
	v_cmp_eq_u32_e64 s0, 0, v42
	s_waitcnt lgkmcnt(0)
	s_barrier
	buffer_gl0_inv
	v_cndmask_b32_e64 v15, v19, v17, s0
	v_cndmask_b32_e64 v16, v20, v18, s0
	s_delay_alu instid0(VALU_DEP_2) | instskip(NEXT) | instid1(VALU_DEP_2)
	v_cndmask_b32_e64 v29, v15, 0, vcc_lo
	v_cndmask_b32_e64 v30, v16, 0, vcc_lo
	v_mov_b32_e32 v15, 0
	v_mov_b32_e32 v16, 0
	s_delay_alu instid0(VALU_DEP_4) | instskip(NEXT) | instid1(VALU_DEP_4)
	v_add_co_u32 v27, vcc_lo, v29, v41
	v_add_co_ci_u32_e32 v28, vcc_lo, 0, v30, vcc_lo
	s_delay_alu instid0(VALU_DEP_2) | instskip(NEXT) | instid1(VALU_DEP_2)
	v_add_co_u32 v25, vcc_lo, v27, v40
	v_add_co_ci_u32_e32 v26, vcc_lo, 0, v28, vcc_lo
	s_delay_alu instid0(VALU_DEP_2) | instskip(NEXT) | instid1(VALU_DEP_2)
	v_add_co_u32 v23, vcc_lo, v25, v39
	v_add_co_ci_u32_e32 v24, vcc_lo, 0, v26, vcc_lo
	s_delay_alu instid0(VALU_DEP_2) | instskip(NEXT) | instid1(VALU_DEP_2)
	v_add_co_u32 v19, vcc_lo, v23, v38
	v_add_co_ci_u32_e32 v20, vcc_lo, 0, v24, vcc_lo
	s_delay_alu instid0(VALU_DEP_2) | instskip(NEXT) | instid1(VALU_DEP_2)
	v_add_co_u32 v17, vcc_lo, v19, v37
	v_add_co_ci_u32_e32 v18, vcc_lo, 0, v20, vcc_lo
	v_cmp_gt_u64_e32 vcc_lo, 0x81, v[13:14]
	s_mov_b32 s0, -1
	s_cbranch_vccz .LBB259_81
.LBB259_108:
	v_add_co_u32 v21, vcc_lo, v15, v13
	v_add_co_ci_u32_e32 v22, vcc_lo, v16, v14, vcc_lo
	s_delay_alu instid0(VALU_DEP_1) | instskip(SKIP_1) | instid1(SALU_CYCLE_1)
	v_cmp_lt_u64_e32 vcc_lo, v[29:30], v[21:22]
	s_or_b32 s1, s16, vcc_lo
	s_and_saveexec_b32 s0, s1
	s_cbranch_execz .LBB259_111
; %bb.109:
	v_and_b32_e32 v37, 1, v36
	s_delay_alu instid0(VALU_DEP_1)
	v_cmp_eq_u32_e32 vcc_lo, 1, v37
	s_and_b32 exec_lo, exec_lo, vcc_lo
	s_cbranch_execz .LBB259_111
; %bb.110:
	v_lshlrev_b64 v[37:38], 3, v[29:30]
	s_lshl_b64 s[2:3], s[6:7], 3
	s_delay_alu instid0(SALU_CYCLE_1) | instskip(SKIP_1) | instid1(VALU_DEP_1)
	s_add_u32 s1, s10, s2
	s_addc_u32 s2, s11, s3
	v_add_co_u32 v37, vcc_lo, s1, v37
	s_delay_alu instid0(VALU_DEP_2)
	v_add_co_ci_u32_e32 v38, vcc_lo, s2, v38, vcc_lo
	global_store_b64 v[37:38], v[9:10], off
.LBB259_111:
	s_or_b32 exec_lo, exec_lo, s0
	v_cmp_lt_u64_e32 vcc_lo, v[27:28], v[21:22]
	s_or_b32 s1, s16, vcc_lo
	s_delay_alu instid0(SALU_CYCLE_1)
	s_and_saveexec_b32 s0, s1
	s_cbranch_execz .LBB259_114
; %bb.112:
	v_and_b32_e32 v30, 1, v34
	s_delay_alu instid0(VALU_DEP_1)
	v_cmp_eq_u32_e32 vcc_lo, 1, v30
	s_and_b32 exec_lo, exec_lo, vcc_lo
	s_cbranch_execz .LBB259_114
; %bb.113:
	v_lshlrev_b64 v[37:38], 3, v[27:28]
	s_lshl_b64 s[2:3], s[6:7], 3
	s_delay_alu instid0(SALU_CYCLE_1) | instskip(SKIP_1) | instid1(VALU_DEP_1)
	s_add_u32 s1, s10, s2
	s_addc_u32 s2, s11, s3
	v_add_co_u32 v37, vcc_lo, s1, v37
	s_delay_alu instid0(VALU_DEP_2)
	v_add_co_ci_u32_e32 v38, vcc_lo, s2, v38, vcc_lo
	global_store_b64 v[37:38], v[11:12], off
.LBB259_114:
	s_or_b32 exec_lo, exec_lo, s0
	v_cmp_lt_u64_e32 vcc_lo, v[25:26], v[21:22]
	s_or_b32 s1, s16, vcc_lo
	s_delay_alu instid0(SALU_CYCLE_1)
	;; [unrolled: 23-line block ×5, first 2 shown]
	s_and_saveexec_b32 s0, s1
	s_cbranch_execz .LBB259_126
; %bb.124:
	v_and_b32_e32 v20, 1, v32
	s_delay_alu instid0(VALU_DEP_1)
	v_cmp_eq_u32_e32 vcc_lo, 1, v20
	s_and_b32 exec_lo, exec_lo, vcc_lo
	s_cbranch_execz .LBB259_126
; %bb.125:
	v_lshlrev_b64 v[20:21], 3, v[17:18]
	s_lshl_b64 s[2:3], s[6:7], 3
	s_delay_alu instid0(SALU_CYCLE_1) | instskip(SKIP_1) | instid1(VALU_DEP_1)
	s_add_u32 s1, s10, s2
	s_addc_u32 s2, s11, s3
	v_add_co_u32 v20, vcc_lo, s1, v20
	s_delay_alu instid0(VALU_DEP_2)
	v_add_co_ci_u32_e32 v21, vcc_lo, s2, v21, vcc_lo
	global_store_b64 v[20:21], v[3:4], off
.LBB259_126:
	s_or_b32 exec_lo, exec_lo, s0
	s_branch .LBB259_82
.LBB259_127:
	v_and_b32_e32 v18, 1, v36
	s_mov_b32 s0, exec_lo
	s_delay_alu instid0(VALU_DEP_1)
	v_cmpx_eq_u32_e32 1, v18
	s_cbranch_execz .LBB259_129
; %bb.128:
	v_sub_nc_u32_e32 v18, v29, v15
	s_delay_alu instid0(VALU_DEP_1)
	v_lshlrev_b32_e32 v18, 3, v18
	ds_store_b64 v18, v[9:10]
.LBB259_129:
	s_or_b32 exec_lo, exec_lo, s0
	v_and_b32_e32 v9, 1, v34
	s_mov_b32 s0, exec_lo
	s_delay_alu instid0(VALU_DEP_1)
	v_cmpx_eq_u32_e32 1, v9
	s_cbranch_execz .LBB259_131
; %bb.130:
	v_sub_nc_u32_e32 v9, v27, v15
	s_delay_alu instid0(VALU_DEP_1)
	v_lshlrev_b32_e32 v9, 3, v9
	ds_store_b64 v9, v[11:12]
.LBB259_131:
	s_or_b32 exec_lo, exec_lo, s0
	;; [unrolled: 12-line block ×6, first 2 shown]
	v_mov_b32_e32 v3, 0
	s_mov_b32 s1, exec_lo
	s_waitcnt lgkmcnt(0)
	s_waitcnt_vscnt null, 0x0
	s_barrier
	buffer_gl0_inv
	v_mov_b32_e32 v1, v3
	s_delay_alu instid0(VALU_DEP_1)
	v_cmpx_gt_u64_e64 v[13:14], v[0:1]
	s_cbranch_execz .LBB259_142
; %bb.140:
	v_lshlrev_b64 v[4:5], 3, v[15:16]
	s_lshl_b64 s[2:3], s[6:7], 3
	v_or_b32_e32 v2, 0x80, v0
	s_delay_alu instid0(VALU_DEP_2) | instskip(NEXT) | instid1(VALU_DEP_3)
	v_add_co_u32 v4, vcc_lo, s10, v4
	v_add_co_ci_u32_e32 v5, vcc_lo, s11, v5, vcc_lo
	s_delay_alu instid0(VALU_DEP_2) | instskip(NEXT) | instid1(VALU_DEP_2)
	v_add_co_u32 v6, vcc_lo, v4, s2
	v_add_co_ci_u32_e32 v7, vcc_lo, s3, v5, vcc_lo
	v_dual_mov_b32 v5, v1 :: v_dual_mov_b32 v4, v0
	s_mov_b32 s2, 0
	.p2align	6
.LBB259_141:                            ; =>This Inner Loop Header: Depth=1
	s_delay_alu instid0(VALU_DEP_1) | instskip(NEXT) | instid1(VALU_DEP_2)
	v_lshlrev_b32_e32 v1, 3, v4
	v_lshlrev_b64 v[10:11], 3, v[4:5]
	v_dual_mov_b32 v5, v3 :: v_dual_mov_b32 v4, v2
	v_cmp_le_u64_e32 vcc_lo, v[13:14], v[2:3]
	v_add_nc_u32_e32 v2, 0x80, v2
	ds_load_b64 v[8:9], v1
	v_add_co_u32 v10, s0, v6, v10
	s_delay_alu instid0(VALU_DEP_1)
	v_add_co_ci_u32_e64 v11, s0, v7, v11, s0
	s_or_b32 s2, vcc_lo, s2
	s_waitcnt lgkmcnt(0)
	global_store_b64 v[10:11], v[8:9], off
	s_and_not1_b32 exec_lo, exec_lo, s2
	s_cbranch_execnz .LBB259_141
.LBB259_142:
	s_or_b32 exec_lo, exec_lo, s1
	v_cmp_eq_u32_e32 vcc_lo, 0, v0
	s_and_b32 s0, vcc_lo, s14
	s_delay_alu instid0(SALU_CYCLE_1)
	s_and_saveexec_b32 s1, s0
	s_cbranch_execz .LBB259_83
.LBB259_143:
	v_add_co_u32 v0, vcc_lo, v15, v13
	v_add_co_ci_u32_e32 v1, vcc_lo, v16, v14, vcc_lo
	v_mov_b32_e32 v2, 0
	s_delay_alu instid0(VALU_DEP_3) | instskip(NEXT) | instid1(VALU_DEP_3)
	v_add_co_u32 v0, vcc_lo, v0, s6
	v_add_co_ci_u32_e32 v1, vcc_lo, s7, v1, vcc_lo
	global_store_b64 v2, v[0:1], s[4:5]
	s_nop 0
	s_sendmsg sendmsg(MSG_DEALLOC_VGPRS)
	s_endpgm
	.section	.rodata,"a",@progbits
	.p2align	6, 0x0
	.amdhsa_kernel _ZN7rocprim17ROCPRIM_400000_NS6detail17trampoline_kernelINS0_14default_configENS1_25partition_config_selectorILNS1_17partition_subalgoE5ElNS0_10empty_typeEbEEZZNS1_14partition_implILS5_5ELb0ES3_mN6hipcub16HIPCUB_304000_NS21CountingInputIteratorIllEEPS6_NSA_22TransformInputIteratorIb7NonZeroIfEPflEENS0_5tupleIJPlS6_EEENSJ_IJSD_SD_EEES6_SK_JS6_EEE10hipError_tPvRmT3_T4_T5_T6_T7_T9_mT8_P12ihipStream_tbDpT10_ENKUlT_T0_E_clISt17integral_constantIbLb0EES16_EEDaS11_S12_EUlS11_E_NS1_11comp_targetILNS1_3genE9ELNS1_11target_archE1100ELNS1_3gpuE3ELNS1_3repE0EEENS1_30default_config_static_selectorELNS0_4arch9wavefront6targetE0EEEvT1_
		.amdhsa_group_segment_fixed_size 6160
		.amdhsa_private_segment_fixed_size 0
		.amdhsa_kernarg_size 120
		.amdhsa_user_sgpr_count 15
		.amdhsa_user_sgpr_dispatch_ptr 0
		.amdhsa_user_sgpr_queue_ptr 0
		.amdhsa_user_sgpr_kernarg_segment_ptr 1
		.amdhsa_user_sgpr_dispatch_id 0
		.amdhsa_user_sgpr_private_segment_size 0
		.amdhsa_wavefront_size32 1
		.amdhsa_uses_dynamic_stack 0
		.amdhsa_enable_private_segment 0
		.amdhsa_system_sgpr_workgroup_id_x 1
		.amdhsa_system_sgpr_workgroup_id_y 0
		.amdhsa_system_sgpr_workgroup_id_z 0
		.amdhsa_system_sgpr_workgroup_info 0
		.amdhsa_system_vgpr_workitem_id 0
		.amdhsa_next_free_vgpr 57
		.amdhsa_next_free_sgpr 21
		.amdhsa_reserve_vcc 1
		.amdhsa_float_round_mode_32 0
		.amdhsa_float_round_mode_16_64 0
		.amdhsa_float_denorm_mode_32 3
		.amdhsa_float_denorm_mode_16_64 3
		.amdhsa_dx10_clamp 1
		.amdhsa_ieee_mode 1
		.amdhsa_fp16_overflow 0
		.amdhsa_workgroup_processor_mode 1
		.amdhsa_memory_ordered 1
		.amdhsa_forward_progress 0
		.amdhsa_shared_vgpr_count 0
		.amdhsa_exception_fp_ieee_invalid_op 0
		.amdhsa_exception_fp_denorm_src 0
		.amdhsa_exception_fp_ieee_div_zero 0
		.amdhsa_exception_fp_ieee_overflow 0
		.amdhsa_exception_fp_ieee_underflow 0
		.amdhsa_exception_fp_ieee_inexact 0
		.amdhsa_exception_int_div_zero 0
	.end_amdhsa_kernel
	.section	.text._ZN7rocprim17ROCPRIM_400000_NS6detail17trampoline_kernelINS0_14default_configENS1_25partition_config_selectorILNS1_17partition_subalgoE5ElNS0_10empty_typeEbEEZZNS1_14partition_implILS5_5ELb0ES3_mN6hipcub16HIPCUB_304000_NS21CountingInputIteratorIllEEPS6_NSA_22TransformInputIteratorIb7NonZeroIfEPflEENS0_5tupleIJPlS6_EEENSJ_IJSD_SD_EEES6_SK_JS6_EEE10hipError_tPvRmT3_T4_T5_T6_T7_T9_mT8_P12ihipStream_tbDpT10_ENKUlT_T0_E_clISt17integral_constantIbLb0EES16_EEDaS11_S12_EUlS11_E_NS1_11comp_targetILNS1_3genE9ELNS1_11target_archE1100ELNS1_3gpuE3ELNS1_3repE0EEENS1_30default_config_static_selectorELNS0_4arch9wavefront6targetE0EEEvT1_,"axG",@progbits,_ZN7rocprim17ROCPRIM_400000_NS6detail17trampoline_kernelINS0_14default_configENS1_25partition_config_selectorILNS1_17partition_subalgoE5ElNS0_10empty_typeEbEEZZNS1_14partition_implILS5_5ELb0ES3_mN6hipcub16HIPCUB_304000_NS21CountingInputIteratorIllEEPS6_NSA_22TransformInputIteratorIb7NonZeroIfEPflEENS0_5tupleIJPlS6_EEENSJ_IJSD_SD_EEES6_SK_JS6_EEE10hipError_tPvRmT3_T4_T5_T6_T7_T9_mT8_P12ihipStream_tbDpT10_ENKUlT_T0_E_clISt17integral_constantIbLb0EES16_EEDaS11_S12_EUlS11_E_NS1_11comp_targetILNS1_3genE9ELNS1_11target_archE1100ELNS1_3gpuE3ELNS1_3repE0EEENS1_30default_config_static_selectorELNS0_4arch9wavefront6targetE0EEEvT1_,comdat
.Lfunc_end259:
	.size	_ZN7rocprim17ROCPRIM_400000_NS6detail17trampoline_kernelINS0_14default_configENS1_25partition_config_selectorILNS1_17partition_subalgoE5ElNS0_10empty_typeEbEEZZNS1_14partition_implILS5_5ELb0ES3_mN6hipcub16HIPCUB_304000_NS21CountingInputIteratorIllEEPS6_NSA_22TransformInputIteratorIb7NonZeroIfEPflEENS0_5tupleIJPlS6_EEENSJ_IJSD_SD_EEES6_SK_JS6_EEE10hipError_tPvRmT3_T4_T5_T6_T7_T9_mT8_P12ihipStream_tbDpT10_ENKUlT_T0_E_clISt17integral_constantIbLb0EES16_EEDaS11_S12_EUlS11_E_NS1_11comp_targetILNS1_3genE9ELNS1_11target_archE1100ELNS1_3gpuE3ELNS1_3repE0EEENS1_30default_config_static_selectorELNS0_4arch9wavefront6targetE0EEEvT1_, .Lfunc_end259-_ZN7rocprim17ROCPRIM_400000_NS6detail17trampoline_kernelINS0_14default_configENS1_25partition_config_selectorILNS1_17partition_subalgoE5ElNS0_10empty_typeEbEEZZNS1_14partition_implILS5_5ELb0ES3_mN6hipcub16HIPCUB_304000_NS21CountingInputIteratorIllEEPS6_NSA_22TransformInputIteratorIb7NonZeroIfEPflEENS0_5tupleIJPlS6_EEENSJ_IJSD_SD_EEES6_SK_JS6_EEE10hipError_tPvRmT3_T4_T5_T6_T7_T9_mT8_P12ihipStream_tbDpT10_ENKUlT_T0_E_clISt17integral_constantIbLb0EES16_EEDaS11_S12_EUlS11_E_NS1_11comp_targetILNS1_3genE9ELNS1_11target_archE1100ELNS1_3gpuE3ELNS1_3repE0EEENS1_30default_config_static_selectorELNS0_4arch9wavefront6targetE0EEEvT1_
                                        ; -- End function
	.section	.AMDGPU.csdata,"",@progbits
; Kernel info:
; codeLenInByte = 6348
; NumSgprs: 23
; NumVgprs: 57
; ScratchSize: 0
; MemoryBound: 0
; FloatMode: 240
; IeeeMode: 1
; LDSByteSize: 6160 bytes/workgroup (compile time only)
; SGPRBlocks: 2
; VGPRBlocks: 7
; NumSGPRsForWavesPerEU: 23
; NumVGPRsForWavesPerEU: 57
; Occupancy: 16
; WaveLimiterHint : 1
; COMPUTE_PGM_RSRC2:SCRATCH_EN: 0
; COMPUTE_PGM_RSRC2:USER_SGPR: 15
; COMPUTE_PGM_RSRC2:TRAP_HANDLER: 0
; COMPUTE_PGM_RSRC2:TGID_X_EN: 1
; COMPUTE_PGM_RSRC2:TGID_Y_EN: 0
; COMPUTE_PGM_RSRC2:TGID_Z_EN: 0
; COMPUTE_PGM_RSRC2:TIDIG_COMP_CNT: 0
	.section	.text._ZN7rocprim17ROCPRIM_400000_NS6detail17trampoline_kernelINS0_14default_configENS1_25partition_config_selectorILNS1_17partition_subalgoE5ElNS0_10empty_typeEbEEZZNS1_14partition_implILS5_5ELb0ES3_mN6hipcub16HIPCUB_304000_NS21CountingInputIteratorIllEEPS6_NSA_22TransformInputIteratorIb7NonZeroIfEPflEENS0_5tupleIJPlS6_EEENSJ_IJSD_SD_EEES6_SK_JS6_EEE10hipError_tPvRmT3_T4_T5_T6_T7_T9_mT8_P12ihipStream_tbDpT10_ENKUlT_T0_E_clISt17integral_constantIbLb0EES16_EEDaS11_S12_EUlS11_E_NS1_11comp_targetILNS1_3genE8ELNS1_11target_archE1030ELNS1_3gpuE2ELNS1_3repE0EEENS1_30default_config_static_selectorELNS0_4arch9wavefront6targetE0EEEvT1_,"axG",@progbits,_ZN7rocprim17ROCPRIM_400000_NS6detail17trampoline_kernelINS0_14default_configENS1_25partition_config_selectorILNS1_17partition_subalgoE5ElNS0_10empty_typeEbEEZZNS1_14partition_implILS5_5ELb0ES3_mN6hipcub16HIPCUB_304000_NS21CountingInputIteratorIllEEPS6_NSA_22TransformInputIteratorIb7NonZeroIfEPflEENS0_5tupleIJPlS6_EEENSJ_IJSD_SD_EEES6_SK_JS6_EEE10hipError_tPvRmT3_T4_T5_T6_T7_T9_mT8_P12ihipStream_tbDpT10_ENKUlT_T0_E_clISt17integral_constantIbLb0EES16_EEDaS11_S12_EUlS11_E_NS1_11comp_targetILNS1_3genE8ELNS1_11target_archE1030ELNS1_3gpuE2ELNS1_3repE0EEENS1_30default_config_static_selectorELNS0_4arch9wavefront6targetE0EEEvT1_,comdat
	.protected	_ZN7rocprim17ROCPRIM_400000_NS6detail17trampoline_kernelINS0_14default_configENS1_25partition_config_selectorILNS1_17partition_subalgoE5ElNS0_10empty_typeEbEEZZNS1_14partition_implILS5_5ELb0ES3_mN6hipcub16HIPCUB_304000_NS21CountingInputIteratorIllEEPS6_NSA_22TransformInputIteratorIb7NonZeroIfEPflEENS0_5tupleIJPlS6_EEENSJ_IJSD_SD_EEES6_SK_JS6_EEE10hipError_tPvRmT3_T4_T5_T6_T7_T9_mT8_P12ihipStream_tbDpT10_ENKUlT_T0_E_clISt17integral_constantIbLb0EES16_EEDaS11_S12_EUlS11_E_NS1_11comp_targetILNS1_3genE8ELNS1_11target_archE1030ELNS1_3gpuE2ELNS1_3repE0EEENS1_30default_config_static_selectorELNS0_4arch9wavefront6targetE0EEEvT1_ ; -- Begin function _ZN7rocprim17ROCPRIM_400000_NS6detail17trampoline_kernelINS0_14default_configENS1_25partition_config_selectorILNS1_17partition_subalgoE5ElNS0_10empty_typeEbEEZZNS1_14partition_implILS5_5ELb0ES3_mN6hipcub16HIPCUB_304000_NS21CountingInputIteratorIllEEPS6_NSA_22TransformInputIteratorIb7NonZeroIfEPflEENS0_5tupleIJPlS6_EEENSJ_IJSD_SD_EEES6_SK_JS6_EEE10hipError_tPvRmT3_T4_T5_T6_T7_T9_mT8_P12ihipStream_tbDpT10_ENKUlT_T0_E_clISt17integral_constantIbLb0EES16_EEDaS11_S12_EUlS11_E_NS1_11comp_targetILNS1_3genE8ELNS1_11target_archE1030ELNS1_3gpuE2ELNS1_3repE0EEENS1_30default_config_static_selectorELNS0_4arch9wavefront6targetE0EEEvT1_
	.globl	_ZN7rocprim17ROCPRIM_400000_NS6detail17trampoline_kernelINS0_14default_configENS1_25partition_config_selectorILNS1_17partition_subalgoE5ElNS0_10empty_typeEbEEZZNS1_14partition_implILS5_5ELb0ES3_mN6hipcub16HIPCUB_304000_NS21CountingInputIteratorIllEEPS6_NSA_22TransformInputIteratorIb7NonZeroIfEPflEENS0_5tupleIJPlS6_EEENSJ_IJSD_SD_EEES6_SK_JS6_EEE10hipError_tPvRmT3_T4_T5_T6_T7_T9_mT8_P12ihipStream_tbDpT10_ENKUlT_T0_E_clISt17integral_constantIbLb0EES16_EEDaS11_S12_EUlS11_E_NS1_11comp_targetILNS1_3genE8ELNS1_11target_archE1030ELNS1_3gpuE2ELNS1_3repE0EEENS1_30default_config_static_selectorELNS0_4arch9wavefront6targetE0EEEvT1_
	.p2align	8
	.type	_ZN7rocprim17ROCPRIM_400000_NS6detail17trampoline_kernelINS0_14default_configENS1_25partition_config_selectorILNS1_17partition_subalgoE5ElNS0_10empty_typeEbEEZZNS1_14partition_implILS5_5ELb0ES3_mN6hipcub16HIPCUB_304000_NS21CountingInputIteratorIllEEPS6_NSA_22TransformInputIteratorIb7NonZeroIfEPflEENS0_5tupleIJPlS6_EEENSJ_IJSD_SD_EEES6_SK_JS6_EEE10hipError_tPvRmT3_T4_T5_T6_T7_T9_mT8_P12ihipStream_tbDpT10_ENKUlT_T0_E_clISt17integral_constantIbLb0EES16_EEDaS11_S12_EUlS11_E_NS1_11comp_targetILNS1_3genE8ELNS1_11target_archE1030ELNS1_3gpuE2ELNS1_3repE0EEENS1_30default_config_static_selectorELNS0_4arch9wavefront6targetE0EEEvT1_,@function
_ZN7rocprim17ROCPRIM_400000_NS6detail17trampoline_kernelINS0_14default_configENS1_25partition_config_selectorILNS1_17partition_subalgoE5ElNS0_10empty_typeEbEEZZNS1_14partition_implILS5_5ELb0ES3_mN6hipcub16HIPCUB_304000_NS21CountingInputIteratorIllEEPS6_NSA_22TransformInputIteratorIb7NonZeroIfEPflEENS0_5tupleIJPlS6_EEENSJ_IJSD_SD_EEES6_SK_JS6_EEE10hipError_tPvRmT3_T4_T5_T6_T7_T9_mT8_P12ihipStream_tbDpT10_ENKUlT_T0_E_clISt17integral_constantIbLb0EES16_EEDaS11_S12_EUlS11_E_NS1_11comp_targetILNS1_3genE8ELNS1_11target_archE1030ELNS1_3gpuE2ELNS1_3repE0EEENS1_30default_config_static_selectorELNS0_4arch9wavefront6targetE0EEEvT1_: ; @_ZN7rocprim17ROCPRIM_400000_NS6detail17trampoline_kernelINS0_14default_configENS1_25partition_config_selectorILNS1_17partition_subalgoE5ElNS0_10empty_typeEbEEZZNS1_14partition_implILS5_5ELb0ES3_mN6hipcub16HIPCUB_304000_NS21CountingInputIteratorIllEEPS6_NSA_22TransformInputIteratorIb7NonZeroIfEPflEENS0_5tupleIJPlS6_EEENSJ_IJSD_SD_EEES6_SK_JS6_EEE10hipError_tPvRmT3_T4_T5_T6_T7_T9_mT8_P12ihipStream_tbDpT10_ENKUlT_T0_E_clISt17integral_constantIbLb0EES16_EEDaS11_S12_EUlS11_E_NS1_11comp_targetILNS1_3genE8ELNS1_11target_archE1030ELNS1_3gpuE2ELNS1_3repE0EEENS1_30default_config_static_selectorELNS0_4arch9wavefront6targetE0EEEvT1_
; %bb.0:
	.section	.rodata,"a",@progbits
	.p2align	6, 0x0
	.amdhsa_kernel _ZN7rocprim17ROCPRIM_400000_NS6detail17trampoline_kernelINS0_14default_configENS1_25partition_config_selectorILNS1_17partition_subalgoE5ElNS0_10empty_typeEbEEZZNS1_14partition_implILS5_5ELb0ES3_mN6hipcub16HIPCUB_304000_NS21CountingInputIteratorIllEEPS6_NSA_22TransformInputIteratorIb7NonZeroIfEPflEENS0_5tupleIJPlS6_EEENSJ_IJSD_SD_EEES6_SK_JS6_EEE10hipError_tPvRmT3_T4_T5_T6_T7_T9_mT8_P12ihipStream_tbDpT10_ENKUlT_T0_E_clISt17integral_constantIbLb0EES16_EEDaS11_S12_EUlS11_E_NS1_11comp_targetILNS1_3genE8ELNS1_11target_archE1030ELNS1_3gpuE2ELNS1_3repE0EEENS1_30default_config_static_selectorELNS0_4arch9wavefront6targetE0EEEvT1_
		.amdhsa_group_segment_fixed_size 0
		.amdhsa_private_segment_fixed_size 0
		.amdhsa_kernarg_size 120
		.amdhsa_user_sgpr_count 15
		.amdhsa_user_sgpr_dispatch_ptr 0
		.amdhsa_user_sgpr_queue_ptr 0
		.amdhsa_user_sgpr_kernarg_segment_ptr 1
		.amdhsa_user_sgpr_dispatch_id 0
		.amdhsa_user_sgpr_private_segment_size 0
		.amdhsa_wavefront_size32 1
		.amdhsa_uses_dynamic_stack 0
		.amdhsa_enable_private_segment 0
		.amdhsa_system_sgpr_workgroup_id_x 1
		.amdhsa_system_sgpr_workgroup_id_y 0
		.amdhsa_system_sgpr_workgroup_id_z 0
		.amdhsa_system_sgpr_workgroup_info 0
		.amdhsa_system_vgpr_workitem_id 0
		.amdhsa_next_free_vgpr 1
		.amdhsa_next_free_sgpr 1
		.amdhsa_reserve_vcc 0
		.amdhsa_float_round_mode_32 0
		.amdhsa_float_round_mode_16_64 0
		.amdhsa_float_denorm_mode_32 3
		.amdhsa_float_denorm_mode_16_64 3
		.amdhsa_dx10_clamp 1
		.amdhsa_ieee_mode 1
		.amdhsa_fp16_overflow 0
		.amdhsa_workgroup_processor_mode 1
		.amdhsa_memory_ordered 1
		.amdhsa_forward_progress 0
		.amdhsa_shared_vgpr_count 0
		.amdhsa_exception_fp_ieee_invalid_op 0
		.amdhsa_exception_fp_denorm_src 0
		.amdhsa_exception_fp_ieee_div_zero 0
		.amdhsa_exception_fp_ieee_overflow 0
		.amdhsa_exception_fp_ieee_underflow 0
		.amdhsa_exception_fp_ieee_inexact 0
		.amdhsa_exception_int_div_zero 0
	.end_amdhsa_kernel
	.section	.text._ZN7rocprim17ROCPRIM_400000_NS6detail17trampoline_kernelINS0_14default_configENS1_25partition_config_selectorILNS1_17partition_subalgoE5ElNS0_10empty_typeEbEEZZNS1_14partition_implILS5_5ELb0ES3_mN6hipcub16HIPCUB_304000_NS21CountingInputIteratorIllEEPS6_NSA_22TransformInputIteratorIb7NonZeroIfEPflEENS0_5tupleIJPlS6_EEENSJ_IJSD_SD_EEES6_SK_JS6_EEE10hipError_tPvRmT3_T4_T5_T6_T7_T9_mT8_P12ihipStream_tbDpT10_ENKUlT_T0_E_clISt17integral_constantIbLb0EES16_EEDaS11_S12_EUlS11_E_NS1_11comp_targetILNS1_3genE8ELNS1_11target_archE1030ELNS1_3gpuE2ELNS1_3repE0EEENS1_30default_config_static_selectorELNS0_4arch9wavefront6targetE0EEEvT1_,"axG",@progbits,_ZN7rocprim17ROCPRIM_400000_NS6detail17trampoline_kernelINS0_14default_configENS1_25partition_config_selectorILNS1_17partition_subalgoE5ElNS0_10empty_typeEbEEZZNS1_14partition_implILS5_5ELb0ES3_mN6hipcub16HIPCUB_304000_NS21CountingInputIteratorIllEEPS6_NSA_22TransformInputIteratorIb7NonZeroIfEPflEENS0_5tupleIJPlS6_EEENSJ_IJSD_SD_EEES6_SK_JS6_EEE10hipError_tPvRmT3_T4_T5_T6_T7_T9_mT8_P12ihipStream_tbDpT10_ENKUlT_T0_E_clISt17integral_constantIbLb0EES16_EEDaS11_S12_EUlS11_E_NS1_11comp_targetILNS1_3genE8ELNS1_11target_archE1030ELNS1_3gpuE2ELNS1_3repE0EEENS1_30default_config_static_selectorELNS0_4arch9wavefront6targetE0EEEvT1_,comdat
.Lfunc_end260:
	.size	_ZN7rocprim17ROCPRIM_400000_NS6detail17trampoline_kernelINS0_14default_configENS1_25partition_config_selectorILNS1_17partition_subalgoE5ElNS0_10empty_typeEbEEZZNS1_14partition_implILS5_5ELb0ES3_mN6hipcub16HIPCUB_304000_NS21CountingInputIteratorIllEEPS6_NSA_22TransformInputIteratorIb7NonZeroIfEPflEENS0_5tupleIJPlS6_EEENSJ_IJSD_SD_EEES6_SK_JS6_EEE10hipError_tPvRmT3_T4_T5_T6_T7_T9_mT8_P12ihipStream_tbDpT10_ENKUlT_T0_E_clISt17integral_constantIbLb0EES16_EEDaS11_S12_EUlS11_E_NS1_11comp_targetILNS1_3genE8ELNS1_11target_archE1030ELNS1_3gpuE2ELNS1_3repE0EEENS1_30default_config_static_selectorELNS0_4arch9wavefront6targetE0EEEvT1_, .Lfunc_end260-_ZN7rocprim17ROCPRIM_400000_NS6detail17trampoline_kernelINS0_14default_configENS1_25partition_config_selectorILNS1_17partition_subalgoE5ElNS0_10empty_typeEbEEZZNS1_14partition_implILS5_5ELb0ES3_mN6hipcub16HIPCUB_304000_NS21CountingInputIteratorIllEEPS6_NSA_22TransformInputIteratorIb7NonZeroIfEPflEENS0_5tupleIJPlS6_EEENSJ_IJSD_SD_EEES6_SK_JS6_EEE10hipError_tPvRmT3_T4_T5_T6_T7_T9_mT8_P12ihipStream_tbDpT10_ENKUlT_T0_E_clISt17integral_constantIbLb0EES16_EEDaS11_S12_EUlS11_E_NS1_11comp_targetILNS1_3genE8ELNS1_11target_archE1030ELNS1_3gpuE2ELNS1_3repE0EEENS1_30default_config_static_selectorELNS0_4arch9wavefront6targetE0EEEvT1_
                                        ; -- End function
	.section	.AMDGPU.csdata,"",@progbits
; Kernel info:
; codeLenInByte = 0
; NumSgprs: 0
; NumVgprs: 0
; ScratchSize: 0
; MemoryBound: 0
; FloatMode: 240
; IeeeMode: 1
; LDSByteSize: 0 bytes/workgroup (compile time only)
; SGPRBlocks: 0
; VGPRBlocks: 0
; NumSGPRsForWavesPerEU: 1
; NumVGPRsForWavesPerEU: 1
; Occupancy: 16
; WaveLimiterHint : 0
; COMPUTE_PGM_RSRC2:SCRATCH_EN: 0
; COMPUTE_PGM_RSRC2:USER_SGPR: 15
; COMPUTE_PGM_RSRC2:TRAP_HANDLER: 0
; COMPUTE_PGM_RSRC2:TGID_X_EN: 1
; COMPUTE_PGM_RSRC2:TGID_Y_EN: 0
; COMPUTE_PGM_RSRC2:TGID_Z_EN: 0
; COMPUTE_PGM_RSRC2:TIDIG_COMP_CNT: 0
	.section	.text._ZN7rocprim17ROCPRIM_400000_NS6detail17trampoline_kernelINS0_14default_configENS1_25partition_config_selectorILNS1_17partition_subalgoE5ElNS0_10empty_typeEbEEZZNS1_14partition_implILS5_5ELb0ES3_mN6hipcub16HIPCUB_304000_NS21CountingInputIteratorIllEEPS6_NSA_22TransformInputIteratorIb7NonZeroIfEPflEENS0_5tupleIJPlS6_EEENSJ_IJSD_SD_EEES6_SK_JS6_EEE10hipError_tPvRmT3_T4_T5_T6_T7_T9_mT8_P12ihipStream_tbDpT10_ENKUlT_T0_E_clISt17integral_constantIbLb1EES16_EEDaS11_S12_EUlS11_E_NS1_11comp_targetILNS1_3genE0ELNS1_11target_archE4294967295ELNS1_3gpuE0ELNS1_3repE0EEENS1_30default_config_static_selectorELNS0_4arch9wavefront6targetE0EEEvT1_,"axG",@progbits,_ZN7rocprim17ROCPRIM_400000_NS6detail17trampoline_kernelINS0_14default_configENS1_25partition_config_selectorILNS1_17partition_subalgoE5ElNS0_10empty_typeEbEEZZNS1_14partition_implILS5_5ELb0ES3_mN6hipcub16HIPCUB_304000_NS21CountingInputIteratorIllEEPS6_NSA_22TransformInputIteratorIb7NonZeroIfEPflEENS0_5tupleIJPlS6_EEENSJ_IJSD_SD_EEES6_SK_JS6_EEE10hipError_tPvRmT3_T4_T5_T6_T7_T9_mT8_P12ihipStream_tbDpT10_ENKUlT_T0_E_clISt17integral_constantIbLb1EES16_EEDaS11_S12_EUlS11_E_NS1_11comp_targetILNS1_3genE0ELNS1_11target_archE4294967295ELNS1_3gpuE0ELNS1_3repE0EEENS1_30default_config_static_selectorELNS0_4arch9wavefront6targetE0EEEvT1_,comdat
	.protected	_ZN7rocprim17ROCPRIM_400000_NS6detail17trampoline_kernelINS0_14default_configENS1_25partition_config_selectorILNS1_17partition_subalgoE5ElNS0_10empty_typeEbEEZZNS1_14partition_implILS5_5ELb0ES3_mN6hipcub16HIPCUB_304000_NS21CountingInputIteratorIllEEPS6_NSA_22TransformInputIteratorIb7NonZeroIfEPflEENS0_5tupleIJPlS6_EEENSJ_IJSD_SD_EEES6_SK_JS6_EEE10hipError_tPvRmT3_T4_T5_T6_T7_T9_mT8_P12ihipStream_tbDpT10_ENKUlT_T0_E_clISt17integral_constantIbLb1EES16_EEDaS11_S12_EUlS11_E_NS1_11comp_targetILNS1_3genE0ELNS1_11target_archE4294967295ELNS1_3gpuE0ELNS1_3repE0EEENS1_30default_config_static_selectorELNS0_4arch9wavefront6targetE0EEEvT1_ ; -- Begin function _ZN7rocprim17ROCPRIM_400000_NS6detail17trampoline_kernelINS0_14default_configENS1_25partition_config_selectorILNS1_17partition_subalgoE5ElNS0_10empty_typeEbEEZZNS1_14partition_implILS5_5ELb0ES3_mN6hipcub16HIPCUB_304000_NS21CountingInputIteratorIllEEPS6_NSA_22TransformInputIteratorIb7NonZeroIfEPflEENS0_5tupleIJPlS6_EEENSJ_IJSD_SD_EEES6_SK_JS6_EEE10hipError_tPvRmT3_T4_T5_T6_T7_T9_mT8_P12ihipStream_tbDpT10_ENKUlT_T0_E_clISt17integral_constantIbLb1EES16_EEDaS11_S12_EUlS11_E_NS1_11comp_targetILNS1_3genE0ELNS1_11target_archE4294967295ELNS1_3gpuE0ELNS1_3repE0EEENS1_30default_config_static_selectorELNS0_4arch9wavefront6targetE0EEEvT1_
	.globl	_ZN7rocprim17ROCPRIM_400000_NS6detail17trampoline_kernelINS0_14default_configENS1_25partition_config_selectorILNS1_17partition_subalgoE5ElNS0_10empty_typeEbEEZZNS1_14partition_implILS5_5ELb0ES3_mN6hipcub16HIPCUB_304000_NS21CountingInputIteratorIllEEPS6_NSA_22TransformInputIteratorIb7NonZeroIfEPflEENS0_5tupleIJPlS6_EEENSJ_IJSD_SD_EEES6_SK_JS6_EEE10hipError_tPvRmT3_T4_T5_T6_T7_T9_mT8_P12ihipStream_tbDpT10_ENKUlT_T0_E_clISt17integral_constantIbLb1EES16_EEDaS11_S12_EUlS11_E_NS1_11comp_targetILNS1_3genE0ELNS1_11target_archE4294967295ELNS1_3gpuE0ELNS1_3repE0EEENS1_30default_config_static_selectorELNS0_4arch9wavefront6targetE0EEEvT1_
	.p2align	8
	.type	_ZN7rocprim17ROCPRIM_400000_NS6detail17trampoline_kernelINS0_14default_configENS1_25partition_config_selectorILNS1_17partition_subalgoE5ElNS0_10empty_typeEbEEZZNS1_14partition_implILS5_5ELb0ES3_mN6hipcub16HIPCUB_304000_NS21CountingInputIteratorIllEEPS6_NSA_22TransformInputIteratorIb7NonZeroIfEPflEENS0_5tupleIJPlS6_EEENSJ_IJSD_SD_EEES6_SK_JS6_EEE10hipError_tPvRmT3_T4_T5_T6_T7_T9_mT8_P12ihipStream_tbDpT10_ENKUlT_T0_E_clISt17integral_constantIbLb1EES16_EEDaS11_S12_EUlS11_E_NS1_11comp_targetILNS1_3genE0ELNS1_11target_archE4294967295ELNS1_3gpuE0ELNS1_3repE0EEENS1_30default_config_static_selectorELNS0_4arch9wavefront6targetE0EEEvT1_,@function
_ZN7rocprim17ROCPRIM_400000_NS6detail17trampoline_kernelINS0_14default_configENS1_25partition_config_selectorILNS1_17partition_subalgoE5ElNS0_10empty_typeEbEEZZNS1_14partition_implILS5_5ELb0ES3_mN6hipcub16HIPCUB_304000_NS21CountingInputIteratorIllEEPS6_NSA_22TransformInputIteratorIb7NonZeroIfEPflEENS0_5tupleIJPlS6_EEENSJ_IJSD_SD_EEES6_SK_JS6_EEE10hipError_tPvRmT3_T4_T5_T6_T7_T9_mT8_P12ihipStream_tbDpT10_ENKUlT_T0_E_clISt17integral_constantIbLb1EES16_EEDaS11_S12_EUlS11_E_NS1_11comp_targetILNS1_3genE0ELNS1_11target_archE4294967295ELNS1_3gpuE0ELNS1_3repE0EEENS1_30default_config_static_selectorELNS0_4arch9wavefront6targetE0EEEvT1_: ; @_ZN7rocprim17ROCPRIM_400000_NS6detail17trampoline_kernelINS0_14default_configENS1_25partition_config_selectorILNS1_17partition_subalgoE5ElNS0_10empty_typeEbEEZZNS1_14partition_implILS5_5ELb0ES3_mN6hipcub16HIPCUB_304000_NS21CountingInputIteratorIllEEPS6_NSA_22TransformInputIteratorIb7NonZeroIfEPflEENS0_5tupleIJPlS6_EEENSJ_IJSD_SD_EEES6_SK_JS6_EEE10hipError_tPvRmT3_T4_T5_T6_T7_T9_mT8_P12ihipStream_tbDpT10_ENKUlT_T0_E_clISt17integral_constantIbLb1EES16_EEDaS11_S12_EUlS11_E_NS1_11comp_targetILNS1_3genE0ELNS1_11target_archE4294967295ELNS1_3gpuE0ELNS1_3repE0EEENS1_30default_config_static_selectorELNS0_4arch9wavefront6targetE0EEEvT1_
; %bb.0:
	.section	.rodata,"a",@progbits
	.p2align	6, 0x0
	.amdhsa_kernel _ZN7rocprim17ROCPRIM_400000_NS6detail17trampoline_kernelINS0_14default_configENS1_25partition_config_selectorILNS1_17partition_subalgoE5ElNS0_10empty_typeEbEEZZNS1_14partition_implILS5_5ELb0ES3_mN6hipcub16HIPCUB_304000_NS21CountingInputIteratorIllEEPS6_NSA_22TransformInputIteratorIb7NonZeroIfEPflEENS0_5tupleIJPlS6_EEENSJ_IJSD_SD_EEES6_SK_JS6_EEE10hipError_tPvRmT3_T4_T5_T6_T7_T9_mT8_P12ihipStream_tbDpT10_ENKUlT_T0_E_clISt17integral_constantIbLb1EES16_EEDaS11_S12_EUlS11_E_NS1_11comp_targetILNS1_3genE0ELNS1_11target_archE4294967295ELNS1_3gpuE0ELNS1_3repE0EEENS1_30default_config_static_selectorELNS0_4arch9wavefront6targetE0EEEvT1_
		.amdhsa_group_segment_fixed_size 0
		.amdhsa_private_segment_fixed_size 0
		.amdhsa_kernarg_size 136
		.amdhsa_user_sgpr_count 15
		.amdhsa_user_sgpr_dispatch_ptr 0
		.amdhsa_user_sgpr_queue_ptr 0
		.amdhsa_user_sgpr_kernarg_segment_ptr 1
		.amdhsa_user_sgpr_dispatch_id 0
		.amdhsa_user_sgpr_private_segment_size 0
		.amdhsa_wavefront_size32 1
		.amdhsa_uses_dynamic_stack 0
		.amdhsa_enable_private_segment 0
		.amdhsa_system_sgpr_workgroup_id_x 1
		.amdhsa_system_sgpr_workgroup_id_y 0
		.amdhsa_system_sgpr_workgroup_id_z 0
		.amdhsa_system_sgpr_workgroup_info 0
		.amdhsa_system_vgpr_workitem_id 0
		.amdhsa_next_free_vgpr 1
		.amdhsa_next_free_sgpr 1
		.amdhsa_reserve_vcc 0
		.amdhsa_float_round_mode_32 0
		.amdhsa_float_round_mode_16_64 0
		.amdhsa_float_denorm_mode_32 3
		.amdhsa_float_denorm_mode_16_64 3
		.amdhsa_dx10_clamp 1
		.amdhsa_ieee_mode 1
		.amdhsa_fp16_overflow 0
		.amdhsa_workgroup_processor_mode 1
		.amdhsa_memory_ordered 1
		.amdhsa_forward_progress 0
		.amdhsa_shared_vgpr_count 0
		.amdhsa_exception_fp_ieee_invalid_op 0
		.amdhsa_exception_fp_denorm_src 0
		.amdhsa_exception_fp_ieee_div_zero 0
		.amdhsa_exception_fp_ieee_overflow 0
		.amdhsa_exception_fp_ieee_underflow 0
		.amdhsa_exception_fp_ieee_inexact 0
		.amdhsa_exception_int_div_zero 0
	.end_amdhsa_kernel
	.section	.text._ZN7rocprim17ROCPRIM_400000_NS6detail17trampoline_kernelINS0_14default_configENS1_25partition_config_selectorILNS1_17partition_subalgoE5ElNS0_10empty_typeEbEEZZNS1_14partition_implILS5_5ELb0ES3_mN6hipcub16HIPCUB_304000_NS21CountingInputIteratorIllEEPS6_NSA_22TransformInputIteratorIb7NonZeroIfEPflEENS0_5tupleIJPlS6_EEENSJ_IJSD_SD_EEES6_SK_JS6_EEE10hipError_tPvRmT3_T4_T5_T6_T7_T9_mT8_P12ihipStream_tbDpT10_ENKUlT_T0_E_clISt17integral_constantIbLb1EES16_EEDaS11_S12_EUlS11_E_NS1_11comp_targetILNS1_3genE0ELNS1_11target_archE4294967295ELNS1_3gpuE0ELNS1_3repE0EEENS1_30default_config_static_selectorELNS0_4arch9wavefront6targetE0EEEvT1_,"axG",@progbits,_ZN7rocprim17ROCPRIM_400000_NS6detail17trampoline_kernelINS0_14default_configENS1_25partition_config_selectorILNS1_17partition_subalgoE5ElNS0_10empty_typeEbEEZZNS1_14partition_implILS5_5ELb0ES3_mN6hipcub16HIPCUB_304000_NS21CountingInputIteratorIllEEPS6_NSA_22TransformInputIteratorIb7NonZeroIfEPflEENS0_5tupleIJPlS6_EEENSJ_IJSD_SD_EEES6_SK_JS6_EEE10hipError_tPvRmT3_T4_T5_T6_T7_T9_mT8_P12ihipStream_tbDpT10_ENKUlT_T0_E_clISt17integral_constantIbLb1EES16_EEDaS11_S12_EUlS11_E_NS1_11comp_targetILNS1_3genE0ELNS1_11target_archE4294967295ELNS1_3gpuE0ELNS1_3repE0EEENS1_30default_config_static_selectorELNS0_4arch9wavefront6targetE0EEEvT1_,comdat
.Lfunc_end261:
	.size	_ZN7rocprim17ROCPRIM_400000_NS6detail17trampoline_kernelINS0_14default_configENS1_25partition_config_selectorILNS1_17partition_subalgoE5ElNS0_10empty_typeEbEEZZNS1_14partition_implILS5_5ELb0ES3_mN6hipcub16HIPCUB_304000_NS21CountingInputIteratorIllEEPS6_NSA_22TransformInputIteratorIb7NonZeroIfEPflEENS0_5tupleIJPlS6_EEENSJ_IJSD_SD_EEES6_SK_JS6_EEE10hipError_tPvRmT3_T4_T5_T6_T7_T9_mT8_P12ihipStream_tbDpT10_ENKUlT_T0_E_clISt17integral_constantIbLb1EES16_EEDaS11_S12_EUlS11_E_NS1_11comp_targetILNS1_3genE0ELNS1_11target_archE4294967295ELNS1_3gpuE0ELNS1_3repE0EEENS1_30default_config_static_selectorELNS0_4arch9wavefront6targetE0EEEvT1_, .Lfunc_end261-_ZN7rocprim17ROCPRIM_400000_NS6detail17trampoline_kernelINS0_14default_configENS1_25partition_config_selectorILNS1_17partition_subalgoE5ElNS0_10empty_typeEbEEZZNS1_14partition_implILS5_5ELb0ES3_mN6hipcub16HIPCUB_304000_NS21CountingInputIteratorIllEEPS6_NSA_22TransformInputIteratorIb7NonZeroIfEPflEENS0_5tupleIJPlS6_EEENSJ_IJSD_SD_EEES6_SK_JS6_EEE10hipError_tPvRmT3_T4_T5_T6_T7_T9_mT8_P12ihipStream_tbDpT10_ENKUlT_T0_E_clISt17integral_constantIbLb1EES16_EEDaS11_S12_EUlS11_E_NS1_11comp_targetILNS1_3genE0ELNS1_11target_archE4294967295ELNS1_3gpuE0ELNS1_3repE0EEENS1_30default_config_static_selectorELNS0_4arch9wavefront6targetE0EEEvT1_
                                        ; -- End function
	.section	.AMDGPU.csdata,"",@progbits
; Kernel info:
; codeLenInByte = 0
; NumSgprs: 0
; NumVgprs: 0
; ScratchSize: 0
; MemoryBound: 0
; FloatMode: 240
; IeeeMode: 1
; LDSByteSize: 0 bytes/workgroup (compile time only)
; SGPRBlocks: 0
; VGPRBlocks: 0
; NumSGPRsForWavesPerEU: 1
; NumVGPRsForWavesPerEU: 1
; Occupancy: 16
; WaveLimiterHint : 0
; COMPUTE_PGM_RSRC2:SCRATCH_EN: 0
; COMPUTE_PGM_RSRC2:USER_SGPR: 15
; COMPUTE_PGM_RSRC2:TRAP_HANDLER: 0
; COMPUTE_PGM_RSRC2:TGID_X_EN: 1
; COMPUTE_PGM_RSRC2:TGID_Y_EN: 0
; COMPUTE_PGM_RSRC2:TGID_Z_EN: 0
; COMPUTE_PGM_RSRC2:TIDIG_COMP_CNT: 0
	.section	.text._ZN7rocprim17ROCPRIM_400000_NS6detail17trampoline_kernelINS0_14default_configENS1_25partition_config_selectorILNS1_17partition_subalgoE5ElNS0_10empty_typeEbEEZZNS1_14partition_implILS5_5ELb0ES3_mN6hipcub16HIPCUB_304000_NS21CountingInputIteratorIllEEPS6_NSA_22TransformInputIteratorIb7NonZeroIfEPflEENS0_5tupleIJPlS6_EEENSJ_IJSD_SD_EEES6_SK_JS6_EEE10hipError_tPvRmT3_T4_T5_T6_T7_T9_mT8_P12ihipStream_tbDpT10_ENKUlT_T0_E_clISt17integral_constantIbLb1EES16_EEDaS11_S12_EUlS11_E_NS1_11comp_targetILNS1_3genE5ELNS1_11target_archE942ELNS1_3gpuE9ELNS1_3repE0EEENS1_30default_config_static_selectorELNS0_4arch9wavefront6targetE0EEEvT1_,"axG",@progbits,_ZN7rocprim17ROCPRIM_400000_NS6detail17trampoline_kernelINS0_14default_configENS1_25partition_config_selectorILNS1_17partition_subalgoE5ElNS0_10empty_typeEbEEZZNS1_14partition_implILS5_5ELb0ES3_mN6hipcub16HIPCUB_304000_NS21CountingInputIteratorIllEEPS6_NSA_22TransformInputIteratorIb7NonZeroIfEPflEENS0_5tupleIJPlS6_EEENSJ_IJSD_SD_EEES6_SK_JS6_EEE10hipError_tPvRmT3_T4_T5_T6_T7_T9_mT8_P12ihipStream_tbDpT10_ENKUlT_T0_E_clISt17integral_constantIbLb1EES16_EEDaS11_S12_EUlS11_E_NS1_11comp_targetILNS1_3genE5ELNS1_11target_archE942ELNS1_3gpuE9ELNS1_3repE0EEENS1_30default_config_static_selectorELNS0_4arch9wavefront6targetE0EEEvT1_,comdat
	.protected	_ZN7rocprim17ROCPRIM_400000_NS6detail17trampoline_kernelINS0_14default_configENS1_25partition_config_selectorILNS1_17partition_subalgoE5ElNS0_10empty_typeEbEEZZNS1_14partition_implILS5_5ELb0ES3_mN6hipcub16HIPCUB_304000_NS21CountingInputIteratorIllEEPS6_NSA_22TransformInputIteratorIb7NonZeroIfEPflEENS0_5tupleIJPlS6_EEENSJ_IJSD_SD_EEES6_SK_JS6_EEE10hipError_tPvRmT3_T4_T5_T6_T7_T9_mT8_P12ihipStream_tbDpT10_ENKUlT_T0_E_clISt17integral_constantIbLb1EES16_EEDaS11_S12_EUlS11_E_NS1_11comp_targetILNS1_3genE5ELNS1_11target_archE942ELNS1_3gpuE9ELNS1_3repE0EEENS1_30default_config_static_selectorELNS0_4arch9wavefront6targetE0EEEvT1_ ; -- Begin function _ZN7rocprim17ROCPRIM_400000_NS6detail17trampoline_kernelINS0_14default_configENS1_25partition_config_selectorILNS1_17partition_subalgoE5ElNS0_10empty_typeEbEEZZNS1_14partition_implILS5_5ELb0ES3_mN6hipcub16HIPCUB_304000_NS21CountingInputIteratorIllEEPS6_NSA_22TransformInputIteratorIb7NonZeroIfEPflEENS0_5tupleIJPlS6_EEENSJ_IJSD_SD_EEES6_SK_JS6_EEE10hipError_tPvRmT3_T4_T5_T6_T7_T9_mT8_P12ihipStream_tbDpT10_ENKUlT_T0_E_clISt17integral_constantIbLb1EES16_EEDaS11_S12_EUlS11_E_NS1_11comp_targetILNS1_3genE5ELNS1_11target_archE942ELNS1_3gpuE9ELNS1_3repE0EEENS1_30default_config_static_selectorELNS0_4arch9wavefront6targetE0EEEvT1_
	.globl	_ZN7rocprim17ROCPRIM_400000_NS6detail17trampoline_kernelINS0_14default_configENS1_25partition_config_selectorILNS1_17partition_subalgoE5ElNS0_10empty_typeEbEEZZNS1_14partition_implILS5_5ELb0ES3_mN6hipcub16HIPCUB_304000_NS21CountingInputIteratorIllEEPS6_NSA_22TransformInputIteratorIb7NonZeroIfEPflEENS0_5tupleIJPlS6_EEENSJ_IJSD_SD_EEES6_SK_JS6_EEE10hipError_tPvRmT3_T4_T5_T6_T7_T9_mT8_P12ihipStream_tbDpT10_ENKUlT_T0_E_clISt17integral_constantIbLb1EES16_EEDaS11_S12_EUlS11_E_NS1_11comp_targetILNS1_3genE5ELNS1_11target_archE942ELNS1_3gpuE9ELNS1_3repE0EEENS1_30default_config_static_selectorELNS0_4arch9wavefront6targetE0EEEvT1_
	.p2align	8
	.type	_ZN7rocprim17ROCPRIM_400000_NS6detail17trampoline_kernelINS0_14default_configENS1_25partition_config_selectorILNS1_17partition_subalgoE5ElNS0_10empty_typeEbEEZZNS1_14partition_implILS5_5ELb0ES3_mN6hipcub16HIPCUB_304000_NS21CountingInputIteratorIllEEPS6_NSA_22TransformInputIteratorIb7NonZeroIfEPflEENS0_5tupleIJPlS6_EEENSJ_IJSD_SD_EEES6_SK_JS6_EEE10hipError_tPvRmT3_T4_T5_T6_T7_T9_mT8_P12ihipStream_tbDpT10_ENKUlT_T0_E_clISt17integral_constantIbLb1EES16_EEDaS11_S12_EUlS11_E_NS1_11comp_targetILNS1_3genE5ELNS1_11target_archE942ELNS1_3gpuE9ELNS1_3repE0EEENS1_30default_config_static_selectorELNS0_4arch9wavefront6targetE0EEEvT1_,@function
_ZN7rocprim17ROCPRIM_400000_NS6detail17trampoline_kernelINS0_14default_configENS1_25partition_config_selectorILNS1_17partition_subalgoE5ElNS0_10empty_typeEbEEZZNS1_14partition_implILS5_5ELb0ES3_mN6hipcub16HIPCUB_304000_NS21CountingInputIteratorIllEEPS6_NSA_22TransformInputIteratorIb7NonZeroIfEPflEENS0_5tupleIJPlS6_EEENSJ_IJSD_SD_EEES6_SK_JS6_EEE10hipError_tPvRmT3_T4_T5_T6_T7_T9_mT8_P12ihipStream_tbDpT10_ENKUlT_T0_E_clISt17integral_constantIbLb1EES16_EEDaS11_S12_EUlS11_E_NS1_11comp_targetILNS1_3genE5ELNS1_11target_archE942ELNS1_3gpuE9ELNS1_3repE0EEENS1_30default_config_static_selectorELNS0_4arch9wavefront6targetE0EEEvT1_: ; @_ZN7rocprim17ROCPRIM_400000_NS6detail17trampoline_kernelINS0_14default_configENS1_25partition_config_selectorILNS1_17partition_subalgoE5ElNS0_10empty_typeEbEEZZNS1_14partition_implILS5_5ELb0ES3_mN6hipcub16HIPCUB_304000_NS21CountingInputIteratorIllEEPS6_NSA_22TransformInputIteratorIb7NonZeroIfEPflEENS0_5tupleIJPlS6_EEENSJ_IJSD_SD_EEES6_SK_JS6_EEE10hipError_tPvRmT3_T4_T5_T6_T7_T9_mT8_P12ihipStream_tbDpT10_ENKUlT_T0_E_clISt17integral_constantIbLb1EES16_EEDaS11_S12_EUlS11_E_NS1_11comp_targetILNS1_3genE5ELNS1_11target_archE942ELNS1_3gpuE9ELNS1_3repE0EEENS1_30default_config_static_selectorELNS0_4arch9wavefront6targetE0EEEvT1_
; %bb.0:
	.section	.rodata,"a",@progbits
	.p2align	6, 0x0
	.amdhsa_kernel _ZN7rocprim17ROCPRIM_400000_NS6detail17trampoline_kernelINS0_14default_configENS1_25partition_config_selectorILNS1_17partition_subalgoE5ElNS0_10empty_typeEbEEZZNS1_14partition_implILS5_5ELb0ES3_mN6hipcub16HIPCUB_304000_NS21CountingInputIteratorIllEEPS6_NSA_22TransformInputIteratorIb7NonZeroIfEPflEENS0_5tupleIJPlS6_EEENSJ_IJSD_SD_EEES6_SK_JS6_EEE10hipError_tPvRmT3_T4_T5_T6_T7_T9_mT8_P12ihipStream_tbDpT10_ENKUlT_T0_E_clISt17integral_constantIbLb1EES16_EEDaS11_S12_EUlS11_E_NS1_11comp_targetILNS1_3genE5ELNS1_11target_archE942ELNS1_3gpuE9ELNS1_3repE0EEENS1_30default_config_static_selectorELNS0_4arch9wavefront6targetE0EEEvT1_
		.amdhsa_group_segment_fixed_size 0
		.amdhsa_private_segment_fixed_size 0
		.amdhsa_kernarg_size 136
		.amdhsa_user_sgpr_count 15
		.amdhsa_user_sgpr_dispatch_ptr 0
		.amdhsa_user_sgpr_queue_ptr 0
		.amdhsa_user_sgpr_kernarg_segment_ptr 1
		.amdhsa_user_sgpr_dispatch_id 0
		.amdhsa_user_sgpr_private_segment_size 0
		.amdhsa_wavefront_size32 1
		.amdhsa_uses_dynamic_stack 0
		.amdhsa_enable_private_segment 0
		.amdhsa_system_sgpr_workgroup_id_x 1
		.amdhsa_system_sgpr_workgroup_id_y 0
		.amdhsa_system_sgpr_workgroup_id_z 0
		.amdhsa_system_sgpr_workgroup_info 0
		.amdhsa_system_vgpr_workitem_id 0
		.amdhsa_next_free_vgpr 1
		.amdhsa_next_free_sgpr 1
		.amdhsa_reserve_vcc 0
		.amdhsa_float_round_mode_32 0
		.amdhsa_float_round_mode_16_64 0
		.amdhsa_float_denorm_mode_32 3
		.amdhsa_float_denorm_mode_16_64 3
		.amdhsa_dx10_clamp 1
		.amdhsa_ieee_mode 1
		.amdhsa_fp16_overflow 0
		.amdhsa_workgroup_processor_mode 1
		.amdhsa_memory_ordered 1
		.amdhsa_forward_progress 0
		.amdhsa_shared_vgpr_count 0
		.amdhsa_exception_fp_ieee_invalid_op 0
		.amdhsa_exception_fp_denorm_src 0
		.amdhsa_exception_fp_ieee_div_zero 0
		.amdhsa_exception_fp_ieee_overflow 0
		.amdhsa_exception_fp_ieee_underflow 0
		.amdhsa_exception_fp_ieee_inexact 0
		.amdhsa_exception_int_div_zero 0
	.end_amdhsa_kernel
	.section	.text._ZN7rocprim17ROCPRIM_400000_NS6detail17trampoline_kernelINS0_14default_configENS1_25partition_config_selectorILNS1_17partition_subalgoE5ElNS0_10empty_typeEbEEZZNS1_14partition_implILS5_5ELb0ES3_mN6hipcub16HIPCUB_304000_NS21CountingInputIteratorIllEEPS6_NSA_22TransformInputIteratorIb7NonZeroIfEPflEENS0_5tupleIJPlS6_EEENSJ_IJSD_SD_EEES6_SK_JS6_EEE10hipError_tPvRmT3_T4_T5_T6_T7_T9_mT8_P12ihipStream_tbDpT10_ENKUlT_T0_E_clISt17integral_constantIbLb1EES16_EEDaS11_S12_EUlS11_E_NS1_11comp_targetILNS1_3genE5ELNS1_11target_archE942ELNS1_3gpuE9ELNS1_3repE0EEENS1_30default_config_static_selectorELNS0_4arch9wavefront6targetE0EEEvT1_,"axG",@progbits,_ZN7rocprim17ROCPRIM_400000_NS6detail17trampoline_kernelINS0_14default_configENS1_25partition_config_selectorILNS1_17partition_subalgoE5ElNS0_10empty_typeEbEEZZNS1_14partition_implILS5_5ELb0ES3_mN6hipcub16HIPCUB_304000_NS21CountingInputIteratorIllEEPS6_NSA_22TransformInputIteratorIb7NonZeroIfEPflEENS0_5tupleIJPlS6_EEENSJ_IJSD_SD_EEES6_SK_JS6_EEE10hipError_tPvRmT3_T4_T5_T6_T7_T9_mT8_P12ihipStream_tbDpT10_ENKUlT_T0_E_clISt17integral_constantIbLb1EES16_EEDaS11_S12_EUlS11_E_NS1_11comp_targetILNS1_3genE5ELNS1_11target_archE942ELNS1_3gpuE9ELNS1_3repE0EEENS1_30default_config_static_selectorELNS0_4arch9wavefront6targetE0EEEvT1_,comdat
.Lfunc_end262:
	.size	_ZN7rocprim17ROCPRIM_400000_NS6detail17trampoline_kernelINS0_14default_configENS1_25partition_config_selectorILNS1_17partition_subalgoE5ElNS0_10empty_typeEbEEZZNS1_14partition_implILS5_5ELb0ES3_mN6hipcub16HIPCUB_304000_NS21CountingInputIteratorIllEEPS6_NSA_22TransformInputIteratorIb7NonZeroIfEPflEENS0_5tupleIJPlS6_EEENSJ_IJSD_SD_EEES6_SK_JS6_EEE10hipError_tPvRmT3_T4_T5_T6_T7_T9_mT8_P12ihipStream_tbDpT10_ENKUlT_T0_E_clISt17integral_constantIbLb1EES16_EEDaS11_S12_EUlS11_E_NS1_11comp_targetILNS1_3genE5ELNS1_11target_archE942ELNS1_3gpuE9ELNS1_3repE0EEENS1_30default_config_static_selectorELNS0_4arch9wavefront6targetE0EEEvT1_, .Lfunc_end262-_ZN7rocprim17ROCPRIM_400000_NS6detail17trampoline_kernelINS0_14default_configENS1_25partition_config_selectorILNS1_17partition_subalgoE5ElNS0_10empty_typeEbEEZZNS1_14partition_implILS5_5ELb0ES3_mN6hipcub16HIPCUB_304000_NS21CountingInputIteratorIllEEPS6_NSA_22TransformInputIteratorIb7NonZeroIfEPflEENS0_5tupleIJPlS6_EEENSJ_IJSD_SD_EEES6_SK_JS6_EEE10hipError_tPvRmT3_T4_T5_T6_T7_T9_mT8_P12ihipStream_tbDpT10_ENKUlT_T0_E_clISt17integral_constantIbLb1EES16_EEDaS11_S12_EUlS11_E_NS1_11comp_targetILNS1_3genE5ELNS1_11target_archE942ELNS1_3gpuE9ELNS1_3repE0EEENS1_30default_config_static_selectorELNS0_4arch9wavefront6targetE0EEEvT1_
                                        ; -- End function
	.section	.AMDGPU.csdata,"",@progbits
; Kernel info:
; codeLenInByte = 0
; NumSgprs: 0
; NumVgprs: 0
; ScratchSize: 0
; MemoryBound: 0
; FloatMode: 240
; IeeeMode: 1
; LDSByteSize: 0 bytes/workgroup (compile time only)
; SGPRBlocks: 0
; VGPRBlocks: 0
; NumSGPRsForWavesPerEU: 1
; NumVGPRsForWavesPerEU: 1
; Occupancy: 16
; WaveLimiterHint : 0
; COMPUTE_PGM_RSRC2:SCRATCH_EN: 0
; COMPUTE_PGM_RSRC2:USER_SGPR: 15
; COMPUTE_PGM_RSRC2:TRAP_HANDLER: 0
; COMPUTE_PGM_RSRC2:TGID_X_EN: 1
; COMPUTE_PGM_RSRC2:TGID_Y_EN: 0
; COMPUTE_PGM_RSRC2:TGID_Z_EN: 0
; COMPUTE_PGM_RSRC2:TIDIG_COMP_CNT: 0
	.section	.text._ZN7rocprim17ROCPRIM_400000_NS6detail17trampoline_kernelINS0_14default_configENS1_25partition_config_selectorILNS1_17partition_subalgoE5ElNS0_10empty_typeEbEEZZNS1_14partition_implILS5_5ELb0ES3_mN6hipcub16HIPCUB_304000_NS21CountingInputIteratorIllEEPS6_NSA_22TransformInputIteratorIb7NonZeroIfEPflEENS0_5tupleIJPlS6_EEENSJ_IJSD_SD_EEES6_SK_JS6_EEE10hipError_tPvRmT3_T4_T5_T6_T7_T9_mT8_P12ihipStream_tbDpT10_ENKUlT_T0_E_clISt17integral_constantIbLb1EES16_EEDaS11_S12_EUlS11_E_NS1_11comp_targetILNS1_3genE4ELNS1_11target_archE910ELNS1_3gpuE8ELNS1_3repE0EEENS1_30default_config_static_selectorELNS0_4arch9wavefront6targetE0EEEvT1_,"axG",@progbits,_ZN7rocprim17ROCPRIM_400000_NS6detail17trampoline_kernelINS0_14default_configENS1_25partition_config_selectorILNS1_17partition_subalgoE5ElNS0_10empty_typeEbEEZZNS1_14partition_implILS5_5ELb0ES3_mN6hipcub16HIPCUB_304000_NS21CountingInputIteratorIllEEPS6_NSA_22TransformInputIteratorIb7NonZeroIfEPflEENS0_5tupleIJPlS6_EEENSJ_IJSD_SD_EEES6_SK_JS6_EEE10hipError_tPvRmT3_T4_T5_T6_T7_T9_mT8_P12ihipStream_tbDpT10_ENKUlT_T0_E_clISt17integral_constantIbLb1EES16_EEDaS11_S12_EUlS11_E_NS1_11comp_targetILNS1_3genE4ELNS1_11target_archE910ELNS1_3gpuE8ELNS1_3repE0EEENS1_30default_config_static_selectorELNS0_4arch9wavefront6targetE0EEEvT1_,comdat
	.protected	_ZN7rocprim17ROCPRIM_400000_NS6detail17trampoline_kernelINS0_14default_configENS1_25partition_config_selectorILNS1_17partition_subalgoE5ElNS0_10empty_typeEbEEZZNS1_14partition_implILS5_5ELb0ES3_mN6hipcub16HIPCUB_304000_NS21CountingInputIteratorIllEEPS6_NSA_22TransformInputIteratorIb7NonZeroIfEPflEENS0_5tupleIJPlS6_EEENSJ_IJSD_SD_EEES6_SK_JS6_EEE10hipError_tPvRmT3_T4_T5_T6_T7_T9_mT8_P12ihipStream_tbDpT10_ENKUlT_T0_E_clISt17integral_constantIbLb1EES16_EEDaS11_S12_EUlS11_E_NS1_11comp_targetILNS1_3genE4ELNS1_11target_archE910ELNS1_3gpuE8ELNS1_3repE0EEENS1_30default_config_static_selectorELNS0_4arch9wavefront6targetE0EEEvT1_ ; -- Begin function _ZN7rocprim17ROCPRIM_400000_NS6detail17trampoline_kernelINS0_14default_configENS1_25partition_config_selectorILNS1_17partition_subalgoE5ElNS0_10empty_typeEbEEZZNS1_14partition_implILS5_5ELb0ES3_mN6hipcub16HIPCUB_304000_NS21CountingInputIteratorIllEEPS6_NSA_22TransformInputIteratorIb7NonZeroIfEPflEENS0_5tupleIJPlS6_EEENSJ_IJSD_SD_EEES6_SK_JS6_EEE10hipError_tPvRmT3_T4_T5_T6_T7_T9_mT8_P12ihipStream_tbDpT10_ENKUlT_T0_E_clISt17integral_constantIbLb1EES16_EEDaS11_S12_EUlS11_E_NS1_11comp_targetILNS1_3genE4ELNS1_11target_archE910ELNS1_3gpuE8ELNS1_3repE0EEENS1_30default_config_static_selectorELNS0_4arch9wavefront6targetE0EEEvT1_
	.globl	_ZN7rocprim17ROCPRIM_400000_NS6detail17trampoline_kernelINS0_14default_configENS1_25partition_config_selectorILNS1_17partition_subalgoE5ElNS0_10empty_typeEbEEZZNS1_14partition_implILS5_5ELb0ES3_mN6hipcub16HIPCUB_304000_NS21CountingInputIteratorIllEEPS6_NSA_22TransformInputIteratorIb7NonZeroIfEPflEENS0_5tupleIJPlS6_EEENSJ_IJSD_SD_EEES6_SK_JS6_EEE10hipError_tPvRmT3_T4_T5_T6_T7_T9_mT8_P12ihipStream_tbDpT10_ENKUlT_T0_E_clISt17integral_constantIbLb1EES16_EEDaS11_S12_EUlS11_E_NS1_11comp_targetILNS1_3genE4ELNS1_11target_archE910ELNS1_3gpuE8ELNS1_3repE0EEENS1_30default_config_static_selectorELNS0_4arch9wavefront6targetE0EEEvT1_
	.p2align	8
	.type	_ZN7rocprim17ROCPRIM_400000_NS6detail17trampoline_kernelINS0_14default_configENS1_25partition_config_selectorILNS1_17partition_subalgoE5ElNS0_10empty_typeEbEEZZNS1_14partition_implILS5_5ELb0ES3_mN6hipcub16HIPCUB_304000_NS21CountingInputIteratorIllEEPS6_NSA_22TransformInputIteratorIb7NonZeroIfEPflEENS0_5tupleIJPlS6_EEENSJ_IJSD_SD_EEES6_SK_JS6_EEE10hipError_tPvRmT3_T4_T5_T6_T7_T9_mT8_P12ihipStream_tbDpT10_ENKUlT_T0_E_clISt17integral_constantIbLb1EES16_EEDaS11_S12_EUlS11_E_NS1_11comp_targetILNS1_3genE4ELNS1_11target_archE910ELNS1_3gpuE8ELNS1_3repE0EEENS1_30default_config_static_selectorELNS0_4arch9wavefront6targetE0EEEvT1_,@function
_ZN7rocprim17ROCPRIM_400000_NS6detail17trampoline_kernelINS0_14default_configENS1_25partition_config_selectorILNS1_17partition_subalgoE5ElNS0_10empty_typeEbEEZZNS1_14partition_implILS5_5ELb0ES3_mN6hipcub16HIPCUB_304000_NS21CountingInputIteratorIllEEPS6_NSA_22TransformInputIteratorIb7NonZeroIfEPflEENS0_5tupleIJPlS6_EEENSJ_IJSD_SD_EEES6_SK_JS6_EEE10hipError_tPvRmT3_T4_T5_T6_T7_T9_mT8_P12ihipStream_tbDpT10_ENKUlT_T0_E_clISt17integral_constantIbLb1EES16_EEDaS11_S12_EUlS11_E_NS1_11comp_targetILNS1_3genE4ELNS1_11target_archE910ELNS1_3gpuE8ELNS1_3repE0EEENS1_30default_config_static_selectorELNS0_4arch9wavefront6targetE0EEEvT1_: ; @_ZN7rocprim17ROCPRIM_400000_NS6detail17trampoline_kernelINS0_14default_configENS1_25partition_config_selectorILNS1_17partition_subalgoE5ElNS0_10empty_typeEbEEZZNS1_14partition_implILS5_5ELb0ES3_mN6hipcub16HIPCUB_304000_NS21CountingInputIteratorIllEEPS6_NSA_22TransformInputIteratorIb7NonZeroIfEPflEENS0_5tupleIJPlS6_EEENSJ_IJSD_SD_EEES6_SK_JS6_EEE10hipError_tPvRmT3_T4_T5_T6_T7_T9_mT8_P12ihipStream_tbDpT10_ENKUlT_T0_E_clISt17integral_constantIbLb1EES16_EEDaS11_S12_EUlS11_E_NS1_11comp_targetILNS1_3genE4ELNS1_11target_archE910ELNS1_3gpuE8ELNS1_3repE0EEENS1_30default_config_static_selectorELNS0_4arch9wavefront6targetE0EEEvT1_
; %bb.0:
	.section	.rodata,"a",@progbits
	.p2align	6, 0x0
	.amdhsa_kernel _ZN7rocprim17ROCPRIM_400000_NS6detail17trampoline_kernelINS0_14default_configENS1_25partition_config_selectorILNS1_17partition_subalgoE5ElNS0_10empty_typeEbEEZZNS1_14partition_implILS5_5ELb0ES3_mN6hipcub16HIPCUB_304000_NS21CountingInputIteratorIllEEPS6_NSA_22TransformInputIteratorIb7NonZeroIfEPflEENS0_5tupleIJPlS6_EEENSJ_IJSD_SD_EEES6_SK_JS6_EEE10hipError_tPvRmT3_T4_T5_T6_T7_T9_mT8_P12ihipStream_tbDpT10_ENKUlT_T0_E_clISt17integral_constantIbLb1EES16_EEDaS11_S12_EUlS11_E_NS1_11comp_targetILNS1_3genE4ELNS1_11target_archE910ELNS1_3gpuE8ELNS1_3repE0EEENS1_30default_config_static_selectorELNS0_4arch9wavefront6targetE0EEEvT1_
		.amdhsa_group_segment_fixed_size 0
		.amdhsa_private_segment_fixed_size 0
		.amdhsa_kernarg_size 136
		.amdhsa_user_sgpr_count 15
		.amdhsa_user_sgpr_dispatch_ptr 0
		.amdhsa_user_sgpr_queue_ptr 0
		.amdhsa_user_sgpr_kernarg_segment_ptr 1
		.amdhsa_user_sgpr_dispatch_id 0
		.amdhsa_user_sgpr_private_segment_size 0
		.amdhsa_wavefront_size32 1
		.amdhsa_uses_dynamic_stack 0
		.amdhsa_enable_private_segment 0
		.amdhsa_system_sgpr_workgroup_id_x 1
		.amdhsa_system_sgpr_workgroup_id_y 0
		.amdhsa_system_sgpr_workgroup_id_z 0
		.amdhsa_system_sgpr_workgroup_info 0
		.amdhsa_system_vgpr_workitem_id 0
		.amdhsa_next_free_vgpr 1
		.amdhsa_next_free_sgpr 1
		.amdhsa_reserve_vcc 0
		.amdhsa_float_round_mode_32 0
		.amdhsa_float_round_mode_16_64 0
		.amdhsa_float_denorm_mode_32 3
		.amdhsa_float_denorm_mode_16_64 3
		.amdhsa_dx10_clamp 1
		.amdhsa_ieee_mode 1
		.amdhsa_fp16_overflow 0
		.amdhsa_workgroup_processor_mode 1
		.amdhsa_memory_ordered 1
		.amdhsa_forward_progress 0
		.amdhsa_shared_vgpr_count 0
		.amdhsa_exception_fp_ieee_invalid_op 0
		.amdhsa_exception_fp_denorm_src 0
		.amdhsa_exception_fp_ieee_div_zero 0
		.amdhsa_exception_fp_ieee_overflow 0
		.amdhsa_exception_fp_ieee_underflow 0
		.amdhsa_exception_fp_ieee_inexact 0
		.amdhsa_exception_int_div_zero 0
	.end_amdhsa_kernel
	.section	.text._ZN7rocprim17ROCPRIM_400000_NS6detail17trampoline_kernelINS0_14default_configENS1_25partition_config_selectorILNS1_17partition_subalgoE5ElNS0_10empty_typeEbEEZZNS1_14partition_implILS5_5ELb0ES3_mN6hipcub16HIPCUB_304000_NS21CountingInputIteratorIllEEPS6_NSA_22TransformInputIteratorIb7NonZeroIfEPflEENS0_5tupleIJPlS6_EEENSJ_IJSD_SD_EEES6_SK_JS6_EEE10hipError_tPvRmT3_T4_T5_T6_T7_T9_mT8_P12ihipStream_tbDpT10_ENKUlT_T0_E_clISt17integral_constantIbLb1EES16_EEDaS11_S12_EUlS11_E_NS1_11comp_targetILNS1_3genE4ELNS1_11target_archE910ELNS1_3gpuE8ELNS1_3repE0EEENS1_30default_config_static_selectorELNS0_4arch9wavefront6targetE0EEEvT1_,"axG",@progbits,_ZN7rocprim17ROCPRIM_400000_NS6detail17trampoline_kernelINS0_14default_configENS1_25partition_config_selectorILNS1_17partition_subalgoE5ElNS0_10empty_typeEbEEZZNS1_14partition_implILS5_5ELb0ES3_mN6hipcub16HIPCUB_304000_NS21CountingInputIteratorIllEEPS6_NSA_22TransformInputIteratorIb7NonZeroIfEPflEENS0_5tupleIJPlS6_EEENSJ_IJSD_SD_EEES6_SK_JS6_EEE10hipError_tPvRmT3_T4_T5_T6_T7_T9_mT8_P12ihipStream_tbDpT10_ENKUlT_T0_E_clISt17integral_constantIbLb1EES16_EEDaS11_S12_EUlS11_E_NS1_11comp_targetILNS1_3genE4ELNS1_11target_archE910ELNS1_3gpuE8ELNS1_3repE0EEENS1_30default_config_static_selectorELNS0_4arch9wavefront6targetE0EEEvT1_,comdat
.Lfunc_end263:
	.size	_ZN7rocprim17ROCPRIM_400000_NS6detail17trampoline_kernelINS0_14default_configENS1_25partition_config_selectorILNS1_17partition_subalgoE5ElNS0_10empty_typeEbEEZZNS1_14partition_implILS5_5ELb0ES3_mN6hipcub16HIPCUB_304000_NS21CountingInputIteratorIllEEPS6_NSA_22TransformInputIteratorIb7NonZeroIfEPflEENS0_5tupleIJPlS6_EEENSJ_IJSD_SD_EEES6_SK_JS6_EEE10hipError_tPvRmT3_T4_T5_T6_T7_T9_mT8_P12ihipStream_tbDpT10_ENKUlT_T0_E_clISt17integral_constantIbLb1EES16_EEDaS11_S12_EUlS11_E_NS1_11comp_targetILNS1_3genE4ELNS1_11target_archE910ELNS1_3gpuE8ELNS1_3repE0EEENS1_30default_config_static_selectorELNS0_4arch9wavefront6targetE0EEEvT1_, .Lfunc_end263-_ZN7rocprim17ROCPRIM_400000_NS6detail17trampoline_kernelINS0_14default_configENS1_25partition_config_selectorILNS1_17partition_subalgoE5ElNS0_10empty_typeEbEEZZNS1_14partition_implILS5_5ELb0ES3_mN6hipcub16HIPCUB_304000_NS21CountingInputIteratorIllEEPS6_NSA_22TransformInputIteratorIb7NonZeroIfEPflEENS0_5tupleIJPlS6_EEENSJ_IJSD_SD_EEES6_SK_JS6_EEE10hipError_tPvRmT3_T4_T5_T6_T7_T9_mT8_P12ihipStream_tbDpT10_ENKUlT_T0_E_clISt17integral_constantIbLb1EES16_EEDaS11_S12_EUlS11_E_NS1_11comp_targetILNS1_3genE4ELNS1_11target_archE910ELNS1_3gpuE8ELNS1_3repE0EEENS1_30default_config_static_selectorELNS0_4arch9wavefront6targetE0EEEvT1_
                                        ; -- End function
	.section	.AMDGPU.csdata,"",@progbits
; Kernel info:
; codeLenInByte = 0
; NumSgprs: 0
; NumVgprs: 0
; ScratchSize: 0
; MemoryBound: 0
; FloatMode: 240
; IeeeMode: 1
; LDSByteSize: 0 bytes/workgroup (compile time only)
; SGPRBlocks: 0
; VGPRBlocks: 0
; NumSGPRsForWavesPerEU: 1
; NumVGPRsForWavesPerEU: 1
; Occupancy: 15
; WaveLimiterHint : 0
; COMPUTE_PGM_RSRC2:SCRATCH_EN: 0
; COMPUTE_PGM_RSRC2:USER_SGPR: 15
; COMPUTE_PGM_RSRC2:TRAP_HANDLER: 0
; COMPUTE_PGM_RSRC2:TGID_X_EN: 1
; COMPUTE_PGM_RSRC2:TGID_Y_EN: 0
; COMPUTE_PGM_RSRC2:TGID_Z_EN: 0
; COMPUTE_PGM_RSRC2:TIDIG_COMP_CNT: 0
	.section	.text._ZN7rocprim17ROCPRIM_400000_NS6detail17trampoline_kernelINS0_14default_configENS1_25partition_config_selectorILNS1_17partition_subalgoE5ElNS0_10empty_typeEbEEZZNS1_14partition_implILS5_5ELb0ES3_mN6hipcub16HIPCUB_304000_NS21CountingInputIteratorIllEEPS6_NSA_22TransformInputIteratorIb7NonZeroIfEPflEENS0_5tupleIJPlS6_EEENSJ_IJSD_SD_EEES6_SK_JS6_EEE10hipError_tPvRmT3_T4_T5_T6_T7_T9_mT8_P12ihipStream_tbDpT10_ENKUlT_T0_E_clISt17integral_constantIbLb1EES16_EEDaS11_S12_EUlS11_E_NS1_11comp_targetILNS1_3genE3ELNS1_11target_archE908ELNS1_3gpuE7ELNS1_3repE0EEENS1_30default_config_static_selectorELNS0_4arch9wavefront6targetE0EEEvT1_,"axG",@progbits,_ZN7rocprim17ROCPRIM_400000_NS6detail17trampoline_kernelINS0_14default_configENS1_25partition_config_selectorILNS1_17partition_subalgoE5ElNS0_10empty_typeEbEEZZNS1_14partition_implILS5_5ELb0ES3_mN6hipcub16HIPCUB_304000_NS21CountingInputIteratorIllEEPS6_NSA_22TransformInputIteratorIb7NonZeroIfEPflEENS0_5tupleIJPlS6_EEENSJ_IJSD_SD_EEES6_SK_JS6_EEE10hipError_tPvRmT3_T4_T5_T6_T7_T9_mT8_P12ihipStream_tbDpT10_ENKUlT_T0_E_clISt17integral_constantIbLb1EES16_EEDaS11_S12_EUlS11_E_NS1_11comp_targetILNS1_3genE3ELNS1_11target_archE908ELNS1_3gpuE7ELNS1_3repE0EEENS1_30default_config_static_selectorELNS0_4arch9wavefront6targetE0EEEvT1_,comdat
	.protected	_ZN7rocprim17ROCPRIM_400000_NS6detail17trampoline_kernelINS0_14default_configENS1_25partition_config_selectorILNS1_17partition_subalgoE5ElNS0_10empty_typeEbEEZZNS1_14partition_implILS5_5ELb0ES3_mN6hipcub16HIPCUB_304000_NS21CountingInputIteratorIllEEPS6_NSA_22TransformInputIteratorIb7NonZeroIfEPflEENS0_5tupleIJPlS6_EEENSJ_IJSD_SD_EEES6_SK_JS6_EEE10hipError_tPvRmT3_T4_T5_T6_T7_T9_mT8_P12ihipStream_tbDpT10_ENKUlT_T0_E_clISt17integral_constantIbLb1EES16_EEDaS11_S12_EUlS11_E_NS1_11comp_targetILNS1_3genE3ELNS1_11target_archE908ELNS1_3gpuE7ELNS1_3repE0EEENS1_30default_config_static_selectorELNS0_4arch9wavefront6targetE0EEEvT1_ ; -- Begin function _ZN7rocprim17ROCPRIM_400000_NS6detail17trampoline_kernelINS0_14default_configENS1_25partition_config_selectorILNS1_17partition_subalgoE5ElNS0_10empty_typeEbEEZZNS1_14partition_implILS5_5ELb0ES3_mN6hipcub16HIPCUB_304000_NS21CountingInputIteratorIllEEPS6_NSA_22TransformInputIteratorIb7NonZeroIfEPflEENS0_5tupleIJPlS6_EEENSJ_IJSD_SD_EEES6_SK_JS6_EEE10hipError_tPvRmT3_T4_T5_T6_T7_T9_mT8_P12ihipStream_tbDpT10_ENKUlT_T0_E_clISt17integral_constantIbLb1EES16_EEDaS11_S12_EUlS11_E_NS1_11comp_targetILNS1_3genE3ELNS1_11target_archE908ELNS1_3gpuE7ELNS1_3repE0EEENS1_30default_config_static_selectorELNS0_4arch9wavefront6targetE0EEEvT1_
	.globl	_ZN7rocprim17ROCPRIM_400000_NS6detail17trampoline_kernelINS0_14default_configENS1_25partition_config_selectorILNS1_17partition_subalgoE5ElNS0_10empty_typeEbEEZZNS1_14partition_implILS5_5ELb0ES3_mN6hipcub16HIPCUB_304000_NS21CountingInputIteratorIllEEPS6_NSA_22TransformInputIteratorIb7NonZeroIfEPflEENS0_5tupleIJPlS6_EEENSJ_IJSD_SD_EEES6_SK_JS6_EEE10hipError_tPvRmT3_T4_T5_T6_T7_T9_mT8_P12ihipStream_tbDpT10_ENKUlT_T0_E_clISt17integral_constantIbLb1EES16_EEDaS11_S12_EUlS11_E_NS1_11comp_targetILNS1_3genE3ELNS1_11target_archE908ELNS1_3gpuE7ELNS1_3repE0EEENS1_30default_config_static_selectorELNS0_4arch9wavefront6targetE0EEEvT1_
	.p2align	8
	.type	_ZN7rocprim17ROCPRIM_400000_NS6detail17trampoline_kernelINS0_14default_configENS1_25partition_config_selectorILNS1_17partition_subalgoE5ElNS0_10empty_typeEbEEZZNS1_14partition_implILS5_5ELb0ES3_mN6hipcub16HIPCUB_304000_NS21CountingInputIteratorIllEEPS6_NSA_22TransformInputIteratorIb7NonZeroIfEPflEENS0_5tupleIJPlS6_EEENSJ_IJSD_SD_EEES6_SK_JS6_EEE10hipError_tPvRmT3_T4_T5_T6_T7_T9_mT8_P12ihipStream_tbDpT10_ENKUlT_T0_E_clISt17integral_constantIbLb1EES16_EEDaS11_S12_EUlS11_E_NS1_11comp_targetILNS1_3genE3ELNS1_11target_archE908ELNS1_3gpuE7ELNS1_3repE0EEENS1_30default_config_static_selectorELNS0_4arch9wavefront6targetE0EEEvT1_,@function
_ZN7rocprim17ROCPRIM_400000_NS6detail17trampoline_kernelINS0_14default_configENS1_25partition_config_selectorILNS1_17partition_subalgoE5ElNS0_10empty_typeEbEEZZNS1_14partition_implILS5_5ELb0ES3_mN6hipcub16HIPCUB_304000_NS21CountingInputIteratorIllEEPS6_NSA_22TransformInputIteratorIb7NonZeroIfEPflEENS0_5tupleIJPlS6_EEENSJ_IJSD_SD_EEES6_SK_JS6_EEE10hipError_tPvRmT3_T4_T5_T6_T7_T9_mT8_P12ihipStream_tbDpT10_ENKUlT_T0_E_clISt17integral_constantIbLb1EES16_EEDaS11_S12_EUlS11_E_NS1_11comp_targetILNS1_3genE3ELNS1_11target_archE908ELNS1_3gpuE7ELNS1_3repE0EEENS1_30default_config_static_selectorELNS0_4arch9wavefront6targetE0EEEvT1_: ; @_ZN7rocprim17ROCPRIM_400000_NS6detail17trampoline_kernelINS0_14default_configENS1_25partition_config_selectorILNS1_17partition_subalgoE5ElNS0_10empty_typeEbEEZZNS1_14partition_implILS5_5ELb0ES3_mN6hipcub16HIPCUB_304000_NS21CountingInputIteratorIllEEPS6_NSA_22TransformInputIteratorIb7NonZeroIfEPflEENS0_5tupleIJPlS6_EEENSJ_IJSD_SD_EEES6_SK_JS6_EEE10hipError_tPvRmT3_T4_T5_T6_T7_T9_mT8_P12ihipStream_tbDpT10_ENKUlT_T0_E_clISt17integral_constantIbLb1EES16_EEDaS11_S12_EUlS11_E_NS1_11comp_targetILNS1_3genE3ELNS1_11target_archE908ELNS1_3gpuE7ELNS1_3repE0EEENS1_30default_config_static_selectorELNS0_4arch9wavefront6targetE0EEEvT1_
; %bb.0:
	.section	.rodata,"a",@progbits
	.p2align	6, 0x0
	.amdhsa_kernel _ZN7rocprim17ROCPRIM_400000_NS6detail17trampoline_kernelINS0_14default_configENS1_25partition_config_selectorILNS1_17partition_subalgoE5ElNS0_10empty_typeEbEEZZNS1_14partition_implILS5_5ELb0ES3_mN6hipcub16HIPCUB_304000_NS21CountingInputIteratorIllEEPS6_NSA_22TransformInputIteratorIb7NonZeroIfEPflEENS0_5tupleIJPlS6_EEENSJ_IJSD_SD_EEES6_SK_JS6_EEE10hipError_tPvRmT3_T4_T5_T6_T7_T9_mT8_P12ihipStream_tbDpT10_ENKUlT_T0_E_clISt17integral_constantIbLb1EES16_EEDaS11_S12_EUlS11_E_NS1_11comp_targetILNS1_3genE3ELNS1_11target_archE908ELNS1_3gpuE7ELNS1_3repE0EEENS1_30default_config_static_selectorELNS0_4arch9wavefront6targetE0EEEvT1_
		.amdhsa_group_segment_fixed_size 0
		.amdhsa_private_segment_fixed_size 0
		.amdhsa_kernarg_size 136
		.amdhsa_user_sgpr_count 15
		.amdhsa_user_sgpr_dispatch_ptr 0
		.amdhsa_user_sgpr_queue_ptr 0
		.amdhsa_user_sgpr_kernarg_segment_ptr 1
		.amdhsa_user_sgpr_dispatch_id 0
		.amdhsa_user_sgpr_private_segment_size 0
		.amdhsa_wavefront_size32 1
		.amdhsa_uses_dynamic_stack 0
		.amdhsa_enable_private_segment 0
		.amdhsa_system_sgpr_workgroup_id_x 1
		.amdhsa_system_sgpr_workgroup_id_y 0
		.amdhsa_system_sgpr_workgroup_id_z 0
		.amdhsa_system_sgpr_workgroup_info 0
		.amdhsa_system_vgpr_workitem_id 0
		.amdhsa_next_free_vgpr 1
		.amdhsa_next_free_sgpr 1
		.amdhsa_reserve_vcc 0
		.amdhsa_float_round_mode_32 0
		.amdhsa_float_round_mode_16_64 0
		.amdhsa_float_denorm_mode_32 3
		.amdhsa_float_denorm_mode_16_64 3
		.amdhsa_dx10_clamp 1
		.amdhsa_ieee_mode 1
		.amdhsa_fp16_overflow 0
		.amdhsa_workgroup_processor_mode 1
		.amdhsa_memory_ordered 1
		.amdhsa_forward_progress 0
		.amdhsa_shared_vgpr_count 0
		.amdhsa_exception_fp_ieee_invalid_op 0
		.amdhsa_exception_fp_denorm_src 0
		.amdhsa_exception_fp_ieee_div_zero 0
		.amdhsa_exception_fp_ieee_overflow 0
		.amdhsa_exception_fp_ieee_underflow 0
		.amdhsa_exception_fp_ieee_inexact 0
		.amdhsa_exception_int_div_zero 0
	.end_amdhsa_kernel
	.section	.text._ZN7rocprim17ROCPRIM_400000_NS6detail17trampoline_kernelINS0_14default_configENS1_25partition_config_selectorILNS1_17partition_subalgoE5ElNS0_10empty_typeEbEEZZNS1_14partition_implILS5_5ELb0ES3_mN6hipcub16HIPCUB_304000_NS21CountingInputIteratorIllEEPS6_NSA_22TransformInputIteratorIb7NonZeroIfEPflEENS0_5tupleIJPlS6_EEENSJ_IJSD_SD_EEES6_SK_JS6_EEE10hipError_tPvRmT3_T4_T5_T6_T7_T9_mT8_P12ihipStream_tbDpT10_ENKUlT_T0_E_clISt17integral_constantIbLb1EES16_EEDaS11_S12_EUlS11_E_NS1_11comp_targetILNS1_3genE3ELNS1_11target_archE908ELNS1_3gpuE7ELNS1_3repE0EEENS1_30default_config_static_selectorELNS0_4arch9wavefront6targetE0EEEvT1_,"axG",@progbits,_ZN7rocprim17ROCPRIM_400000_NS6detail17trampoline_kernelINS0_14default_configENS1_25partition_config_selectorILNS1_17partition_subalgoE5ElNS0_10empty_typeEbEEZZNS1_14partition_implILS5_5ELb0ES3_mN6hipcub16HIPCUB_304000_NS21CountingInputIteratorIllEEPS6_NSA_22TransformInputIteratorIb7NonZeroIfEPflEENS0_5tupleIJPlS6_EEENSJ_IJSD_SD_EEES6_SK_JS6_EEE10hipError_tPvRmT3_T4_T5_T6_T7_T9_mT8_P12ihipStream_tbDpT10_ENKUlT_T0_E_clISt17integral_constantIbLb1EES16_EEDaS11_S12_EUlS11_E_NS1_11comp_targetILNS1_3genE3ELNS1_11target_archE908ELNS1_3gpuE7ELNS1_3repE0EEENS1_30default_config_static_selectorELNS0_4arch9wavefront6targetE0EEEvT1_,comdat
.Lfunc_end264:
	.size	_ZN7rocprim17ROCPRIM_400000_NS6detail17trampoline_kernelINS0_14default_configENS1_25partition_config_selectorILNS1_17partition_subalgoE5ElNS0_10empty_typeEbEEZZNS1_14partition_implILS5_5ELb0ES3_mN6hipcub16HIPCUB_304000_NS21CountingInputIteratorIllEEPS6_NSA_22TransformInputIteratorIb7NonZeroIfEPflEENS0_5tupleIJPlS6_EEENSJ_IJSD_SD_EEES6_SK_JS6_EEE10hipError_tPvRmT3_T4_T5_T6_T7_T9_mT8_P12ihipStream_tbDpT10_ENKUlT_T0_E_clISt17integral_constantIbLb1EES16_EEDaS11_S12_EUlS11_E_NS1_11comp_targetILNS1_3genE3ELNS1_11target_archE908ELNS1_3gpuE7ELNS1_3repE0EEENS1_30default_config_static_selectorELNS0_4arch9wavefront6targetE0EEEvT1_, .Lfunc_end264-_ZN7rocprim17ROCPRIM_400000_NS6detail17trampoline_kernelINS0_14default_configENS1_25partition_config_selectorILNS1_17partition_subalgoE5ElNS0_10empty_typeEbEEZZNS1_14partition_implILS5_5ELb0ES3_mN6hipcub16HIPCUB_304000_NS21CountingInputIteratorIllEEPS6_NSA_22TransformInputIteratorIb7NonZeroIfEPflEENS0_5tupleIJPlS6_EEENSJ_IJSD_SD_EEES6_SK_JS6_EEE10hipError_tPvRmT3_T4_T5_T6_T7_T9_mT8_P12ihipStream_tbDpT10_ENKUlT_T0_E_clISt17integral_constantIbLb1EES16_EEDaS11_S12_EUlS11_E_NS1_11comp_targetILNS1_3genE3ELNS1_11target_archE908ELNS1_3gpuE7ELNS1_3repE0EEENS1_30default_config_static_selectorELNS0_4arch9wavefront6targetE0EEEvT1_
                                        ; -- End function
	.section	.AMDGPU.csdata,"",@progbits
; Kernel info:
; codeLenInByte = 0
; NumSgprs: 0
; NumVgprs: 0
; ScratchSize: 0
; MemoryBound: 0
; FloatMode: 240
; IeeeMode: 1
; LDSByteSize: 0 bytes/workgroup (compile time only)
; SGPRBlocks: 0
; VGPRBlocks: 0
; NumSGPRsForWavesPerEU: 1
; NumVGPRsForWavesPerEU: 1
; Occupancy: 16
; WaveLimiterHint : 0
; COMPUTE_PGM_RSRC2:SCRATCH_EN: 0
; COMPUTE_PGM_RSRC2:USER_SGPR: 15
; COMPUTE_PGM_RSRC2:TRAP_HANDLER: 0
; COMPUTE_PGM_RSRC2:TGID_X_EN: 1
; COMPUTE_PGM_RSRC2:TGID_Y_EN: 0
; COMPUTE_PGM_RSRC2:TGID_Z_EN: 0
; COMPUTE_PGM_RSRC2:TIDIG_COMP_CNT: 0
	.section	.text._ZN7rocprim17ROCPRIM_400000_NS6detail17trampoline_kernelINS0_14default_configENS1_25partition_config_selectorILNS1_17partition_subalgoE5ElNS0_10empty_typeEbEEZZNS1_14partition_implILS5_5ELb0ES3_mN6hipcub16HIPCUB_304000_NS21CountingInputIteratorIllEEPS6_NSA_22TransformInputIteratorIb7NonZeroIfEPflEENS0_5tupleIJPlS6_EEENSJ_IJSD_SD_EEES6_SK_JS6_EEE10hipError_tPvRmT3_T4_T5_T6_T7_T9_mT8_P12ihipStream_tbDpT10_ENKUlT_T0_E_clISt17integral_constantIbLb1EES16_EEDaS11_S12_EUlS11_E_NS1_11comp_targetILNS1_3genE2ELNS1_11target_archE906ELNS1_3gpuE6ELNS1_3repE0EEENS1_30default_config_static_selectorELNS0_4arch9wavefront6targetE0EEEvT1_,"axG",@progbits,_ZN7rocprim17ROCPRIM_400000_NS6detail17trampoline_kernelINS0_14default_configENS1_25partition_config_selectorILNS1_17partition_subalgoE5ElNS0_10empty_typeEbEEZZNS1_14partition_implILS5_5ELb0ES3_mN6hipcub16HIPCUB_304000_NS21CountingInputIteratorIllEEPS6_NSA_22TransformInputIteratorIb7NonZeroIfEPflEENS0_5tupleIJPlS6_EEENSJ_IJSD_SD_EEES6_SK_JS6_EEE10hipError_tPvRmT3_T4_T5_T6_T7_T9_mT8_P12ihipStream_tbDpT10_ENKUlT_T0_E_clISt17integral_constantIbLb1EES16_EEDaS11_S12_EUlS11_E_NS1_11comp_targetILNS1_3genE2ELNS1_11target_archE906ELNS1_3gpuE6ELNS1_3repE0EEENS1_30default_config_static_selectorELNS0_4arch9wavefront6targetE0EEEvT1_,comdat
	.protected	_ZN7rocprim17ROCPRIM_400000_NS6detail17trampoline_kernelINS0_14default_configENS1_25partition_config_selectorILNS1_17partition_subalgoE5ElNS0_10empty_typeEbEEZZNS1_14partition_implILS5_5ELb0ES3_mN6hipcub16HIPCUB_304000_NS21CountingInputIteratorIllEEPS6_NSA_22TransformInputIteratorIb7NonZeroIfEPflEENS0_5tupleIJPlS6_EEENSJ_IJSD_SD_EEES6_SK_JS6_EEE10hipError_tPvRmT3_T4_T5_T6_T7_T9_mT8_P12ihipStream_tbDpT10_ENKUlT_T0_E_clISt17integral_constantIbLb1EES16_EEDaS11_S12_EUlS11_E_NS1_11comp_targetILNS1_3genE2ELNS1_11target_archE906ELNS1_3gpuE6ELNS1_3repE0EEENS1_30default_config_static_selectorELNS0_4arch9wavefront6targetE0EEEvT1_ ; -- Begin function _ZN7rocprim17ROCPRIM_400000_NS6detail17trampoline_kernelINS0_14default_configENS1_25partition_config_selectorILNS1_17partition_subalgoE5ElNS0_10empty_typeEbEEZZNS1_14partition_implILS5_5ELb0ES3_mN6hipcub16HIPCUB_304000_NS21CountingInputIteratorIllEEPS6_NSA_22TransformInputIteratorIb7NonZeroIfEPflEENS0_5tupleIJPlS6_EEENSJ_IJSD_SD_EEES6_SK_JS6_EEE10hipError_tPvRmT3_T4_T5_T6_T7_T9_mT8_P12ihipStream_tbDpT10_ENKUlT_T0_E_clISt17integral_constantIbLb1EES16_EEDaS11_S12_EUlS11_E_NS1_11comp_targetILNS1_3genE2ELNS1_11target_archE906ELNS1_3gpuE6ELNS1_3repE0EEENS1_30default_config_static_selectorELNS0_4arch9wavefront6targetE0EEEvT1_
	.globl	_ZN7rocprim17ROCPRIM_400000_NS6detail17trampoline_kernelINS0_14default_configENS1_25partition_config_selectorILNS1_17partition_subalgoE5ElNS0_10empty_typeEbEEZZNS1_14partition_implILS5_5ELb0ES3_mN6hipcub16HIPCUB_304000_NS21CountingInputIteratorIllEEPS6_NSA_22TransformInputIteratorIb7NonZeroIfEPflEENS0_5tupleIJPlS6_EEENSJ_IJSD_SD_EEES6_SK_JS6_EEE10hipError_tPvRmT3_T4_T5_T6_T7_T9_mT8_P12ihipStream_tbDpT10_ENKUlT_T0_E_clISt17integral_constantIbLb1EES16_EEDaS11_S12_EUlS11_E_NS1_11comp_targetILNS1_3genE2ELNS1_11target_archE906ELNS1_3gpuE6ELNS1_3repE0EEENS1_30default_config_static_selectorELNS0_4arch9wavefront6targetE0EEEvT1_
	.p2align	8
	.type	_ZN7rocprim17ROCPRIM_400000_NS6detail17trampoline_kernelINS0_14default_configENS1_25partition_config_selectorILNS1_17partition_subalgoE5ElNS0_10empty_typeEbEEZZNS1_14partition_implILS5_5ELb0ES3_mN6hipcub16HIPCUB_304000_NS21CountingInputIteratorIllEEPS6_NSA_22TransformInputIteratorIb7NonZeroIfEPflEENS0_5tupleIJPlS6_EEENSJ_IJSD_SD_EEES6_SK_JS6_EEE10hipError_tPvRmT3_T4_T5_T6_T7_T9_mT8_P12ihipStream_tbDpT10_ENKUlT_T0_E_clISt17integral_constantIbLb1EES16_EEDaS11_S12_EUlS11_E_NS1_11comp_targetILNS1_3genE2ELNS1_11target_archE906ELNS1_3gpuE6ELNS1_3repE0EEENS1_30default_config_static_selectorELNS0_4arch9wavefront6targetE0EEEvT1_,@function
_ZN7rocprim17ROCPRIM_400000_NS6detail17trampoline_kernelINS0_14default_configENS1_25partition_config_selectorILNS1_17partition_subalgoE5ElNS0_10empty_typeEbEEZZNS1_14partition_implILS5_5ELb0ES3_mN6hipcub16HIPCUB_304000_NS21CountingInputIteratorIllEEPS6_NSA_22TransformInputIteratorIb7NonZeroIfEPflEENS0_5tupleIJPlS6_EEENSJ_IJSD_SD_EEES6_SK_JS6_EEE10hipError_tPvRmT3_T4_T5_T6_T7_T9_mT8_P12ihipStream_tbDpT10_ENKUlT_T0_E_clISt17integral_constantIbLb1EES16_EEDaS11_S12_EUlS11_E_NS1_11comp_targetILNS1_3genE2ELNS1_11target_archE906ELNS1_3gpuE6ELNS1_3repE0EEENS1_30default_config_static_selectorELNS0_4arch9wavefront6targetE0EEEvT1_: ; @_ZN7rocprim17ROCPRIM_400000_NS6detail17trampoline_kernelINS0_14default_configENS1_25partition_config_selectorILNS1_17partition_subalgoE5ElNS0_10empty_typeEbEEZZNS1_14partition_implILS5_5ELb0ES3_mN6hipcub16HIPCUB_304000_NS21CountingInputIteratorIllEEPS6_NSA_22TransformInputIteratorIb7NonZeroIfEPflEENS0_5tupleIJPlS6_EEENSJ_IJSD_SD_EEES6_SK_JS6_EEE10hipError_tPvRmT3_T4_T5_T6_T7_T9_mT8_P12ihipStream_tbDpT10_ENKUlT_T0_E_clISt17integral_constantIbLb1EES16_EEDaS11_S12_EUlS11_E_NS1_11comp_targetILNS1_3genE2ELNS1_11target_archE906ELNS1_3gpuE6ELNS1_3repE0EEENS1_30default_config_static_selectorELNS0_4arch9wavefront6targetE0EEEvT1_
; %bb.0:
	.section	.rodata,"a",@progbits
	.p2align	6, 0x0
	.amdhsa_kernel _ZN7rocprim17ROCPRIM_400000_NS6detail17trampoline_kernelINS0_14default_configENS1_25partition_config_selectorILNS1_17partition_subalgoE5ElNS0_10empty_typeEbEEZZNS1_14partition_implILS5_5ELb0ES3_mN6hipcub16HIPCUB_304000_NS21CountingInputIteratorIllEEPS6_NSA_22TransformInputIteratorIb7NonZeroIfEPflEENS0_5tupleIJPlS6_EEENSJ_IJSD_SD_EEES6_SK_JS6_EEE10hipError_tPvRmT3_T4_T5_T6_T7_T9_mT8_P12ihipStream_tbDpT10_ENKUlT_T0_E_clISt17integral_constantIbLb1EES16_EEDaS11_S12_EUlS11_E_NS1_11comp_targetILNS1_3genE2ELNS1_11target_archE906ELNS1_3gpuE6ELNS1_3repE0EEENS1_30default_config_static_selectorELNS0_4arch9wavefront6targetE0EEEvT1_
		.amdhsa_group_segment_fixed_size 0
		.amdhsa_private_segment_fixed_size 0
		.amdhsa_kernarg_size 136
		.amdhsa_user_sgpr_count 15
		.amdhsa_user_sgpr_dispatch_ptr 0
		.amdhsa_user_sgpr_queue_ptr 0
		.amdhsa_user_sgpr_kernarg_segment_ptr 1
		.amdhsa_user_sgpr_dispatch_id 0
		.amdhsa_user_sgpr_private_segment_size 0
		.amdhsa_wavefront_size32 1
		.amdhsa_uses_dynamic_stack 0
		.amdhsa_enable_private_segment 0
		.amdhsa_system_sgpr_workgroup_id_x 1
		.amdhsa_system_sgpr_workgroup_id_y 0
		.amdhsa_system_sgpr_workgroup_id_z 0
		.amdhsa_system_sgpr_workgroup_info 0
		.amdhsa_system_vgpr_workitem_id 0
		.amdhsa_next_free_vgpr 1
		.amdhsa_next_free_sgpr 1
		.amdhsa_reserve_vcc 0
		.amdhsa_float_round_mode_32 0
		.amdhsa_float_round_mode_16_64 0
		.amdhsa_float_denorm_mode_32 3
		.amdhsa_float_denorm_mode_16_64 3
		.amdhsa_dx10_clamp 1
		.amdhsa_ieee_mode 1
		.amdhsa_fp16_overflow 0
		.amdhsa_workgroup_processor_mode 1
		.amdhsa_memory_ordered 1
		.amdhsa_forward_progress 0
		.amdhsa_shared_vgpr_count 0
		.amdhsa_exception_fp_ieee_invalid_op 0
		.amdhsa_exception_fp_denorm_src 0
		.amdhsa_exception_fp_ieee_div_zero 0
		.amdhsa_exception_fp_ieee_overflow 0
		.amdhsa_exception_fp_ieee_underflow 0
		.amdhsa_exception_fp_ieee_inexact 0
		.amdhsa_exception_int_div_zero 0
	.end_amdhsa_kernel
	.section	.text._ZN7rocprim17ROCPRIM_400000_NS6detail17trampoline_kernelINS0_14default_configENS1_25partition_config_selectorILNS1_17partition_subalgoE5ElNS0_10empty_typeEbEEZZNS1_14partition_implILS5_5ELb0ES3_mN6hipcub16HIPCUB_304000_NS21CountingInputIteratorIllEEPS6_NSA_22TransformInputIteratorIb7NonZeroIfEPflEENS0_5tupleIJPlS6_EEENSJ_IJSD_SD_EEES6_SK_JS6_EEE10hipError_tPvRmT3_T4_T5_T6_T7_T9_mT8_P12ihipStream_tbDpT10_ENKUlT_T0_E_clISt17integral_constantIbLb1EES16_EEDaS11_S12_EUlS11_E_NS1_11comp_targetILNS1_3genE2ELNS1_11target_archE906ELNS1_3gpuE6ELNS1_3repE0EEENS1_30default_config_static_selectorELNS0_4arch9wavefront6targetE0EEEvT1_,"axG",@progbits,_ZN7rocprim17ROCPRIM_400000_NS6detail17trampoline_kernelINS0_14default_configENS1_25partition_config_selectorILNS1_17partition_subalgoE5ElNS0_10empty_typeEbEEZZNS1_14partition_implILS5_5ELb0ES3_mN6hipcub16HIPCUB_304000_NS21CountingInputIteratorIllEEPS6_NSA_22TransformInputIteratorIb7NonZeroIfEPflEENS0_5tupleIJPlS6_EEENSJ_IJSD_SD_EEES6_SK_JS6_EEE10hipError_tPvRmT3_T4_T5_T6_T7_T9_mT8_P12ihipStream_tbDpT10_ENKUlT_T0_E_clISt17integral_constantIbLb1EES16_EEDaS11_S12_EUlS11_E_NS1_11comp_targetILNS1_3genE2ELNS1_11target_archE906ELNS1_3gpuE6ELNS1_3repE0EEENS1_30default_config_static_selectorELNS0_4arch9wavefront6targetE0EEEvT1_,comdat
.Lfunc_end265:
	.size	_ZN7rocprim17ROCPRIM_400000_NS6detail17trampoline_kernelINS0_14default_configENS1_25partition_config_selectorILNS1_17partition_subalgoE5ElNS0_10empty_typeEbEEZZNS1_14partition_implILS5_5ELb0ES3_mN6hipcub16HIPCUB_304000_NS21CountingInputIteratorIllEEPS6_NSA_22TransformInputIteratorIb7NonZeroIfEPflEENS0_5tupleIJPlS6_EEENSJ_IJSD_SD_EEES6_SK_JS6_EEE10hipError_tPvRmT3_T4_T5_T6_T7_T9_mT8_P12ihipStream_tbDpT10_ENKUlT_T0_E_clISt17integral_constantIbLb1EES16_EEDaS11_S12_EUlS11_E_NS1_11comp_targetILNS1_3genE2ELNS1_11target_archE906ELNS1_3gpuE6ELNS1_3repE0EEENS1_30default_config_static_selectorELNS0_4arch9wavefront6targetE0EEEvT1_, .Lfunc_end265-_ZN7rocprim17ROCPRIM_400000_NS6detail17trampoline_kernelINS0_14default_configENS1_25partition_config_selectorILNS1_17partition_subalgoE5ElNS0_10empty_typeEbEEZZNS1_14partition_implILS5_5ELb0ES3_mN6hipcub16HIPCUB_304000_NS21CountingInputIteratorIllEEPS6_NSA_22TransformInputIteratorIb7NonZeroIfEPflEENS0_5tupleIJPlS6_EEENSJ_IJSD_SD_EEES6_SK_JS6_EEE10hipError_tPvRmT3_T4_T5_T6_T7_T9_mT8_P12ihipStream_tbDpT10_ENKUlT_T0_E_clISt17integral_constantIbLb1EES16_EEDaS11_S12_EUlS11_E_NS1_11comp_targetILNS1_3genE2ELNS1_11target_archE906ELNS1_3gpuE6ELNS1_3repE0EEENS1_30default_config_static_selectorELNS0_4arch9wavefront6targetE0EEEvT1_
                                        ; -- End function
	.section	.AMDGPU.csdata,"",@progbits
; Kernel info:
; codeLenInByte = 0
; NumSgprs: 0
; NumVgprs: 0
; ScratchSize: 0
; MemoryBound: 0
; FloatMode: 240
; IeeeMode: 1
; LDSByteSize: 0 bytes/workgroup (compile time only)
; SGPRBlocks: 0
; VGPRBlocks: 0
; NumSGPRsForWavesPerEU: 1
; NumVGPRsForWavesPerEU: 1
; Occupancy: 16
; WaveLimiterHint : 0
; COMPUTE_PGM_RSRC2:SCRATCH_EN: 0
; COMPUTE_PGM_RSRC2:USER_SGPR: 15
; COMPUTE_PGM_RSRC2:TRAP_HANDLER: 0
; COMPUTE_PGM_RSRC2:TGID_X_EN: 1
; COMPUTE_PGM_RSRC2:TGID_Y_EN: 0
; COMPUTE_PGM_RSRC2:TGID_Z_EN: 0
; COMPUTE_PGM_RSRC2:TIDIG_COMP_CNT: 0
	.section	.text._ZN7rocprim17ROCPRIM_400000_NS6detail17trampoline_kernelINS0_14default_configENS1_25partition_config_selectorILNS1_17partition_subalgoE5ElNS0_10empty_typeEbEEZZNS1_14partition_implILS5_5ELb0ES3_mN6hipcub16HIPCUB_304000_NS21CountingInputIteratorIllEEPS6_NSA_22TransformInputIteratorIb7NonZeroIfEPflEENS0_5tupleIJPlS6_EEENSJ_IJSD_SD_EEES6_SK_JS6_EEE10hipError_tPvRmT3_T4_T5_T6_T7_T9_mT8_P12ihipStream_tbDpT10_ENKUlT_T0_E_clISt17integral_constantIbLb1EES16_EEDaS11_S12_EUlS11_E_NS1_11comp_targetILNS1_3genE10ELNS1_11target_archE1200ELNS1_3gpuE4ELNS1_3repE0EEENS1_30default_config_static_selectorELNS0_4arch9wavefront6targetE0EEEvT1_,"axG",@progbits,_ZN7rocprim17ROCPRIM_400000_NS6detail17trampoline_kernelINS0_14default_configENS1_25partition_config_selectorILNS1_17partition_subalgoE5ElNS0_10empty_typeEbEEZZNS1_14partition_implILS5_5ELb0ES3_mN6hipcub16HIPCUB_304000_NS21CountingInputIteratorIllEEPS6_NSA_22TransformInputIteratorIb7NonZeroIfEPflEENS0_5tupleIJPlS6_EEENSJ_IJSD_SD_EEES6_SK_JS6_EEE10hipError_tPvRmT3_T4_T5_T6_T7_T9_mT8_P12ihipStream_tbDpT10_ENKUlT_T0_E_clISt17integral_constantIbLb1EES16_EEDaS11_S12_EUlS11_E_NS1_11comp_targetILNS1_3genE10ELNS1_11target_archE1200ELNS1_3gpuE4ELNS1_3repE0EEENS1_30default_config_static_selectorELNS0_4arch9wavefront6targetE0EEEvT1_,comdat
	.protected	_ZN7rocprim17ROCPRIM_400000_NS6detail17trampoline_kernelINS0_14default_configENS1_25partition_config_selectorILNS1_17partition_subalgoE5ElNS0_10empty_typeEbEEZZNS1_14partition_implILS5_5ELb0ES3_mN6hipcub16HIPCUB_304000_NS21CountingInputIteratorIllEEPS6_NSA_22TransformInputIteratorIb7NonZeroIfEPflEENS0_5tupleIJPlS6_EEENSJ_IJSD_SD_EEES6_SK_JS6_EEE10hipError_tPvRmT3_T4_T5_T6_T7_T9_mT8_P12ihipStream_tbDpT10_ENKUlT_T0_E_clISt17integral_constantIbLb1EES16_EEDaS11_S12_EUlS11_E_NS1_11comp_targetILNS1_3genE10ELNS1_11target_archE1200ELNS1_3gpuE4ELNS1_3repE0EEENS1_30default_config_static_selectorELNS0_4arch9wavefront6targetE0EEEvT1_ ; -- Begin function _ZN7rocprim17ROCPRIM_400000_NS6detail17trampoline_kernelINS0_14default_configENS1_25partition_config_selectorILNS1_17partition_subalgoE5ElNS0_10empty_typeEbEEZZNS1_14partition_implILS5_5ELb0ES3_mN6hipcub16HIPCUB_304000_NS21CountingInputIteratorIllEEPS6_NSA_22TransformInputIteratorIb7NonZeroIfEPflEENS0_5tupleIJPlS6_EEENSJ_IJSD_SD_EEES6_SK_JS6_EEE10hipError_tPvRmT3_T4_T5_T6_T7_T9_mT8_P12ihipStream_tbDpT10_ENKUlT_T0_E_clISt17integral_constantIbLb1EES16_EEDaS11_S12_EUlS11_E_NS1_11comp_targetILNS1_3genE10ELNS1_11target_archE1200ELNS1_3gpuE4ELNS1_3repE0EEENS1_30default_config_static_selectorELNS0_4arch9wavefront6targetE0EEEvT1_
	.globl	_ZN7rocprim17ROCPRIM_400000_NS6detail17trampoline_kernelINS0_14default_configENS1_25partition_config_selectorILNS1_17partition_subalgoE5ElNS0_10empty_typeEbEEZZNS1_14partition_implILS5_5ELb0ES3_mN6hipcub16HIPCUB_304000_NS21CountingInputIteratorIllEEPS6_NSA_22TransformInputIteratorIb7NonZeroIfEPflEENS0_5tupleIJPlS6_EEENSJ_IJSD_SD_EEES6_SK_JS6_EEE10hipError_tPvRmT3_T4_T5_T6_T7_T9_mT8_P12ihipStream_tbDpT10_ENKUlT_T0_E_clISt17integral_constantIbLb1EES16_EEDaS11_S12_EUlS11_E_NS1_11comp_targetILNS1_3genE10ELNS1_11target_archE1200ELNS1_3gpuE4ELNS1_3repE0EEENS1_30default_config_static_selectorELNS0_4arch9wavefront6targetE0EEEvT1_
	.p2align	8
	.type	_ZN7rocprim17ROCPRIM_400000_NS6detail17trampoline_kernelINS0_14default_configENS1_25partition_config_selectorILNS1_17partition_subalgoE5ElNS0_10empty_typeEbEEZZNS1_14partition_implILS5_5ELb0ES3_mN6hipcub16HIPCUB_304000_NS21CountingInputIteratorIllEEPS6_NSA_22TransformInputIteratorIb7NonZeroIfEPflEENS0_5tupleIJPlS6_EEENSJ_IJSD_SD_EEES6_SK_JS6_EEE10hipError_tPvRmT3_T4_T5_T6_T7_T9_mT8_P12ihipStream_tbDpT10_ENKUlT_T0_E_clISt17integral_constantIbLb1EES16_EEDaS11_S12_EUlS11_E_NS1_11comp_targetILNS1_3genE10ELNS1_11target_archE1200ELNS1_3gpuE4ELNS1_3repE0EEENS1_30default_config_static_selectorELNS0_4arch9wavefront6targetE0EEEvT1_,@function
_ZN7rocprim17ROCPRIM_400000_NS6detail17trampoline_kernelINS0_14default_configENS1_25partition_config_selectorILNS1_17partition_subalgoE5ElNS0_10empty_typeEbEEZZNS1_14partition_implILS5_5ELb0ES3_mN6hipcub16HIPCUB_304000_NS21CountingInputIteratorIllEEPS6_NSA_22TransformInputIteratorIb7NonZeroIfEPflEENS0_5tupleIJPlS6_EEENSJ_IJSD_SD_EEES6_SK_JS6_EEE10hipError_tPvRmT3_T4_T5_T6_T7_T9_mT8_P12ihipStream_tbDpT10_ENKUlT_T0_E_clISt17integral_constantIbLb1EES16_EEDaS11_S12_EUlS11_E_NS1_11comp_targetILNS1_3genE10ELNS1_11target_archE1200ELNS1_3gpuE4ELNS1_3repE0EEENS1_30default_config_static_selectorELNS0_4arch9wavefront6targetE0EEEvT1_: ; @_ZN7rocprim17ROCPRIM_400000_NS6detail17trampoline_kernelINS0_14default_configENS1_25partition_config_selectorILNS1_17partition_subalgoE5ElNS0_10empty_typeEbEEZZNS1_14partition_implILS5_5ELb0ES3_mN6hipcub16HIPCUB_304000_NS21CountingInputIteratorIllEEPS6_NSA_22TransformInputIteratorIb7NonZeroIfEPflEENS0_5tupleIJPlS6_EEENSJ_IJSD_SD_EEES6_SK_JS6_EEE10hipError_tPvRmT3_T4_T5_T6_T7_T9_mT8_P12ihipStream_tbDpT10_ENKUlT_T0_E_clISt17integral_constantIbLb1EES16_EEDaS11_S12_EUlS11_E_NS1_11comp_targetILNS1_3genE10ELNS1_11target_archE1200ELNS1_3gpuE4ELNS1_3repE0EEENS1_30default_config_static_selectorELNS0_4arch9wavefront6targetE0EEEvT1_
; %bb.0:
	.section	.rodata,"a",@progbits
	.p2align	6, 0x0
	.amdhsa_kernel _ZN7rocprim17ROCPRIM_400000_NS6detail17trampoline_kernelINS0_14default_configENS1_25partition_config_selectorILNS1_17partition_subalgoE5ElNS0_10empty_typeEbEEZZNS1_14partition_implILS5_5ELb0ES3_mN6hipcub16HIPCUB_304000_NS21CountingInputIteratorIllEEPS6_NSA_22TransformInputIteratorIb7NonZeroIfEPflEENS0_5tupleIJPlS6_EEENSJ_IJSD_SD_EEES6_SK_JS6_EEE10hipError_tPvRmT3_T4_T5_T6_T7_T9_mT8_P12ihipStream_tbDpT10_ENKUlT_T0_E_clISt17integral_constantIbLb1EES16_EEDaS11_S12_EUlS11_E_NS1_11comp_targetILNS1_3genE10ELNS1_11target_archE1200ELNS1_3gpuE4ELNS1_3repE0EEENS1_30default_config_static_selectorELNS0_4arch9wavefront6targetE0EEEvT1_
		.amdhsa_group_segment_fixed_size 0
		.amdhsa_private_segment_fixed_size 0
		.amdhsa_kernarg_size 136
		.amdhsa_user_sgpr_count 15
		.amdhsa_user_sgpr_dispatch_ptr 0
		.amdhsa_user_sgpr_queue_ptr 0
		.amdhsa_user_sgpr_kernarg_segment_ptr 1
		.amdhsa_user_sgpr_dispatch_id 0
		.amdhsa_user_sgpr_private_segment_size 0
		.amdhsa_wavefront_size32 1
		.amdhsa_uses_dynamic_stack 0
		.amdhsa_enable_private_segment 0
		.amdhsa_system_sgpr_workgroup_id_x 1
		.amdhsa_system_sgpr_workgroup_id_y 0
		.amdhsa_system_sgpr_workgroup_id_z 0
		.amdhsa_system_sgpr_workgroup_info 0
		.amdhsa_system_vgpr_workitem_id 0
		.amdhsa_next_free_vgpr 1
		.amdhsa_next_free_sgpr 1
		.amdhsa_reserve_vcc 0
		.amdhsa_float_round_mode_32 0
		.amdhsa_float_round_mode_16_64 0
		.amdhsa_float_denorm_mode_32 3
		.amdhsa_float_denorm_mode_16_64 3
		.amdhsa_dx10_clamp 1
		.amdhsa_ieee_mode 1
		.amdhsa_fp16_overflow 0
		.amdhsa_workgroup_processor_mode 1
		.amdhsa_memory_ordered 1
		.amdhsa_forward_progress 0
		.amdhsa_shared_vgpr_count 0
		.amdhsa_exception_fp_ieee_invalid_op 0
		.amdhsa_exception_fp_denorm_src 0
		.amdhsa_exception_fp_ieee_div_zero 0
		.amdhsa_exception_fp_ieee_overflow 0
		.amdhsa_exception_fp_ieee_underflow 0
		.amdhsa_exception_fp_ieee_inexact 0
		.amdhsa_exception_int_div_zero 0
	.end_amdhsa_kernel
	.section	.text._ZN7rocprim17ROCPRIM_400000_NS6detail17trampoline_kernelINS0_14default_configENS1_25partition_config_selectorILNS1_17partition_subalgoE5ElNS0_10empty_typeEbEEZZNS1_14partition_implILS5_5ELb0ES3_mN6hipcub16HIPCUB_304000_NS21CountingInputIteratorIllEEPS6_NSA_22TransformInputIteratorIb7NonZeroIfEPflEENS0_5tupleIJPlS6_EEENSJ_IJSD_SD_EEES6_SK_JS6_EEE10hipError_tPvRmT3_T4_T5_T6_T7_T9_mT8_P12ihipStream_tbDpT10_ENKUlT_T0_E_clISt17integral_constantIbLb1EES16_EEDaS11_S12_EUlS11_E_NS1_11comp_targetILNS1_3genE10ELNS1_11target_archE1200ELNS1_3gpuE4ELNS1_3repE0EEENS1_30default_config_static_selectorELNS0_4arch9wavefront6targetE0EEEvT1_,"axG",@progbits,_ZN7rocprim17ROCPRIM_400000_NS6detail17trampoline_kernelINS0_14default_configENS1_25partition_config_selectorILNS1_17partition_subalgoE5ElNS0_10empty_typeEbEEZZNS1_14partition_implILS5_5ELb0ES3_mN6hipcub16HIPCUB_304000_NS21CountingInputIteratorIllEEPS6_NSA_22TransformInputIteratorIb7NonZeroIfEPflEENS0_5tupleIJPlS6_EEENSJ_IJSD_SD_EEES6_SK_JS6_EEE10hipError_tPvRmT3_T4_T5_T6_T7_T9_mT8_P12ihipStream_tbDpT10_ENKUlT_T0_E_clISt17integral_constantIbLb1EES16_EEDaS11_S12_EUlS11_E_NS1_11comp_targetILNS1_3genE10ELNS1_11target_archE1200ELNS1_3gpuE4ELNS1_3repE0EEENS1_30default_config_static_selectorELNS0_4arch9wavefront6targetE0EEEvT1_,comdat
.Lfunc_end266:
	.size	_ZN7rocprim17ROCPRIM_400000_NS6detail17trampoline_kernelINS0_14default_configENS1_25partition_config_selectorILNS1_17partition_subalgoE5ElNS0_10empty_typeEbEEZZNS1_14partition_implILS5_5ELb0ES3_mN6hipcub16HIPCUB_304000_NS21CountingInputIteratorIllEEPS6_NSA_22TransformInputIteratorIb7NonZeroIfEPflEENS0_5tupleIJPlS6_EEENSJ_IJSD_SD_EEES6_SK_JS6_EEE10hipError_tPvRmT3_T4_T5_T6_T7_T9_mT8_P12ihipStream_tbDpT10_ENKUlT_T0_E_clISt17integral_constantIbLb1EES16_EEDaS11_S12_EUlS11_E_NS1_11comp_targetILNS1_3genE10ELNS1_11target_archE1200ELNS1_3gpuE4ELNS1_3repE0EEENS1_30default_config_static_selectorELNS0_4arch9wavefront6targetE0EEEvT1_, .Lfunc_end266-_ZN7rocprim17ROCPRIM_400000_NS6detail17trampoline_kernelINS0_14default_configENS1_25partition_config_selectorILNS1_17partition_subalgoE5ElNS0_10empty_typeEbEEZZNS1_14partition_implILS5_5ELb0ES3_mN6hipcub16HIPCUB_304000_NS21CountingInputIteratorIllEEPS6_NSA_22TransformInputIteratorIb7NonZeroIfEPflEENS0_5tupleIJPlS6_EEENSJ_IJSD_SD_EEES6_SK_JS6_EEE10hipError_tPvRmT3_T4_T5_T6_T7_T9_mT8_P12ihipStream_tbDpT10_ENKUlT_T0_E_clISt17integral_constantIbLb1EES16_EEDaS11_S12_EUlS11_E_NS1_11comp_targetILNS1_3genE10ELNS1_11target_archE1200ELNS1_3gpuE4ELNS1_3repE0EEENS1_30default_config_static_selectorELNS0_4arch9wavefront6targetE0EEEvT1_
                                        ; -- End function
	.section	.AMDGPU.csdata,"",@progbits
; Kernel info:
; codeLenInByte = 0
; NumSgprs: 0
; NumVgprs: 0
; ScratchSize: 0
; MemoryBound: 0
; FloatMode: 240
; IeeeMode: 1
; LDSByteSize: 0 bytes/workgroup (compile time only)
; SGPRBlocks: 0
; VGPRBlocks: 0
; NumSGPRsForWavesPerEU: 1
; NumVGPRsForWavesPerEU: 1
; Occupancy: 16
; WaveLimiterHint : 0
; COMPUTE_PGM_RSRC2:SCRATCH_EN: 0
; COMPUTE_PGM_RSRC2:USER_SGPR: 15
; COMPUTE_PGM_RSRC2:TRAP_HANDLER: 0
; COMPUTE_PGM_RSRC2:TGID_X_EN: 1
; COMPUTE_PGM_RSRC2:TGID_Y_EN: 0
; COMPUTE_PGM_RSRC2:TGID_Z_EN: 0
; COMPUTE_PGM_RSRC2:TIDIG_COMP_CNT: 0
	.section	.text._ZN7rocprim17ROCPRIM_400000_NS6detail17trampoline_kernelINS0_14default_configENS1_25partition_config_selectorILNS1_17partition_subalgoE5ElNS0_10empty_typeEbEEZZNS1_14partition_implILS5_5ELb0ES3_mN6hipcub16HIPCUB_304000_NS21CountingInputIteratorIllEEPS6_NSA_22TransformInputIteratorIb7NonZeroIfEPflEENS0_5tupleIJPlS6_EEENSJ_IJSD_SD_EEES6_SK_JS6_EEE10hipError_tPvRmT3_T4_T5_T6_T7_T9_mT8_P12ihipStream_tbDpT10_ENKUlT_T0_E_clISt17integral_constantIbLb1EES16_EEDaS11_S12_EUlS11_E_NS1_11comp_targetILNS1_3genE9ELNS1_11target_archE1100ELNS1_3gpuE3ELNS1_3repE0EEENS1_30default_config_static_selectorELNS0_4arch9wavefront6targetE0EEEvT1_,"axG",@progbits,_ZN7rocprim17ROCPRIM_400000_NS6detail17trampoline_kernelINS0_14default_configENS1_25partition_config_selectorILNS1_17partition_subalgoE5ElNS0_10empty_typeEbEEZZNS1_14partition_implILS5_5ELb0ES3_mN6hipcub16HIPCUB_304000_NS21CountingInputIteratorIllEEPS6_NSA_22TransformInputIteratorIb7NonZeroIfEPflEENS0_5tupleIJPlS6_EEENSJ_IJSD_SD_EEES6_SK_JS6_EEE10hipError_tPvRmT3_T4_T5_T6_T7_T9_mT8_P12ihipStream_tbDpT10_ENKUlT_T0_E_clISt17integral_constantIbLb1EES16_EEDaS11_S12_EUlS11_E_NS1_11comp_targetILNS1_3genE9ELNS1_11target_archE1100ELNS1_3gpuE3ELNS1_3repE0EEENS1_30default_config_static_selectorELNS0_4arch9wavefront6targetE0EEEvT1_,comdat
	.protected	_ZN7rocprim17ROCPRIM_400000_NS6detail17trampoline_kernelINS0_14default_configENS1_25partition_config_selectorILNS1_17partition_subalgoE5ElNS0_10empty_typeEbEEZZNS1_14partition_implILS5_5ELb0ES3_mN6hipcub16HIPCUB_304000_NS21CountingInputIteratorIllEEPS6_NSA_22TransformInputIteratorIb7NonZeroIfEPflEENS0_5tupleIJPlS6_EEENSJ_IJSD_SD_EEES6_SK_JS6_EEE10hipError_tPvRmT3_T4_T5_T6_T7_T9_mT8_P12ihipStream_tbDpT10_ENKUlT_T0_E_clISt17integral_constantIbLb1EES16_EEDaS11_S12_EUlS11_E_NS1_11comp_targetILNS1_3genE9ELNS1_11target_archE1100ELNS1_3gpuE3ELNS1_3repE0EEENS1_30default_config_static_selectorELNS0_4arch9wavefront6targetE0EEEvT1_ ; -- Begin function _ZN7rocprim17ROCPRIM_400000_NS6detail17trampoline_kernelINS0_14default_configENS1_25partition_config_selectorILNS1_17partition_subalgoE5ElNS0_10empty_typeEbEEZZNS1_14partition_implILS5_5ELb0ES3_mN6hipcub16HIPCUB_304000_NS21CountingInputIteratorIllEEPS6_NSA_22TransformInputIteratorIb7NonZeroIfEPflEENS0_5tupleIJPlS6_EEENSJ_IJSD_SD_EEES6_SK_JS6_EEE10hipError_tPvRmT3_T4_T5_T6_T7_T9_mT8_P12ihipStream_tbDpT10_ENKUlT_T0_E_clISt17integral_constantIbLb1EES16_EEDaS11_S12_EUlS11_E_NS1_11comp_targetILNS1_3genE9ELNS1_11target_archE1100ELNS1_3gpuE3ELNS1_3repE0EEENS1_30default_config_static_selectorELNS0_4arch9wavefront6targetE0EEEvT1_
	.globl	_ZN7rocprim17ROCPRIM_400000_NS6detail17trampoline_kernelINS0_14default_configENS1_25partition_config_selectorILNS1_17partition_subalgoE5ElNS0_10empty_typeEbEEZZNS1_14partition_implILS5_5ELb0ES3_mN6hipcub16HIPCUB_304000_NS21CountingInputIteratorIllEEPS6_NSA_22TransformInputIteratorIb7NonZeroIfEPflEENS0_5tupleIJPlS6_EEENSJ_IJSD_SD_EEES6_SK_JS6_EEE10hipError_tPvRmT3_T4_T5_T6_T7_T9_mT8_P12ihipStream_tbDpT10_ENKUlT_T0_E_clISt17integral_constantIbLb1EES16_EEDaS11_S12_EUlS11_E_NS1_11comp_targetILNS1_3genE9ELNS1_11target_archE1100ELNS1_3gpuE3ELNS1_3repE0EEENS1_30default_config_static_selectorELNS0_4arch9wavefront6targetE0EEEvT1_
	.p2align	8
	.type	_ZN7rocprim17ROCPRIM_400000_NS6detail17trampoline_kernelINS0_14default_configENS1_25partition_config_selectorILNS1_17partition_subalgoE5ElNS0_10empty_typeEbEEZZNS1_14partition_implILS5_5ELb0ES3_mN6hipcub16HIPCUB_304000_NS21CountingInputIteratorIllEEPS6_NSA_22TransformInputIteratorIb7NonZeroIfEPflEENS0_5tupleIJPlS6_EEENSJ_IJSD_SD_EEES6_SK_JS6_EEE10hipError_tPvRmT3_T4_T5_T6_T7_T9_mT8_P12ihipStream_tbDpT10_ENKUlT_T0_E_clISt17integral_constantIbLb1EES16_EEDaS11_S12_EUlS11_E_NS1_11comp_targetILNS1_3genE9ELNS1_11target_archE1100ELNS1_3gpuE3ELNS1_3repE0EEENS1_30default_config_static_selectorELNS0_4arch9wavefront6targetE0EEEvT1_,@function
_ZN7rocprim17ROCPRIM_400000_NS6detail17trampoline_kernelINS0_14default_configENS1_25partition_config_selectorILNS1_17partition_subalgoE5ElNS0_10empty_typeEbEEZZNS1_14partition_implILS5_5ELb0ES3_mN6hipcub16HIPCUB_304000_NS21CountingInputIteratorIllEEPS6_NSA_22TransformInputIteratorIb7NonZeroIfEPflEENS0_5tupleIJPlS6_EEENSJ_IJSD_SD_EEES6_SK_JS6_EEE10hipError_tPvRmT3_T4_T5_T6_T7_T9_mT8_P12ihipStream_tbDpT10_ENKUlT_T0_E_clISt17integral_constantIbLb1EES16_EEDaS11_S12_EUlS11_E_NS1_11comp_targetILNS1_3genE9ELNS1_11target_archE1100ELNS1_3gpuE3ELNS1_3repE0EEENS1_30default_config_static_selectorELNS0_4arch9wavefront6targetE0EEEvT1_: ; @_ZN7rocprim17ROCPRIM_400000_NS6detail17trampoline_kernelINS0_14default_configENS1_25partition_config_selectorILNS1_17partition_subalgoE5ElNS0_10empty_typeEbEEZZNS1_14partition_implILS5_5ELb0ES3_mN6hipcub16HIPCUB_304000_NS21CountingInputIteratorIllEEPS6_NSA_22TransformInputIteratorIb7NonZeroIfEPflEENS0_5tupleIJPlS6_EEENSJ_IJSD_SD_EEES6_SK_JS6_EEE10hipError_tPvRmT3_T4_T5_T6_T7_T9_mT8_P12ihipStream_tbDpT10_ENKUlT_T0_E_clISt17integral_constantIbLb1EES16_EEDaS11_S12_EUlS11_E_NS1_11comp_targetILNS1_3genE9ELNS1_11target_archE1100ELNS1_3gpuE3ELNS1_3repE0EEENS1_30default_config_static_selectorELNS0_4arch9wavefront6targetE0EEEvT1_
; %bb.0:
	s_clause 0x4
	s_load_b64 s[18:19], s[0:1], 0x20
	s_load_b64 s[12:13], s[0:1], 0x30
	s_load_b64 s[16:17], s[0:1], 0x58
	s_load_b128 s[4:7], s[0:1], 0x48
	s_load_b64 s[14:15], s[0:1], 0x68
	v_cmp_eq_u32_e64 s2, 0, v0
	s_delay_alu instid0(VALU_DEP_1)
	s_and_saveexec_b32 s3, s2
	s_cbranch_execz .LBB267_4
; %bb.1:
	s_mov_b32 s9, exec_lo
	s_mov_b32 s8, exec_lo
	v_mbcnt_lo_u32_b32 v1, s9, 0
                                        ; implicit-def: $vgpr2
	s_delay_alu instid0(VALU_DEP_1)
	v_cmpx_eq_u32_e32 0, v1
	s_cbranch_execz .LBB267_3
; %bb.2:
	s_load_b64 s[10:11], s[0:1], 0x78
	s_bcnt1_i32_b32 s9, s9
	s_delay_alu instid0(SALU_CYCLE_1)
	v_dual_mov_b32 v2, 0 :: v_dual_mov_b32 v3, s9
	s_waitcnt lgkmcnt(0)
	global_atomic_add_u32 v2, v2, v3, s[10:11] glc
.LBB267_3:
	s_or_b32 exec_lo, exec_lo, s8
	s_waitcnt vmcnt(0)
	v_readfirstlane_b32 s8, v2
	s_delay_alu instid0(VALU_DEP_1)
	v_dual_mov_b32 v2, 0 :: v_dual_add_nc_u32 v1, s8, v1
	ds_store_b32 v2, v1
.LBB267_4:
	s_or_b32 exec_lo, exec_lo, s3
	v_mov_b32_e32 v1, 0
	s_clause 0x1
	s_load_b128 s[8:11], s[0:1], 0x8
	s_load_b32 s0, s[0:1], 0x70
	s_waitcnt lgkmcnt(0)
	s_barrier
	buffer_gl0_inv
	ds_load_b32 v3, v1
	s_waitcnt lgkmcnt(0)
	s_barrier
	buffer_gl0_inv
	global_load_b64 v[1:2], v1, s[6:7]
	s_add_u32 s21, s10, s8
	s_mul_i32 s20, s0, 0x300
	s_addc_u32 s22, s11, s9
	s_add_i32 s3, s0, -1
	s_add_u32 s0, s10, s20
	v_readfirstlane_b32 s9, v3
	s_addc_u32 s1, s11, 0
	s_delay_alu instid0(SALU_CYCLE_1) | instskip(SKIP_1) | instid1(VALU_DEP_2)
	v_cmp_ge_u64_e64 s0, s[0:1], s[16:17]
	s_mov_b32 s17, -1
	s_cmp_eq_u32 s9, s3
	s_cselect_b32 s3, -1, 0
	s_delay_alu instid0(VALU_DEP_1) | instid1(SALU_CYCLE_1)
	s_and_b32 s1, s0, s3
	s_mul_i32 s0, s9, 0x300
	s_xor_b32 s8, s1, -1
	s_mov_b32 s1, 0
	s_and_b32 vcc_lo, exec_lo, s8
	s_waitcnt vmcnt(0)
	v_readfirstlane_b32 s6, v1
	v_readfirstlane_b32 s7, v2
	s_cbranch_vccz .LBB267_6
; %bb.5:
	s_add_u32 s17, s0, s21
	s_addc_u32 s23, 0, s22
	v_add_co_u32 v1, s17, s17, v0
	s_delay_alu instid0(VALU_DEP_1) | instskip(SKIP_1) | instid1(VALU_DEP_3)
	v_add_co_ci_u32_e64 v2, null, s23, 0, s17
	v_lshlrev_b32_e32 v13, 3, v0
	v_add_co_u32 v3, vcc_lo, 0x80, v1
	s_delay_alu instid0(VALU_DEP_3)
	v_add_co_ci_u32_e32 v4, vcc_lo, 0, v2, vcc_lo
	v_add_co_u32 v5, vcc_lo, 0x100, v1
	v_add_co_ci_u32_e32 v6, vcc_lo, 0, v2, vcc_lo
	v_add_co_u32 v7, vcc_lo, 0x180, v1
	;; [unrolled: 2-line block ×4, first 2 shown]
	v_add_co_ci_u32_e32 v12, vcc_lo, 0, v2, vcc_lo
	ds_store_2addr_stride64_b64 v13, v[1:2], v[3:4] offset1:2
	ds_store_2addr_stride64_b64 v13, v[5:6], v[7:8] offset0:4 offset1:6
	ds_store_2addr_stride64_b64 v13, v[9:10], v[11:12] offset0:8 offset1:10
	s_waitcnt lgkmcnt(0)
	s_mov_b32 s17, s1
	s_barrier
.LBB267_6:
	v_or_b32_e32 v17, 0x100, v0
	v_or_b32_e32 v16, 0x180, v0
	;; [unrolled: 1-line block ×4, first 2 shown]
	s_and_not1_b32 vcc_lo, exec_lo, s17
	s_cbranch_vccnz .LBB267_8
; %bb.7:
	v_or_b32_e32 v3, 0x80, v0
	s_add_u32 s17, s21, s0
	s_addc_u32 s21, s22, 0
	v_add_co_u32 v1, s22, s17, v0
	s_delay_alu instid0(VALU_DEP_1) | instskip(SKIP_1) | instid1(VALU_DEP_1)
	v_add_co_ci_u32_e64 v2, null, s21, 0, s22
	v_add_co_u32 v3, s22, s17, v3
	v_add_co_ci_u32_e64 v4, null, s21, 0, s22
	v_add_co_u32 v5, s22, s17, v17
	s_delay_alu instid0(VALU_DEP_1) | instskip(SKIP_1) | instid1(VALU_DEP_1)
	v_add_co_ci_u32_e64 v6, null, s21, 0, s22
	v_add_co_u32 v7, s22, s17, v16
	v_add_co_ci_u32_e64 v8, null, s21, 0, s22
	v_add_co_u32 v9, s22, s17, v14
	v_lshlrev_b32_e32 v15, 3, v0
	v_add_co_u32 v11, s17, s17, v13
	v_add_co_ci_u32_e64 v10, null, s21, 0, s22
	v_add_co_ci_u32_e64 v12, null, s21, 0, s17
	ds_store_2addr_stride64_b64 v15, v[1:2], v[3:4] offset1:2
	ds_store_2addr_stride64_b64 v15, v[5:6], v[7:8] offset0:4 offset1:6
	ds_store_2addr_stride64_b64 v15, v[9:10], v[11:12] offset0:8 offset1:10
	s_waitcnt lgkmcnt(0)
	s_barrier
.LBB267_8:
	v_mul_u32_u24_e32 v1, 6, v0
	buffer_gl0_inv
	s_lshl_b64 s[22:23], s[10:11], 2
	s_delay_alu instid0(SALU_CYCLE_1)
	s_add_u32 s11, s18, s22
	v_lshlrev_b32_e32 v15, 3, v1
	s_addc_u32 s17, s19, s23
	s_lshl_b64 s[0:1], s[0:1], 2
	ds_load_b128 v[9:12], v15
	ds_load_b128 v[5:8], v15 offset:16
	ds_load_b128 v[1:4], v15 offset:32
	s_add_u32 s0, s11, s0
	s_addc_u32 s1, s17, s1
	s_and_b32 vcc_lo, exec_lo, s8
	s_mov_b32 s11, -1
	s_waitcnt lgkmcnt(0)
	s_barrier
	buffer_gl0_inv
	s_cbranch_vccz .LBB267_10
; %bb.9:
	v_lshlrev_b32_e32 v18, 2, v0
	s_mov_b32 s11, 0
	s_clause 0x5
	global_load_b32 v19, v18, s[0:1]
	global_load_b32 v20, v18, s[0:1] offset:512
	global_load_b32 v21, v18, s[0:1] offset:1024
	;; [unrolled: 1-line block ×5, first 2 shown]
	s_waitcnt vmcnt(5)
	v_cmp_neq_f32_e32 vcc_lo, 0, v19
	v_cndmask_b32_e64 v19, 0, 1, vcc_lo
	s_waitcnt vmcnt(4)
	v_cmp_neq_f32_e32 vcc_lo, 0, v20
	v_cndmask_b32_e64 v20, 0, 1, vcc_lo
	;; [unrolled: 3-line block ×6, first 2 shown]
	ds_store_b8 v0, v19
	ds_store_b8 v0, v20 offset:128
	ds_store_b8 v0, v21 offset:256
	;; [unrolled: 1-line block ×5, first 2 shown]
	s_waitcnt lgkmcnt(0)
	s_barrier
.LBB267_10:
	s_and_not1_b32 vcc_lo, exec_lo, s11
	s_cbranch_vccnz .LBB267_24
; %bb.11:
	s_add_i32 s20, s20, s10
	v_dual_mov_b32 v18, 0 :: v_dual_mov_b32 v19, 0
	s_sub_i32 s10, s16, s20
	s_mov_b32 s11, exec_lo
	s_addk_i32 s10, 0x300
	s_delay_alu instid0(SALU_CYCLE_1)
	v_cmpx_gt_u32_e64 s10, v0
	s_cbranch_execz .LBB267_13
; %bb.12:
	v_lshlrev_b32_e32 v19, 2, v0
	global_load_b32 v19, v19, s[0:1]
	s_waitcnt vmcnt(0)
	v_cmp_neq_f32_e32 vcc_lo, 0, v19
	v_cndmask_b32_e64 v19, 0, 1, vcc_lo
.LBB267_13:
	s_or_b32 exec_lo, exec_lo, s11
	v_or_b32_e32 v20, 0x80, v0
	s_mov_b32 s11, exec_lo
	s_delay_alu instid0(VALU_DEP_1)
	v_cmpx_gt_u32_e64 s10, v20
	s_cbranch_execz .LBB267_15
; %bb.14:
	v_lshlrev_b32_e32 v18, 2, v0
	global_load_b32 v18, v18, s[0:1] offset:512
	s_waitcnt vmcnt(0)
	v_cmp_neq_f32_e32 vcc_lo, 0, v18
	v_cndmask_b32_e64 v18, 0, 1, vcc_lo
.LBB267_15:
	s_or_b32 exec_lo, exec_lo, s11
	v_cmp_gt_u32_e32 vcc_lo, s10, v17
	v_dual_mov_b32 v17, 0 :: v_dual_mov_b32 v20, 0
	s_and_saveexec_b32 s11, vcc_lo
	s_cbranch_execz .LBB267_17
; %bb.16:
	v_lshlrev_b32_e32 v20, 2, v0
	global_load_b32 v20, v20, s[0:1] offset:1024
	s_waitcnt vmcnt(0)
	v_cmp_neq_f32_e32 vcc_lo, 0, v20
	v_cndmask_b32_e64 v20, 0, 1, vcc_lo
.LBB267_17:
	s_or_b32 exec_lo, exec_lo, s11
	s_delay_alu instid0(SALU_CYCLE_1)
	s_mov_b32 s11, exec_lo
	v_cmpx_gt_u32_e64 s10, v16
	s_cbranch_execz .LBB267_19
; %bb.18:
	v_lshlrev_b32_e32 v16, 2, v0
	global_load_b32 v16, v16, s[0:1] offset:1536
	s_waitcnt vmcnt(0)
	v_cmp_neq_f32_e32 vcc_lo, 0, v16
	v_cndmask_b32_e64 v17, 0, 1, vcc_lo
.LBB267_19:
	s_or_b32 exec_lo, exec_lo, s11
	v_cmp_gt_u32_e32 vcc_lo, s10, v14
	v_mov_b32_e32 v14, 0
	v_mov_b32_e32 v16, 0
	s_and_saveexec_b32 s11, vcc_lo
	s_cbranch_execz .LBB267_21
; %bb.20:
	v_lshlrev_b32_e32 v16, 2, v0
	global_load_b32 v16, v16, s[0:1] offset:2048
	s_waitcnt vmcnt(0)
	v_cmp_neq_f32_e32 vcc_lo, 0, v16
	v_cndmask_b32_e64 v16, 0, 1, vcc_lo
.LBB267_21:
	s_or_b32 exec_lo, exec_lo, s11
	v_cmp_gt_u32_e32 vcc_lo, s10, v13
	s_and_saveexec_b32 s10, vcc_lo
	s_cbranch_execz .LBB267_23
; %bb.22:
	v_lshlrev_b32_e32 v13, 2, v0
	global_load_b32 v13, v13, s[0:1] offset:2560
	s_waitcnt vmcnt(0)
	v_cmp_neq_f32_e32 vcc_lo, 0, v13
	v_cndmask_b32_e64 v14, 0, 1, vcc_lo
.LBB267_23:
	s_or_b32 exec_lo, exec_lo, s10
	ds_store_b8 v0, v19
	ds_store_b8 v0, v18 offset:128
	ds_store_b8 v0, v20 offset:256
	;; [unrolled: 1-line block ×5, first 2 shown]
	s_waitcnt lgkmcnt(0)
	s_barrier
.LBB267_24:
	v_mad_i32_i24 v43, 0xffffffd6, v0, v15
	buffer_gl0_inv
	v_mbcnt_lo_u32_b32 v42, -1, 0
	s_cmp_lg_u32 s9, 0
	s_mov_b32 s1, -1
	ds_load_u16 v36, v43
	ds_load_u16 v33, v43 offset:2
	ds_load_u16 v31, v43 offset:4
	v_mov_b32_e32 v14, 0
	v_and_b32_e32 v44, 15, v42
	s_waitcnt lgkmcnt(0)
	s_barrier
	buffer_gl0_inv
	v_and_b32_e32 v41, 0xff, v36
	v_lshrrev_b16 v34, 8, v36
	v_lshrrev_b16 v35, 8, v33
	v_and_b32_e32 v39, 0xff, v33
	v_lshrrev_b16 v32, 8, v31
	v_and_b32_e32 v37, 0xff, v31
	v_and_b32_e32 v40, 0xffff, v34
	;; [unrolled: 1-line block ×3, first 2 shown]
	s_delay_alu instid0(VALU_DEP_4) | instskip(NEXT) | instid1(VALU_DEP_3)
	v_and_b32_e32 v16, 0xffff, v32
	v_add_co_u32 v13, s0, v40, v41
	s_delay_alu instid0(VALU_DEP_1) | instskip(SKIP_1) | instid1(VALU_DEP_3)
	v_add_co_ci_u32_e64 v15, null, 0, 0, s0
	v_cmp_ne_u32_e64 s0, 0, v44
	v_add_co_u32 v13, vcc_lo, v13, v39
	s_delay_alu instid0(VALU_DEP_3) | instskip(NEXT) | instid1(VALU_DEP_2)
	v_add_co_ci_u32_e32 v15, vcc_lo, 0, v15, vcc_lo
	v_add_co_u32 v13, vcc_lo, v13, v38
	s_delay_alu instid0(VALU_DEP_2) | instskip(NEXT) | instid1(VALU_DEP_2)
	v_add_co_ci_u32_e32 v15, vcc_lo, 0, v15, vcc_lo
	v_add_co_u32 v13, vcc_lo, v13, v37
	s_delay_alu instid0(VALU_DEP_2) | instskip(NEXT) | instid1(VALU_DEP_2)
	v_add_co_ci_u32_e32 v15, vcc_lo, 0, v15, vcc_lo
	v_add_co_u32 v21, vcc_lo, v13, v16
	s_delay_alu instid0(VALU_DEP_2)
	v_add_co_ci_u32_e32 v22, vcc_lo, 0, v15, vcc_lo
	s_cbranch_scc0 .LBB267_93
; %bb.25:
	s_delay_alu instid0(VALU_DEP_2)
	v_mov_b32_e32 v15, v21
	v_mov_b32_dpp v13, v21 row_shr:1 row_mask:0xf bank_mask:0xf
	v_mov_b32_dpp v18, v14 row_shr:1 row_mask:0xf bank_mask:0xf
	v_dual_mov_b32 v17, v21 :: v_dual_mov_b32 v16, v22
	s_and_saveexec_b32 s1, s0
; %bb.26:
	s_delay_alu instid0(VALU_DEP_3) | instskip(SKIP_1) | instid1(VALU_DEP_2)
	v_add_co_u32 v17, vcc_lo, v21, v13
	v_add_co_ci_u32_e32 v14, vcc_lo, 0, v22, vcc_lo
	v_add_co_u32 v13, vcc_lo, 0, v17
	s_delay_alu instid0(VALU_DEP_2) | instskip(NEXT) | instid1(VALU_DEP_1)
	v_add_co_ci_u32_e32 v14, vcc_lo, v18, v14, vcc_lo
	v_dual_mov_b32 v16, v14 :: v_dual_mov_b32 v15, v13
; %bb.27:
	s_or_b32 exec_lo, exec_lo, s1
	v_mov_b32_dpp v13, v17 row_shr:2 row_mask:0xf bank_mask:0xf
	v_mov_b32_dpp v18, v14 row_shr:2 row_mask:0xf bank_mask:0xf
	s_mov_b32 s1, exec_lo
	v_cmpx_lt_u32_e32 1, v44
; %bb.28:
	s_delay_alu instid0(VALU_DEP_3) | instskip(SKIP_1) | instid1(VALU_DEP_2)
	v_add_co_u32 v17, vcc_lo, v15, v13
	v_add_co_ci_u32_e32 v14, vcc_lo, 0, v16, vcc_lo
	v_add_co_u32 v13, vcc_lo, 0, v17
	s_delay_alu instid0(VALU_DEP_2) | instskip(NEXT) | instid1(VALU_DEP_1)
	v_add_co_ci_u32_e32 v14, vcc_lo, v18, v14, vcc_lo
	v_dual_mov_b32 v16, v14 :: v_dual_mov_b32 v15, v13
; %bb.29:
	s_or_b32 exec_lo, exec_lo, s1
	v_mov_b32_dpp v13, v17 row_shr:4 row_mask:0xf bank_mask:0xf
	v_mov_b32_dpp v18, v14 row_shr:4 row_mask:0xf bank_mask:0xf
	s_mov_b32 s1, exec_lo
	v_cmpx_lt_u32_e32 3, v44
	;; [unrolled: 14-line block ×3, first 2 shown]
; %bb.32:
	s_delay_alu instid0(VALU_DEP_3) | instskip(SKIP_1) | instid1(VALU_DEP_2)
	v_add_co_u32 v17, vcc_lo, v15, v18
	v_add_co_ci_u32_e32 v14, vcc_lo, 0, v16, vcc_lo
	v_add_co_u32 v15, vcc_lo, 0, v17
	s_delay_alu instid0(VALU_DEP_2) | instskip(NEXT) | instid1(VALU_DEP_1)
	v_add_co_ci_u32_e32 v16, vcc_lo, v13, v14, vcc_lo
	v_mov_b32_e32 v14, v16
; %bb.33:
	s_or_b32 exec_lo, exec_lo, s1
	ds_swizzle_b32 v13, v17 offset:swizzle(BROADCAST,32,15)
	ds_swizzle_b32 v18, v14 offset:swizzle(BROADCAST,32,15)
	v_and_b32_e32 v19, 16, v42
	s_mov_b32 s1, exec_lo
	s_delay_alu instid0(VALU_DEP_1)
	v_cmpx_ne_u32_e32 0, v19
	s_cbranch_execz .LBB267_35
; %bb.34:
	s_waitcnt lgkmcnt(1)
	v_add_co_u32 v17, vcc_lo, v15, v13
	v_add_co_ci_u32_e32 v14, vcc_lo, 0, v16, vcc_lo
	s_delay_alu instid0(VALU_DEP_2) | instskip(SKIP_1) | instid1(VALU_DEP_2)
	v_add_co_u32 v13, vcc_lo, 0, v17
	s_waitcnt lgkmcnt(0)
	v_add_co_ci_u32_e32 v14, vcc_lo, v18, v14, vcc_lo
	s_delay_alu instid0(VALU_DEP_1)
	v_dual_mov_b32 v16, v14 :: v_dual_mov_b32 v15, v13
.LBB267_35:
	s_or_b32 exec_lo, exec_lo, s1
	s_waitcnt lgkmcnt(0)
	v_or_b32_e32 v18, 31, v0
	v_lshrrev_b32_e32 v13, 5, v0
	s_mov_b32 s1, exec_lo
	s_delay_alu instid0(VALU_DEP_2)
	v_cmpx_eq_u32_e64 v18, v0
	s_cbranch_execz .LBB267_37
; %bb.36:
	s_delay_alu instid0(VALU_DEP_2)
	v_lshlrev_b32_e32 v18, 3, v13
	ds_store_b64 v18, v[15:16]
.LBB267_37:
	s_or_b32 exec_lo, exec_lo, s1
	s_delay_alu instid0(SALU_CYCLE_1)
	s_mov_b32 s1, exec_lo
	s_waitcnt lgkmcnt(0)
	s_barrier
	buffer_gl0_inv
	v_cmpx_gt_u32_e32 4, v0
	s_cbranch_execz .LBB267_43
; %bb.38:
	v_lshlrev_b32_e32 v18, 3, v0
	s_mov_b32 s10, exec_lo
	ds_load_b64 v[15:16], v18
	s_waitcnt lgkmcnt(0)
	v_dual_mov_b32 v20, v15 :: v_dual_and_b32 v19, 3, v42
	v_mov_b32_dpp v24, v15 row_shr:1 row_mask:0xf bank_mask:0xf
	v_mov_b32_dpp v23, v16 row_shr:1 row_mask:0xf bank_mask:0xf
	s_delay_alu instid0(VALU_DEP_3)
	v_cmpx_ne_u32_e32 0, v19
; %bb.39:
	s_delay_alu instid0(VALU_DEP_3) | instskip(SKIP_1) | instid1(VALU_DEP_2)
	v_add_co_u32 v20, vcc_lo, v15, v24
	v_add_co_ci_u32_e32 v16, vcc_lo, 0, v16, vcc_lo
	v_add_co_u32 v15, vcc_lo, 0, v20
	s_delay_alu instid0(VALU_DEP_2)
	v_add_co_ci_u32_e32 v16, vcc_lo, v23, v16, vcc_lo
; %bb.40:
	s_or_b32 exec_lo, exec_lo, s10
	v_mov_b32_dpp v23, v20 row_shr:2 row_mask:0xf bank_mask:0xf
	s_delay_alu instid0(VALU_DEP_2)
	v_mov_b32_dpp v20, v16 row_shr:2 row_mask:0xf bank_mask:0xf
	s_mov_b32 s10, exec_lo
	v_cmpx_lt_u32_e32 1, v19
; %bb.41:
	s_delay_alu instid0(VALU_DEP_3) | instskip(SKIP_1) | instid1(VALU_DEP_2)
	v_add_co_u32 v15, vcc_lo, v15, v23
	v_add_co_ci_u32_e32 v16, vcc_lo, 0, v16, vcc_lo
	v_add_co_u32 v15, vcc_lo, v15, 0
	s_delay_alu instid0(VALU_DEP_2)
	v_add_co_ci_u32_e32 v16, vcc_lo, v16, v20, vcc_lo
; %bb.42:
	s_or_b32 exec_lo, exec_lo, s10
	ds_store_b64 v18, v[15:16]
.LBB267_43:
	s_or_b32 exec_lo, exec_lo, s1
	v_cmp_gt_u32_e32 vcc_lo, 32, v0
	s_mov_b32 s10, exec_lo
	s_waitcnt lgkmcnt(0)
	s_barrier
	buffer_gl0_inv
                                        ; implicit-def: $vgpr23_vgpr24
	v_cmpx_lt_u32_e32 31, v0
	s_cbranch_execz .LBB267_45
; %bb.44:
	v_lshl_add_u32 v13, v13, 3, -8
	ds_load_b64 v[23:24], v13
	s_waitcnt lgkmcnt(0)
	v_add_co_u32 v17, s1, v17, v23
	s_delay_alu instid0(VALU_DEP_1)
	v_add_co_ci_u32_e64 v14, s1, v14, v24, s1
.LBB267_45:
	s_or_b32 exec_lo, exec_lo, s10
	v_add_nc_u32_e32 v13, -1, v42
	s_delay_alu instid0(VALU_DEP_1) | instskip(NEXT) | instid1(VALU_DEP_1)
	v_cmp_gt_i32_e64 s1, 0, v13
	v_cndmask_b32_e64 v13, v13, v42, s1
	v_cmp_eq_u32_e64 s1, 0, v42
	s_delay_alu instid0(VALU_DEP_2)
	v_lshlrev_b32_e32 v13, 2, v13
	ds_bpermute_b32 v29, v13, v17
	ds_bpermute_b32 v30, v13, v14
	s_and_saveexec_b32 s10, vcc_lo
	s_cbranch_execz .LBB267_88
; %bb.46:
	v_mov_b32_e32 v16, 0
	ds_load_b64 v[13:14], v16 offset:24
	s_and_saveexec_b32 s11, s1
	s_cbranch_execz .LBB267_48
; %bb.47:
	s_add_i32 s16, s9, 32
	s_mov_b32 s17, 0
	s_delay_alu instid0(SALU_CYCLE_1) | instskip(NEXT) | instid1(SALU_CYCLE_1)
	s_lshl_b64 s[16:17], s[16:17], 4
	s_add_u32 s16, s14, s16
	s_addc_u32 s17, s15, s17
	s_delay_alu instid0(SALU_CYCLE_1)
	v_dual_mov_b32 v15, 1 :: v_dual_mov_b32 v18, s17
	v_mov_b32_e32 v17, s16
	s_waitcnt lgkmcnt(0)
	;;#ASMSTART
	global_store_dwordx4 v[17:18], v[13:16] off	
s_waitcnt vmcnt(0)
	;;#ASMEND
.LBB267_48:
	s_or_b32 exec_lo, exec_lo, s11
	v_xad_u32 v25, v42, -1, s9
	s_mov_b32 s16, 0
	s_mov_b32 s11, exec_lo
	s_delay_alu instid0(VALU_DEP_1) | instskip(NEXT) | instid1(VALU_DEP_1)
	v_add_nc_u32_e32 v15, 32, v25
	v_lshlrev_b64 v[15:16], 4, v[15:16]
	s_delay_alu instid0(VALU_DEP_1) | instskip(NEXT) | instid1(VALU_DEP_2)
	v_add_co_u32 v15, vcc_lo, s14, v15
	v_add_co_ci_u32_e32 v16, vcc_lo, s15, v16, vcc_lo
	;;#ASMSTART
	global_load_dwordx4 v[17:20], v[15:16] off glc	
s_waitcnt vmcnt(0)
	;;#ASMEND
	v_and_b32_e32 v20, 0xff, v18
	v_and_b32_e32 v26, 0xff00, v18
	;; [unrolled: 1-line block ×3, first 2 shown]
	v_or3_b32 v17, v17, 0, 0
	v_and_b32_e32 v18, 0xff000000, v18
	s_delay_alu instid0(VALU_DEP_4) | instskip(SKIP_1) | instid1(VALU_DEP_4)
	v_or3_b32 v20, 0, v20, v26
	v_and_b32_e32 v26, 0xff, v19
	v_or3_b32 v17, v17, 0, 0
	s_delay_alu instid0(VALU_DEP_3) | instskip(NEXT) | instid1(VALU_DEP_3)
	v_or3_b32 v18, v20, v27, v18
	v_cmpx_eq_u16_e32 0, v26
	s_cbranch_execz .LBB267_54
; %bb.49:
	s_mov_b32 s17, 1
	.p2align	6
.LBB267_50:                             ; =>This Loop Header: Depth=1
                                        ;     Child Loop BB267_51 Depth 2
	s_delay_alu instid0(SALU_CYCLE_1)
	s_max_u32 s18, s17, 1
.LBB267_51:                             ;   Parent Loop BB267_50 Depth=1
                                        ; =>  This Inner Loop Header: Depth=2
	s_delay_alu instid0(SALU_CYCLE_1)
	s_add_i32 s18, s18, -1
	s_sleep 1
	s_cmp_eq_u32 s18, 0
	s_cbranch_scc0 .LBB267_51
; %bb.52:                               ;   in Loop: Header=BB267_50 Depth=1
	;;#ASMSTART
	global_load_dwordx4 v[17:20], v[15:16] off glc	
s_waitcnt vmcnt(0)
	;;#ASMEND
	v_and_b32_e32 v20, 0xff, v19
	s_cmp_lt_u32 s17, 32
	s_cselect_b32 s18, -1, 0
	s_delay_alu instid0(SALU_CYCLE_1) | instskip(NEXT) | instid1(VALU_DEP_1)
	s_cmp_lg_u32 s18, 0
	v_cmp_ne_u16_e32 vcc_lo, 0, v20
	s_addc_u32 s17, s17, 0
	s_or_b32 s16, vcc_lo, s16
	s_delay_alu instid0(SALU_CYCLE_1)
	s_and_not1_b32 exec_lo, exec_lo, s16
	s_cbranch_execnz .LBB267_50
; %bb.53:
	s_or_b32 exec_lo, exec_lo, s16
.LBB267_54:
	s_delay_alu instid0(SALU_CYCLE_1)
	s_or_b32 exec_lo, exec_lo, s11
	v_cmp_ne_u32_e32 vcc_lo, 31, v42
	v_and_b32_e32 v16, 0xff, v19
	v_lshlrev_b32_e64 v46, v42, -1
	s_mov_b32 s11, exec_lo
	v_add_co_ci_u32_e32 v15, vcc_lo, 0, v42, vcc_lo
	s_delay_alu instid0(VALU_DEP_3) | instskip(NEXT) | instid1(VALU_DEP_2)
	v_cmp_eq_u16_e32 vcc_lo, 2, v16
	v_dual_mov_b32 v16, v17 :: v_dual_lshlrev_b32 v45, 2, v15
	v_and_or_b32 v15, vcc_lo, v46, 0x80000000
	ds_bpermute_b32 v26, v45, v17
	ds_bpermute_b32 v20, v45, v18
	v_ctz_i32_b32_e32 v15, v15
	s_delay_alu instid0(VALU_DEP_1)
	v_cmpx_lt_u32_e64 v42, v15
	s_cbranch_execz .LBB267_56
; %bb.55:
	s_waitcnt lgkmcnt(1)
	v_add_co_u32 v16, vcc_lo, v17, v26
	v_add_co_ci_u32_e32 v18, vcc_lo, 0, v18, vcc_lo
	s_delay_alu instid0(VALU_DEP_2) | instskip(SKIP_1) | instid1(VALU_DEP_2)
	v_add_co_u32 v17, vcc_lo, 0, v16
	s_waitcnt lgkmcnt(0)
	v_add_co_ci_u32_e32 v18, vcc_lo, v20, v18, vcc_lo
.LBB267_56:
	s_or_b32 exec_lo, exec_lo, s11
	v_cmp_gt_u32_e32 vcc_lo, 30, v42
	v_add_nc_u32_e32 v48, 2, v42
	s_mov_b32 s11, exec_lo
	s_waitcnt lgkmcnt(0)
	v_cndmask_b32_e64 v20, 0, 1, vcc_lo
	s_delay_alu instid0(VALU_DEP_1) | instskip(NEXT) | instid1(VALU_DEP_1)
	v_lshlrev_b32_e32 v20, 1, v20
	v_add_lshl_u32 v47, v20, v42, 2
	ds_bpermute_b32 v26, v47, v16
	ds_bpermute_b32 v20, v47, v18
	v_cmpx_le_u32_e64 v48, v15
	s_cbranch_execz .LBB267_58
; %bb.57:
	s_waitcnt lgkmcnt(1)
	v_add_co_u32 v16, vcc_lo, v17, v26
	v_add_co_ci_u32_e32 v18, vcc_lo, 0, v18, vcc_lo
	s_delay_alu instid0(VALU_DEP_2) | instskip(SKIP_1) | instid1(VALU_DEP_2)
	v_add_co_u32 v17, vcc_lo, 0, v16
	s_waitcnt lgkmcnt(0)
	v_add_co_ci_u32_e32 v18, vcc_lo, v20, v18, vcc_lo
.LBB267_58:
	s_or_b32 exec_lo, exec_lo, s11
	v_cmp_gt_u32_e32 vcc_lo, 28, v42
	v_add_nc_u32_e32 v50, 4, v42
	s_mov_b32 s11, exec_lo
	s_waitcnt lgkmcnt(0)
	v_cndmask_b32_e64 v20, 0, 1, vcc_lo
	s_delay_alu instid0(VALU_DEP_1) | instskip(NEXT) | instid1(VALU_DEP_1)
	v_lshlrev_b32_e32 v20, 2, v20
	v_add_lshl_u32 v49, v20, v42, 2
	ds_bpermute_b32 v26, v49, v16
	ds_bpermute_b32 v20, v49, v18
	v_cmpx_le_u32_e64 v50, v15
	;; [unrolled: 22-line block ×4, first 2 shown]
	s_cbranch_execz .LBB267_64
; %bb.63:
	s_waitcnt lgkmcnt(1)
	v_add_co_u32 v15, vcc_lo, v17, v20
	v_add_co_ci_u32_e32 v18, vcc_lo, 0, v18, vcc_lo
	s_delay_alu instid0(VALU_DEP_2) | instskip(SKIP_1) | instid1(VALU_DEP_2)
	v_add_co_u32 v17, vcc_lo, v15, 0
	s_waitcnt lgkmcnt(0)
	v_add_co_ci_u32_e32 v18, vcc_lo, v18, v16, vcc_lo
.LBB267_64:
	s_or_b32 exec_lo, exec_lo, s11
	v_mov_b32_e32 v26, 0
	s_branch .LBB267_66
.LBB267_65:                             ;   in Loop: Header=BB267_66 Depth=1
	s_or_b32 exec_lo, exec_lo, s11
	v_add_co_u32 v17, vcc_lo, v17, v15
	v_subrev_nc_u32_e32 v25, 32, v25
	v_add_co_ci_u32_e32 v18, vcc_lo, v18, v16, vcc_lo
.LBB267_66:                             ; =>This Loop Header: Depth=1
                                        ;     Child Loop BB267_69 Depth 2
                                        ;       Child Loop BB267_70 Depth 3
	v_and_b32_e32 v15, 0xff, v19
	s_delay_alu instid0(VALU_DEP_1) | instskip(SKIP_2) | instid1(VALU_DEP_1)
	v_cmp_ne_u16_e32 vcc_lo, 2, v15
	v_cndmask_b32_e64 v15, 0, 1, vcc_lo
	;;#ASMSTART
	;;#ASMEND
	v_cmp_ne_u32_e32 vcc_lo, 0, v15
	s_waitcnt lgkmcnt(0)
	v_dual_mov_b32 v15, v17 :: v_dual_mov_b32 v16, v18
	s_cmp_lg_u32 vcc_lo, exec_lo
	s_cbranch_scc1 .LBB267_83
; %bb.67:                               ;   in Loop: Header=BB267_66 Depth=1
	v_lshlrev_b64 v[17:18], 4, v[25:26]
	s_mov_b32 s11, exec_lo
	s_delay_alu instid0(VALU_DEP_1) | instskip(NEXT) | instid1(VALU_DEP_2)
	v_add_co_u32 v27, vcc_lo, s14, v17
	v_add_co_ci_u32_e32 v28, vcc_lo, s15, v18, vcc_lo
	;;#ASMSTART
	global_load_dwordx4 v[17:20], v[27:28] off glc	
s_waitcnt vmcnt(0)
	;;#ASMEND
	v_and_b32_e32 v20, 0xff, v18
	v_and_b32_e32 v55, 0xff00, v18
	;; [unrolled: 1-line block ×3, first 2 shown]
	v_or3_b32 v17, v17, 0, 0
	v_and_b32_e32 v18, 0xff000000, v18
	s_delay_alu instid0(VALU_DEP_4) | instskip(SKIP_1) | instid1(VALU_DEP_4)
	v_or3_b32 v20, 0, v20, v55
	v_and_b32_e32 v55, 0xff, v19
	v_or3_b32 v17, v17, 0, 0
	s_delay_alu instid0(VALU_DEP_3) | instskip(NEXT) | instid1(VALU_DEP_3)
	v_or3_b32 v18, v20, v56, v18
	v_cmpx_eq_u16_e32 0, v55
	s_cbranch_execz .LBB267_73
; %bb.68:                               ;   in Loop: Header=BB267_66 Depth=1
	s_mov_b32 s17, 1
	s_mov_b32 s16, 0
	.p2align	6
.LBB267_69:                             ;   Parent Loop BB267_66 Depth=1
                                        ; =>  This Loop Header: Depth=2
                                        ;       Child Loop BB267_70 Depth 3
	s_max_u32 s18, s17, 1
.LBB267_70:                             ;   Parent Loop BB267_66 Depth=1
                                        ;     Parent Loop BB267_69 Depth=2
                                        ; =>    This Inner Loop Header: Depth=3
	s_delay_alu instid0(SALU_CYCLE_1)
	s_add_i32 s18, s18, -1
	s_sleep 1
	s_cmp_eq_u32 s18, 0
	s_cbranch_scc0 .LBB267_70
; %bb.71:                               ;   in Loop: Header=BB267_69 Depth=2
	;;#ASMSTART
	global_load_dwordx4 v[17:20], v[27:28] off glc	
s_waitcnt vmcnt(0)
	;;#ASMEND
	v_and_b32_e32 v20, 0xff, v19
	s_cmp_lt_u32 s17, 32
	s_cselect_b32 s18, -1, 0
	s_delay_alu instid0(SALU_CYCLE_1) | instskip(NEXT) | instid1(VALU_DEP_1)
	s_cmp_lg_u32 s18, 0
	v_cmp_ne_u16_e32 vcc_lo, 0, v20
	s_addc_u32 s17, s17, 0
	s_or_b32 s16, vcc_lo, s16
	s_delay_alu instid0(SALU_CYCLE_1)
	s_and_not1_b32 exec_lo, exec_lo, s16
	s_cbranch_execnz .LBB267_69
; %bb.72:                               ;   in Loop: Header=BB267_66 Depth=1
	s_or_b32 exec_lo, exec_lo, s16
.LBB267_73:                             ;   in Loop: Header=BB267_66 Depth=1
	s_delay_alu instid0(SALU_CYCLE_1)
	s_or_b32 exec_lo, exec_lo, s11
	v_dual_mov_b32 v27, v17 :: v_dual_and_b32 v20, 0xff, v19
	ds_bpermute_b32 v55, v45, v17
	ds_bpermute_b32 v28, v45, v18
	s_mov_b32 s11, exec_lo
	v_cmp_eq_u16_e32 vcc_lo, 2, v20
	v_and_or_b32 v20, vcc_lo, v46, 0x80000000
	s_delay_alu instid0(VALU_DEP_1) | instskip(NEXT) | instid1(VALU_DEP_1)
	v_ctz_i32_b32_e32 v20, v20
	v_cmpx_lt_u32_e64 v42, v20
	s_cbranch_execz .LBB267_75
; %bb.74:                               ;   in Loop: Header=BB267_66 Depth=1
	s_waitcnt lgkmcnt(1)
	v_add_co_u32 v27, vcc_lo, v17, v55
	v_add_co_ci_u32_e32 v18, vcc_lo, 0, v18, vcc_lo
	s_delay_alu instid0(VALU_DEP_2) | instskip(SKIP_1) | instid1(VALU_DEP_2)
	v_add_co_u32 v17, vcc_lo, 0, v27
	s_waitcnt lgkmcnt(0)
	v_add_co_ci_u32_e32 v18, vcc_lo, v28, v18, vcc_lo
.LBB267_75:                             ;   in Loop: Header=BB267_66 Depth=1
	s_or_b32 exec_lo, exec_lo, s11
	s_waitcnt lgkmcnt(1)
	ds_bpermute_b32 v55, v47, v27
	s_waitcnt lgkmcnt(1)
	ds_bpermute_b32 v28, v47, v18
	s_mov_b32 s11, exec_lo
	v_cmpx_le_u32_e64 v48, v20
	s_cbranch_execz .LBB267_77
; %bb.76:                               ;   in Loop: Header=BB267_66 Depth=1
	s_waitcnt lgkmcnt(1)
	v_add_co_u32 v27, vcc_lo, v17, v55
	v_add_co_ci_u32_e32 v18, vcc_lo, 0, v18, vcc_lo
	s_delay_alu instid0(VALU_DEP_2) | instskip(SKIP_1) | instid1(VALU_DEP_2)
	v_add_co_u32 v17, vcc_lo, 0, v27
	s_waitcnt lgkmcnt(0)
	v_add_co_ci_u32_e32 v18, vcc_lo, v28, v18, vcc_lo
.LBB267_77:                             ;   in Loop: Header=BB267_66 Depth=1
	s_or_b32 exec_lo, exec_lo, s11
	s_waitcnt lgkmcnt(1)
	ds_bpermute_b32 v55, v49, v27
	s_waitcnt lgkmcnt(1)
	ds_bpermute_b32 v28, v49, v18
	s_mov_b32 s11, exec_lo
	v_cmpx_le_u32_e64 v50, v20
	;; [unrolled: 17-line block ×3, first 2 shown]
	s_cbranch_execz .LBB267_81
; %bb.80:                               ;   in Loop: Header=BB267_66 Depth=1
	s_waitcnt lgkmcnt(1)
	v_add_co_u32 v27, vcc_lo, v17, v55
	v_add_co_ci_u32_e32 v18, vcc_lo, 0, v18, vcc_lo
	s_delay_alu instid0(VALU_DEP_2) | instskip(SKIP_1) | instid1(VALU_DEP_2)
	v_add_co_u32 v17, vcc_lo, 0, v27
	s_waitcnt lgkmcnt(0)
	v_add_co_ci_u32_e32 v18, vcc_lo, v28, v18, vcc_lo
.LBB267_81:                             ;   in Loop: Header=BB267_66 Depth=1
	s_or_b32 exec_lo, exec_lo, s11
	s_waitcnt lgkmcnt(0)
	ds_bpermute_b32 v28, v53, v27
	ds_bpermute_b32 v27, v53, v18
	s_mov_b32 s11, exec_lo
	v_cmpx_le_u32_e64 v54, v20
	s_cbranch_execz .LBB267_65
; %bb.82:                               ;   in Loop: Header=BB267_66 Depth=1
	s_waitcnt lgkmcnt(1)
	v_add_co_u32 v17, vcc_lo, v17, v28
	v_add_co_ci_u32_e32 v18, vcc_lo, 0, v18, vcc_lo
	s_delay_alu instid0(VALU_DEP_2) | instskip(SKIP_1) | instid1(VALU_DEP_2)
	v_add_co_u32 v17, vcc_lo, v17, 0
	s_waitcnt lgkmcnt(0)
	v_add_co_ci_u32_e32 v18, vcc_lo, v18, v27, vcc_lo
	s_branch .LBB267_65
.LBB267_83:                             ;   in Loop: Header=BB267_66 Depth=1
                                        ; implicit-def: $vgpr17_vgpr18
	s_cbranch_execz .LBB267_66
; %bb.84:
	s_and_saveexec_b32 s11, s1
	s_cbranch_execz .LBB267_86
; %bb.85:
	s_add_i32 s16, s9, 32
	s_mov_b32 s17, 0
	v_add_co_u32 v17, vcc_lo, v15, v13
	s_lshl_b64 s[16:17], s[16:17], 4
	v_dual_mov_b32 v19, 2 :: v_dual_mov_b32 v20, 0
	s_add_u32 s16, s14, s16
	s_addc_u32 s17, s15, s17
	v_add_co_ci_u32_e32 v18, vcc_lo, v16, v14, vcc_lo
	v_dual_mov_b32 v26, s17 :: v_dual_mov_b32 v25, s16
	;;#ASMSTART
	global_store_dwordx4 v[25:26], v[17:20] off	
s_waitcnt vmcnt(0)
	;;#ASMEND
	ds_store_b128 v20, v[13:16] offset:6144
.LBB267_86:
	s_or_b32 exec_lo, exec_lo, s11
	s_delay_alu instid0(SALU_CYCLE_1)
	s_and_b32 exec_lo, exec_lo, s2
	s_cbranch_execz .LBB267_88
; %bb.87:
	v_mov_b32_e32 v13, 0
	ds_store_b64 v13, v[15:16] offset:24
.LBB267_88:
	s_or_b32 exec_lo, exec_lo, s10
	v_mov_b32_e32 v15, 0
	s_waitcnt lgkmcnt(0)
	s_barrier
	buffer_gl0_inv
	v_cndmask_b32_e64 v16, v29, v23, s1
	ds_load_b64 v[13:14], v15 offset:24
	v_cndmask_b32_e64 v17, v30, v24, s1
	s_waitcnt lgkmcnt(0)
	s_barrier
	v_cndmask_b32_e64 v16, v16, 0, s2
	buffer_gl0_inv
	v_cndmask_b32_e64 v17, v17, 0, s2
	v_add_co_u32 v29, vcc_lo, v13, v16
	s_delay_alu instid0(VALU_DEP_2) | instskip(SKIP_3) | instid1(VALU_DEP_2)
	v_add_co_ci_u32_e32 v30, vcc_lo, v14, v17, vcc_lo
	ds_load_b128 v[13:16], v15 offset:6144
	v_add_co_u32 v27, vcc_lo, v29, v41
	v_add_co_ci_u32_e32 v28, vcc_lo, 0, v30, vcc_lo
	v_add_co_u32 v25, vcc_lo, v27, v40
	s_delay_alu instid0(VALU_DEP_2) | instskip(NEXT) | instid1(VALU_DEP_2)
	v_add_co_ci_u32_e32 v26, vcc_lo, 0, v28, vcc_lo
	v_add_co_u32 v23, vcc_lo, v25, v39
	s_delay_alu instid0(VALU_DEP_2) | instskip(NEXT) | instid1(VALU_DEP_2)
	;; [unrolled: 3-line block ×3, first 2 shown]
	v_add_co_ci_u32_e32 v20, vcc_lo, 0, v24, vcc_lo
	v_add_co_u32 v17, vcc_lo, v19, v37
	s_delay_alu instid0(VALU_DEP_2)
	v_add_co_ci_u32_e32 v18, vcc_lo, 0, v20, vcc_lo
.LBB267_89:
	s_waitcnt lgkmcnt(0)
	v_cmp_gt_u64_e32 vcc_lo, 0x81, v[13:14]
	s_mov_b32 s0, -1
	s_cbranch_vccnz .LBB267_117
.LBB267_90:
	s_and_b32 vcc_lo, exec_lo, s0
	s_cbranch_vccnz .LBB267_136
.LBB267_91:
	s_and_b32 s0, s2, s3
	s_delay_alu instid0(SALU_CYCLE_1)
	s_and_saveexec_b32 s1, s0
	s_cbranch_execnz .LBB267_152
.LBB267_92:
	s_nop 0
	s_sendmsg sendmsg(MSG_DEALLOC_VGPRS)
	s_endpgm
.LBB267_93:
                                        ; kill: def $vgpr13_vgpr14 killed $sgpr0_sgpr1 killed $exec
                                        ; implicit-def: $vgpr17_vgpr18
                                        ; implicit-def: $vgpr19_vgpr20
                                        ; implicit-def: $vgpr23_vgpr24
                                        ; implicit-def: $vgpr25_vgpr26
                                        ; implicit-def: $vgpr27_vgpr28
                                        ; implicit-def: $vgpr29_vgpr30
                                        ; implicit-def: $vgpr15_vgpr16
	s_and_b32 vcc_lo, exec_lo, s1
	s_cbranch_vccz .LBB267_89
; %bb.94:
	s_waitcnt lgkmcnt(0)
	v_dual_mov_b32 v14, 0 :: v_dual_mov_b32 v15, v21
	v_mov_b32_dpp v16, v21 row_shr:1 row_mask:0xf bank_mask:0xf
	s_delay_alu instid0(VALU_DEP_2)
	v_mov_b32_dpp v13, v14 row_shr:1 row_mask:0xf bank_mask:0xf
	s_and_saveexec_b32 s1, s0
; %bb.95:
	s_delay_alu instid0(VALU_DEP_2) | instskip(SKIP_1) | instid1(VALU_DEP_2)
	v_add_co_u32 v15, vcc_lo, v21, v16
	v_add_co_ci_u32_e32 v14, vcc_lo, 0, v22, vcc_lo
	v_add_co_u32 v21, vcc_lo, 0, v15
	s_delay_alu instid0(VALU_DEP_2) | instskip(NEXT) | instid1(VALU_DEP_1)
	v_add_co_ci_u32_e32 v22, vcc_lo, v13, v14, vcc_lo
	v_mov_b32_e32 v14, v22
; %bb.96:
	s_or_b32 exec_lo, exec_lo, s1
	v_mov_b32_dpp v13, v15 row_shr:2 row_mask:0xf bank_mask:0xf
	s_delay_alu instid0(VALU_DEP_2)
	v_mov_b32_dpp v16, v14 row_shr:2 row_mask:0xf bank_mask:0xf
	s_mov_b32 s0, exec_lo
	v_cmpx_lt_u32_e32 1, v44
; %bb.97:
	s_delay_alu instid0(VALU_DEP_3) | instskip(SKIP_1) | instid1(VALU_DEP_2)
	v_add_co_u32 v15, vcc_lo, v21, v13
	v_add_co_ci_u32_e32 v14, vcc_lo, 0, v22, vcc_lo
	v_add_co_u32 v13, vcc_lo, 0, v15
	s_delay_alu instid0(VALU_DEP_2) | instskip(NEXT) | instid1(VALU_DEP_1)
	v_add_co_ci_u32_e32 v14, vcc_lo, v16, v14, vcc_lo
	v_dual_mov_b32 v22, v14 :: v_dual_mov_b32 v21, v13
; %bb.98:
	s_or_b32 exec_lo, exec_lo, s0
	v_mov_b32_dpp v13, v15 row_shr:4 row_mask:0xf bank_mask:0xf
	v_mov_b32_dpp v16, v14 row_shr:4 row_mask:0xf bank_mask:0xf
	s_mov_b32 s0, exec_lo
	v_cmpx_lt_u32_e32 3, v44
; %bb.99:
	s_delay_alu instid0(VALU_DEP_3) | instskip(SKIP_1) | instid1(VALU_DEP_2)
	v_add_co_u32 v15, vcc_lo, v21, v13
	v_add_co_ci_u32_e32 v14, vcc_lo, 0, v22, vcc_lo
	v_add_co_u32 v13, vcc_lo, 0, v15
	s_delay_alu instid0(VALU_DEP_2) | instskip(NEXT) | instid1(VALU_DEP_1)
	v_add_co_ci_u32_e32 v14, vcc_lo, v16, v14, vcc_lo
	v_dual_mov_b32 v22, v14 :: v_dual_mov_b32 v21, v13
; %bb.100:
	s_or_b32 exec_lo, exec_lo, s0
	v_mov_b32_dpp v16, v15 row_shr:8 row_mask:0xf bank_mask:0xf
	v_mov_b32_dpp v13, v14 row_shr:8 row_mask:0xf bank_mask:0xf
	s_mov_b32 s0, exec_lo
	v_cmpx_lt_u32_e32 7, v44
; %bb.101:
	s_delay_alu instid0(VALU_DEP_3) | instskip(SKIP_1) | instid1(VALU_DEP_2)
	v_add_co_u32 v15, vcc_lo, v21, v16
	v_add_co_ci_u32_e32 v14, vcc_lo, 0, v22, vcc_lo
	v_add_co_u32 v21, vcc_lo, 0, v15
	s_delay_alu instid0(VALU_DEP_2) | instskip(NEXT) | instid1(VALU_DEP_1)
	v_add_co_ci_u32_e32 v22, vcc_lo, v13, v14, vcc_lo
	v_mov_b32_e32 v14, v22
; %bb.102:
	s_or_b32 exec_lo, exec_lo, s0
	ds_swizzle_b32 v15, v15 offset:swizzle(BROADCAST,32,15)
	ds_swizzle_b32 v13, v14 offset:swizzle(BROADCAST,32,15)
	v_and_b32_e32 v14, 16, v42
	s_mov_b32 s0, exec_lo
	s_delay_alu instid0(VALU_DEP_1)
	v_cmpx_ne_u32_e32 0, v14
	s_cbranch_execz .LBB267_104
; %bb.103:
	s_waitcnt lgkmcnt(1)
	v_add_co_u32 v14, vcc_lo, v21, v15
	v_add_co_ci_u32_e32 v15, vcc_lo, 0, v22, vcc_lo
	s_delay_alu instid0(VALU_DEP_2) | instskip(SKIP_1) | instid1(VALU_DEP_2)
	v_add_co_u32 v21, vcc_lo, v14, 0
	s_waitcnt lgkmcnt(0)
	v_add_co_ci_u32_e32 v22, vcc_lo, v15, v13, vcc_lo
.LBB267_104:
	s_or_b32 exec_lo, exec_lo, s0
	s_waitcnt lgkmcnt(0)
	v_or_b32_e32 v13, 31, v0
	v_lshrrev_b32_e32 v15, 5, v0
	s_mov_b32 s0, exec_lo
	s_delay_alu instid0(VALU_DEP_2)
	v_cmpx_eq_u32_e64 v13, v0
	s_cbranch_execz .LBB267_106
; %bb.105:
	s_delay_alu instid0(VALU_DEP_2)
	v_lshlrev_b32_e32 v13, 3, v15
	ds_store_b64 v13, v[21:22]
.LBB267_106:
	s_or_b32 exec_lo, exec_lo, s0
	s_delay_alu instid0(SALU_CYCLE_1)
	s_mov_b32 s0, exec_lo
	s_waitcnt lgkmcnt(0)
	s_barrier
	buffer_gl0_inv
	v_cmpx_gt_u32_e32 4, v0
	s_cbranch_execz .LBB267_112
; %bb.107:
	v_lshlrev_b32_e32 v13, 1, v0
	s_mov_b32 s1, exec_lo
	s_delay_alu instid0(VALU_DEP_1)
	v_add_nc_u32_e32 v16, v43, v13
	ds_load_b64 v[13:14], v16
	s_waitcnt lgkmcnt(0)
	v_dual_mov_b32 v18, v13 :: v_dual_and_b32 v17, 3, v42
	v_mov_b32_dpp v20, v13 row_shr:1 row_mask:0xf bank_mask:0xf
	v_mov_b32_dpp v19, v14 row_shr:1 row_mask:0xf bank_mask:0xf
	s_delay_alu instid0(VALU_DEP_3)
	v_cmpx_ne_u32_e32 0, v17
; %bb.108:
	s_delay_alu instid0(VALU_DEP_3) | instskip(SKIP_1) | instid1(VALU_DEP_2)
	v_add_co_u32 v18, vcc_lo, v13, v20
	v_add_co_ci_u32_e32 v14, vcc_lo, 0, v14, vcc_lo
	v_add_co_u32 v13, vcc_lo, 0, v18
	s_delay_alu instid0(VALU_DEP_2)
	v_add_co_ci_u32_e32 v14, vcc_lo, v19, v14, vcc_lo
; %bb.109:
	s_or_b32 exec_lo, exec_lo, s1
	v_mov_b32_dpp v19, v18 row_shr:2 row_mask:0xf bank_mask:0xf
	s_delay_alu instid0(VALU_DEP_2)
	v_mov_b32_dpp v18, v14 row_shr:2 row_mask:0xf bank_mask:0xf
	s_mov_b32 s1, exec_lo
	v_cmpx_lt_u32_e32 1, v17
; %bb.110:
	s_delay_alu instid0(VALU_DEP_3) | instskip(SKIP_1) | instid1(VALU_DEP_2)
	v_add_co_u32 v13, vcc_lo, v13, v19
	v_add_co_ci_u32_e32 v14, vcc_lo, 0, v14, vcc_lo
	v_add_co_u32 v13, vcc_lo, v13, 0
	s_delay_alu instid0(VALU_DEP_2)
	v_add_co_ci_u32_e32 v14, vcc_lo, v14, v18, vcc_lo
; %bb.111:
	s_or_b32 exec_lo, exec_lo, s1
	ds_store_b64 v16, v[13:14]
.LBB267_112:
	s_or_b32 exec_lo, exec_lo, s0
	v_mov_b32_e32 v17, 0
	v_mov_b32_e32 v18, 0
	s_mov_b32 s0, exec_lo
	s_waitcnt lgkmcnt(0)
	s_barrier
	buffer_gl0_inv
	v_cmpx_lt_u32_e32 31, v0
	s_cbranch_execz .LBB267_114
; %bb.113:
	v_lshl_add_u32 v13, v15, 3, -8
	ds_load_b64 v[17:18], v13
.LBB267_114:
	s_or_b32 exec_lo, exec_lo, s0
	v_dual_mov_b32 v16, 0 :: v_dual_add_nc_u32 v13, -1, v42
	s_delay_alu instid0(VALU_DEP_1) | instskip(SKIP_4) | instid1(VALU_DEP_3)
	v_cmp_gt_i32_e32 vcc_lo, 0, v13
	v_cndmask_b32_e32 v13, v13, v42, vcc_lo
	s_waitcnt lgkmcnt(0)
	v_add_co_u32 v14, vcc_lo, v17, v21
	v_add_co_ci_u32_e32 v15, vcc_lo, v18, v22, vcc_lo
	v_lshlrev_b32_e32 v13, 2, v13
	ds_bpermute_b32 v19, v13, v14
	ds_bpermute_b32 v20, v13, v15
	ds_load_b64 v[13:14], v16 offset:24
	s_and_saveexec_b32 s0, s2
	s_cbranch_execz .LBB267_116
; %bb.115:
	s_add_u32 s10, s14, 0x200
	s_addc_u32 s11, s15, 0
	s_delay_alu instid0(SALU_CYCLE_1)
	v_dual_mov_b32 v15, 2 :: v_dual_mov_b32 v22, s11
	v_mov_b32_e32 v21, s10
	s_waitcnt lgkmcnt(0)
	;;#ASMSTART
	global_store_dwordx4 v[21:22], v[13:16] off	
s_waitcnt vmcnt(0)
	;;#ASMEND
.LBB267_116:
	s_or_b32 exec_lo, exec_lo, s0
	v_cmp_eq_u32_e32 vcc_lo, 0, v42
	s_waitcnt lgkmcnt(0)
	s_barrier
	buffer_gl0_inv
	v_dual_cndmask_b32 v15, v19, v17 :: v_dual_cndmask_b32 v16, v20, v18
	s_delay_alu instid0(VALU_DEP_1) | instskip(NEXT) | instid1(VALU_DEP_2)
	v_cndmask_b32_e64 v29, v15, 0, s2
	v_cndmask_b32_e64 v30, v16, 0, s2
	v_mov_b32_e32 v15, 0
	v_mov_b32_e32 v16, 0
	s_delay_alu instid0(VALU_DEP_4) | instskip(NEXT) | instid1(VALU_DEP_4)
	v_add_co_u32 v27, vcc_lo, v29, v41
	v_add_co_ci_u32_e32 v28, vcc_lo, 0, v30, vcc_lo
	s_delay_alu instid0(VALU_DEP_2) | instskip(NEXT) | instid1(VALU_DEP_2)
	v_add_co_u32 v25, vcc_lo, v27, v40
	v_add_co_ci_u32_e32 v26, vcc_lo, 0, v28, vcc_lo
	s_delay_alu instid0(VALU_DEP_2) | instskip(NEXT) | instid1(VALU_DEP_2)
	;; [unrolled: 3-line block ×4, first 2 shown]
	v_add_co_u32 v17, vcc_lo, v19, v37
	v_add_co_ci_u32_e32 v18, vcc_lo, 0, v20, vcc_lo
	v_cmp_gt_u64_e32 vcc_lo, 0x81, v[13:14]
	s_mov_b32 s0, -1
	s_cbranch_vccz .LBB267_90
.LBB267_117:
	v_add_co_u32 v21, vcc_lo, v15, v13
	v_add_co_ci_u32_e32 v22, vcc_lo, v16, v14, vcc_lo
	s_delay_alu instid0(VALU_DEP_1) | instskip(SKIP_1) | instid1(SALU_CYCLE_1)
	v_cmp_lt_u64_e32 vcc_lo, v[29:30], v[21:22]
	s_or_b32 s1, s8, vcc_lo
	s_and_saveexec_b32 s0, s1
	s_cbranch_execz .LBB267_120
; %bb.118:
	v_and_b32_e32 v37, 1, v36
	s_delay_alu instid0(VALU_DEP_1)
	v_cmp_eq_u32_e32 vcc_lo, 1, v37
	s_and_b32 exec_lo, exec_lo, vcc_lo
	s_cbranch_execz .LBB267_120
; %bb.119:
	v_lshlrev_b64 v[37:38], 3, v[29:30]
	s_lshl_b64 s[10:11], s[6:7], 3
	s_delay_alu instid0(SALU_CYCLE_1) | instskip(SKIP_1) | instid1(VALU_DEP_1)
	s_add_u32 s1, s12, s10
	s_addc_u32 s9, s13, s11
	v_add_co_u32 v37, vcc_lo, s1, v37
	s_delay_alu instid0(VALU_DEP_2)
	v_add_co_ci_u32_e32 v38, vcc_lo, s9, v38, vcc_lo
	global_store_b64 v[37:38], v[9:10], off
.LBB267_120:
	s_or_b32 exec_lo, exec_lo, s0
	v_cmp_lt_u64_e32 vcc_lo, v[27:28], v[21:22]
	s_or_b32 s1, s8, vcc_lo
	s_delay_alu instid0(SALU_CYCLE_1)
	s_and_saveexec_b32 s0, s1
	s_cbranch_execz .LBB267_123
; %bb.121:
	v_and_b32_e32 v30, 1, v34
	s_delay_alu instid0(VALU_DEP_1)
	v_cmp_eq_u32_e32 vcc_lo, 1, v30
	s_and_b32 exec_lo, exec_lo, vcc_lo
	s_cbranch_execz .LBB267_123
; %bb.122:
	v_lshlrev_b64 v[37:38], 3, v[27:28]
	s_lshl_b64 s[10:11], s[6:7], 3
	s_delay_alu instid0(SALU_CYCLE_1) | instskip(SKIP_1) | instid1(VALU_DEP_1)
	s_add_u32 s1, s12, s10
	s_addc_u32 s9, s13, s11
	v_add_co_u32 v37, vcc_lo, s1, v37
	s_delay_alu instid0(VALU_DEP_2)
	v_add_co_ci_u32_e32 v38, vcc_lo, s9, v38, vcc_lo
	global_store_b64 v[37:38], v[11:12], off
.LBB267_123:
	s_or_b32 exec_lo, exec_lo, s0
	v_cmp_lt_u64_e32 vcc_lo, v[25:26], v[21:22]
	s_or_b32 s1, s8, vcc_lo
	s_delay_alu instid0(SALU_CYCLE_1)
	;; [unrolled: 23-line block ×5, first 2 shown]
	s_and_saveexec_b32 s0, s1
	s_cbranch_execz .LBB267_135
; %bb.133:
	v_and_b32_e32 v20, 1, v32
	s_delay_alu instid0(VALU_DEP_1)
	v_cmp_eq_u32_e32 vcc_lo, 1, v20
	s_and_b32 exec_lo, exec_lo, vcc_lo
	s_cbranch_execz .LBB267_135
; %bb.134:
	v_lshlrev_b64 v[20:21], 3, v[17:18]
	s_lshl_b64 s[8:9], s[6:7], 3
	s_delay_alu instid0(SALU_CYCLE_1) | instskip(SKIP_1) | instid1(VALU_DEP_1)
	s_add_u32 s1, s12, s8
	s_addc_u32 s8, s13, s9
	v_add_co_u32 v20, vcc_lo, s1, v20
	s_delay_alu instid0(VALU_DEP_2)
	v_add_co_ci_u32_e32 v21, vcc_lo, s8, v21, vcc_lo
	global_store_b64 v[20:21], v[3:4], off
.LBB267_135:
	s_or_b32 exec_lo, exec_lo, s0
	s_branch .LBB267_91
.LBB267_136:
	v_and_b32_e32 v18, 1, v36
	s_mov_b32 s0, exec_lo
	s_delay_alu instid0(VALU_DEP_1)
	v_cmpx_eq_u32_e32 1, v18
	s_cbranch_execz .LBB267_138
; %bb.137:
	v_sub_nc_u32_e32 v18, v29, v15
	s_delay_alu instid0(VALU_DEP_1)
	v_lshlrev_b32_e32 v18, 3, v18
	ds_store_b64 v18, v[9:10]
.LBB267_138:
	s_or_b32 exec_lo, exec_lo, s0
	v_and_b32_e32 v9, 1, v34
	s_mov_b32 s0, exec_lo
	s_delay_alu instid0(VALU_DEP_1)
	v_cmpx_eq_u32_e32 1, v9
	s_cbranch_execz .LBB267_140
; %bb.139:
	v_sub_nc_u32_e32 v9, v27, v15
	s_delay_alu instid0(VALU_DEP_1)
	v_lshlrev_b32_e32 v9, 3, v9
	ds_store_b64 v9, v[11:12]
.LBB267_140:
	s_or_b32 exec_lo, exec_lo, s0
	;; [unrolled: 12-line block ×6, first 2 shown]
	v_mov_b32_e32 v1, 0
	s_mov_b32 s1, exec_lo
	s_waitcnt lgkmcnt(0)
	s_waitcnt_vscnt null, 0x0
	s_barrier
	buffer_gl0_inv
	v_cmpx_gt_u64_e64 v[13:14], v[0:1]
	s_cbranch_execz .LBB267_151
; %bb.149:
	v_lshlrev_b64 v[4:5], 3, v[15:16]
	s_lshl_b64 s[8:9], s[6:7], 3
	v_dual_mov_b32 v3, v1 :: v_dual_mov_b32 v2, v0
	v_or_b32_e32 v0, 0x80, v0
	s_delay_alu instid0(VALU_DEP_3) | instskip(NEXT) | instid1(VALU_DEP_4)
	v_add_co_u32 v4, vcc_lo, s12, v4
	v_add_co_ci_u32_e32 v5, vcc_lo, s13, v5, vcc_lo
	s_delay_alu instid0(VALU_DEP_2) | instskip(NEXT) | instid1(VALU_DEP_2)
	v_add_co_u32 v4, vcc_lo, v4, s8
	v_add_co_ci_u32_e32 v5, vcc_lo, s9, v5, vcc_lo
	s_mov_b32 s8, 0
	.p2align	6
.LBB267_150:                            ; =>This Inner Loop Header: Depth=1
	v_lshlrev_b32_e32 v6, 3, v2
	v_lshlrev_b64 v[8:9], 3, v[2:3]
	v_mov_b32_e32 v3, v1
	v_cmp_le_u64_e32 vcc_lo, v[13:14], v[0:1]
	v_mov_b32_e32 v2, v0
	ds_load_b64 v[6:7], v6
	v_add_nc_u32_e32 v0, 0x80, v0
	v_add_co_u32 v8, s0, v4, v8
	s_delay_alu instid0(VALU_DEP_1)
	v_add_co_ci_u32_e64 v9, s0, v5, v9, s0
	s_or_b32 s8, vcc_lo, s8
	s_waitcnt lgkmcnt(0)
	global_store_b64 v[8:9], v[6:7], off
	s_and_not1_b32 exec_lo, exec_lo, s8
	s_cbranch_execnz .LBB267_150
.LBB267_151:
	s_or_b32 exec_lo, exec_lo, s1
	s_and_b32 s0, s2, s3
	s_delay_alu instid0(SALU_CYCLE_1)
	s_and_saveexec_b32 s1, s0
	s_cbranch_execz .LBB267_92
.LBB267_152:
	v_add_co_u32 v0, vcc_lo, v15, v13
	v_add_co_ci_u32_e32 v1, vcc_lo, v16, v14, vcc_lo
	v_mov_b32_e32 v2, 0
	s_delay_alu instid0(VALU_DEP_3) | instskip(NEXT) | instid1(VALU_DEP_3)
	v_add_co_u32 v0, vcc_lo, v0, s6
	v_add_co_ci_u32_e32 v1, vcc_lo, s7, v1, vcc_lo
	global_store_b64 v2, v[0:1], s[4:5]
	s_nop 0
	s_sendmsg sendmsg(MSG_DEALLOC_VGPRS)
	s_endpgm
	.section	.rodata,"a",@progbits
	.p2align	6, 0x0
	.amdhsa_kernel _ZN7rocprim17ROCPRIM_400000_NS6detail17trampoline_kernelINS0_14default_configENS1_25partition_config_selectorILNS1_17partition_subalgoE5ElNS0_10empty_typeEbEEZZNS1_14partition_implILS5_5ELb0ES3_mN6hipcub16HIPCUB_304000_NS21CountingInputIteratorIllEEPS6_NSA_22TransformInputIteratorIb7NonZeroIfEPflEENS0_5tupleIJPlS6_EEENSJ_IJSD_SD_EEES6_SK_JS6_EEE10hipError_tPvRmT3_T4_T5_T6_T7_T9_mT8_P12ihipStream_tbDpT10_ENKUlT_T0_E_clISt17integral_constantIbLb1EES16_EEDaS11_S12_EUlS11_E_NS1_11comp_targetILNS1_3genE9ELNS1_11target_archE1100ELNS1_3gpuE3ELNS1_3repE0EEENS1_30default_config_static_selectorELNS0_4arch9wavefront6targetE0EEEvT1_
		.amdhsa_group_segment_fixed_size 6160
		.amdhsa_private_segment_fixed_size 0
		.amdhsa_kernarg_size 136
		.amdhsa_user_sgpr_count 15
		.amdhsa_user_sgpr_dispatch_ptr 0
		.amdhsa_user_sgpr_queue_ptr 0
		.amdhsa_user_sgpr_kernarg_segment_ptr 1
		.amdhsa_user_sgpr_dispatch_id 0
		.amdhsa_user_sgpr_private_segment_size 0
		.amdhsa_wavefront_size32 1
		.amdhsa_uses_dynamic_stack 0
		.amdhsa_enable_private_segment 0
		.amdhsa_system_sgpr_workgroup_id_x 1
		.amdhsa_system_sgpr_workgroup_id_y 0
		.amdhsa_system_sgpr_workgroup_id_z 0
		.amdhsa_system_sgpr_workgroup_info 0
		.amdhsa_system_vgpr_workitem_id 0
		.amdhsa_next_free_vgpr 57
		.amdhsa_next_free_sgpr 24
		.amdhsa_reserve_vcc 1
		.amdhsa_float_round_mode_32 0
		.amdhsa_float_round_mode_16_64 0
		.amdhsa_float_denorm_mode_32 3
		.amdhsa_float_denorm_mode_16_64 3
		.amdhsa_dx10_clamp 1
		.amdhsa_ieee_mode 1
		.amdhsa_fp16_overflow 0
		.amdhsa_workgroup_processor_mode 1
		.amdhsa_memory_ordered 1
		.amdhsa_forward_progress 0
		.amdhsa_shared_vgpr_count 0
		.amdhsa_exception_fp_ieee_invalid_op 0
		.amdhsa_exception_fp_denorm_src 0
		.amdhsa_exception_fp_ieee_div_zero 0
		.amdhsa_exception_fp_ieee_overflow 0
		.amdhsa_exception_fp_ieee_underflow 0
		.amdhsa_exception_fp_ieee_inexact 0
		.amdhsa_exception_int_div_zero 0
	.end_amdhsa_kernel
	.section	.text._ZN7rocprim17ROCPRIM_400000_NS6detail17trampoline_kernelINS0_14default_configENS1_25partition_config_selectorILNS1_17partition_subalgoE5ElNS0_10empty_typeEbEEZZNS1_14partition_implILS5_5ELb0ES3_mN6hipcub16HIPCUB_304000_NS21CountingInputIteratorIllEEPS6_NSA_22TransformInputIteratorIb7NonZeroIfEPflEENS0_5tupleIJPlS6_EEENSJ_IJSD_SD_EEES6_SK_JS6_EEE10hipError_tPvRmT3_T4_T5_T6_T7_T9_mT8_P12ihipStream_tbDpT10_ENKUlT_T0_E_clISt17integral_constantIbLb1EES16_EEDaS11_S12_EUlS11_E_NS1_11comp_targetILNS1_3genE9ELNS1_11target_archE1100ELNS1_3gpuE3ELNS1_3repE0EEENS1_30default_config_static_selectorELNS0_4arch9wavefront6targetE0EEEvT1_,"axG",@progbits,_ZN7rocprim17ROCPRIM_400000_NS6detail17trampoline_kernelINS0_14default_configENS1_25partition_config_selectorILNS1_17partition_subalgoE5ElNS0_10empty_typeEbEEZZNS1_14partition_implILS5_5ELb0ES3_mN6hipcub16HIPCUB_304000_NS21CountingInputIteratorIllEEPS6_NSA_22TransformInputIteratorIb7NonZeroIfEPflEENS0_5tupleIJPlS6_EEENSJ_IJSD_SD_EEES6_SK_JS6_EEE10hipError_tPvRmT3_T4_T5_T6_T7_T9_mT8_P12ihipStream_tbDpT10_ENKUlT_T0_E_clISt17integral_constantIbLb1EES16_EEDaS11_S12_EUlS11_E_NS1_11comp_targetILNS1_3genE9ELNS1_11target_archE1100ELNS1_3gpuE3ELNS1_3repE0EEENS1_30default_config_static_selectorELNS0_4arch9wavefront6targetE0EEEvT1_,comdat
.Lfunc_end267:
	.size	_ZN7rocprim17ROCPRIM_400000_NS6detail17trampoline_kernelINS0_14default_configENS1_25partition_config_selectorILNS1_17partition_subalgoE5ElNS0_10empty_typeEbEEZZNS1_14partition_implILS5_5ELb0ES3_mN6hipcub16HIPCUB_304000_NS21CountingInputIteratorIllEEPS6_NSA_22TransformInputIteratorIb7NonZeroIfEPflEENS0_5tupleIJPlS6_EEENSJ_IJSD_SD_EEES6_SK_JS6_EEE10hipError_tPvRmT3_T4_T5_T6_T7_T9_mT8_P12ihipStream_tbDpT10_ENKUlT_T0_E_clISt17integral_constantIbLb1EES16_EEDaS11_S12_EUlS11_E_NS1_11comp_targetILNS1_3genE9ELNS1_11target_archE1100ELNS1_3gpuE3ELNS1_3repE0EEENS1_30default_config_static_selectorELNS0_4arch9wavefront6targetE0EEEvT1_, .Lfunc_end267-_ZN7rocprim17ROCPRIM_400000_NS6detail17trampoline_kernelINS0_14default_configENS1_25partition_config_selectorILNS1_17partition_subalgoE5ElNS0_10empty_typeEbEEZZNS1_14partition_implILS5_5ELb0ES3_mN6hipcub16HIPCUB_304000_NS21CountingInputIteratorIllEEPS6_NSA_22TransformInputIteratorIb7NonZeroIfEPflEENS0_5tupleIJPlS6_EEENSJ_IJSD_SD_EEES6_SK_JS6_EEE10hipError_tPvRmT3_T4_T5_T6_T7_T9_mT8_P12ihipStream_tbDpT10_ENKUlT_T0_E_clISt17integral_constantIbLb1EES16_EEDaS11_S12_EUlS11_E_NS1_11comp_targetILNS1_3genE9ELNS1_11target_archE1100ELNS1_3gpuE3ELNS1_3repE0EEENS1_30default_config_static_selectorELNS0_4arch9wavefront6targetE0EEEvT1_
                                        ; -- End function
	.section	.AMDGPU.csdata,"",@progbits
; Kernel info:
; codeLenInByte = 6608
; NumSgprs: 26
; NumVgprs: 57
; ScratchSize: 0
; MemoryBound: 0
; FloatMode: 240
; IeeeMode: 1
; LDSByteSize: 6160 bytes/workgroup (compile time only)
; SGPRBlocks: 3
; VGPRBlocks: 7
; NumSGPRsForWavesPerEU: 26
; NumVGPRsForWavesPerEU: 57
; Occupancy: 16
; WaveLimiterHint : 1
; COMPUTE_PGM_RSRC2:SCRATCH_EN: 0
; COMPUTE_PGM_RSRC2:USER_SGPR: 15
; COMPUTE_PGM_RSRC2:TRAP_HANDLER: 0
; COMPUTE_PGM_RSRC2:TGID_X_EN: 1
; COMPUTE_PGM_RSRC2:TGID_Y_EN: 0
; COMPUTE_PGM_RSRC2:TGID_Z_EN: 0
; COMPUTE_PGM_RSRC2:TIDIG_COMP_CNT: 0
	.section	.text._ZN7rocprim17ROCPRIM_400000_NS6detail17trampoline_kernelINS0_14default_configENS1_25partition_config_selectorILNS1_17partition_subalgoE5ElNS0_10empty_typeEbEEZZNS1_14partition_implILS5_5ELb0ES3_mN6hipcub16HIPCUB_304000_NS21CountingInputIteratorIllEEPS6_NSA_22TransformInputIteratorIb7NonZeroIfEPflEENS0_5tupleIJPlS6_EEENSJ_IJSD_SD_EEES6_SK_JS6_EEE10hipError_tPvRmT3_T4_T5_T6_T7_T9_mT8_P12ihipStream_tbDpT10_ENKUlT_T0_E_clISt17integral_constantIbLb1EES16_EEDaS11_S12_EUlS11_E_NS1_11comp_targetILNS1_3genE8ELNS1_11target_archE1030ELNS1_3gpuE2ELNS1_3repE0EEENS1_30default_config_static_selectorELNS0_4arch9wavefront6targetE0EEEvT1_,"axG",@progbits,_ZN7rocprim17ROCPRIM_400000_NS6detail17trampoline_kernelINS0_14default_configENS1_25partition_config_selectorILNS1_17partition_subalgoE5ElNS0_10empty_typeEbEEZZNS1_14partition_implILS5_5ELb0ES3_mN6hipcub16HIPCUB_304000_NS21CountingInputIteratorIllEEPS6_NSA_22TransformInputIteratorIb7NonZeroIfEPflEENS0_5tupleIJPlS6_EEENSJ_IJSD_SD_EEES6_SK_JS6_EEE10hipError_tPvRmT3_T4_T5_T6_T7_T9_mT8_P12ihipStream_tbDpT10_ENKUlT_T0_E_clISt17integral_constantIbLb1EES16_EEDaS11_S12_EUlS11_E_NS1_11comp_targetILNS1_3genE8ELNS1_11target_archE1030ELNS1_3gpuE2ELNS1_3repE0EEENS1_30default_config_static_selectorELNS0_4arch9wavefront6targetE0EEEvT1_,comdat
	.protected	_ZN7rocprim17ROCPRIM_400000_NS6detail17trampoline_kernelINS0_14default_configENS1_25partition_config_selectorILNS1_17partition_subalgoE5ElNS0_10empty_typeEbEEZZNS1_14partition_implILS5_5ELb0ES3_mN6hipcub16HIPCUB_304000_NS21CountingInputIteratorIllEEPS6_NSA_22TransformInputIteratorIb7NonZeroIfEPflEENS0_5tupleIJPlS6_EEENSJ_IJSD_SD_EEES6_SK_JS6_EEE10hipError_tPvRmT3_T4_T5_T6_T7_T9_mT8_P12ihipStream_tbDpT10_ENKUlT_T0_E_clISt17integral_constantIbLb1EES16_EEDaS11_S12_EUlS11_E_NS1_11comp_targetILNS1_3genE8ELNS1_11target_archE1030ELNS1_3gpuE2ELNS1_3repE0EEENS1_30default_config_static_selectorELNS0_4arch9wavefront6targetE0EEEvT1_ ; -- Begin function _ZN7rocprim17ROCPRIM_400000_NS6detail17trampoline_kernelINS0_14default_configENS1_25partition_config_selectorILNS1_17partition_subalgoE5ElNS0_10empty_typeEbEEZZNS1_14partition_implILS5_5ELb0ES3_mN6hipcub16HIPCUB_304000_NS21CountingInputIteratorIllEEPS6_NSA_22TransformInputIteratorIb7NonZeroIfEPflEENS0_5tupleIJPlS6_EEENSJ_IJSD_SD_EEES6_SK_JS6_EEE10hipError_tPvRmT3_T4_T5_T6_T7_T9_mT8_P12ihipStream_tbDpT10_ENKUlT_T0_E_clISt17integral_constantIbLb1EES16_EEDaS11_S12_EUlS11_E_NS1_11comp_targetILNS1_3genE8ELNS1_11target_archE1030ELNS1_3gpuE2ELNS1_3repE0EEENS1_30default_config_static_selectorELNS0_4arch9wavefront6targetE0EEEvT1_
	.globl	_ZN7rocprim17ROCPRIM_400000_NS6detail17trampoline_kernelINS0_14default_configENS1_25partition_config_selectorILNS1_17partition_subalgoE5ElNS0_10empty_typeEbEEZZNS1_14partition_implILS5_5ELb0ES3_mN6hipcub16HIPCUB_304000_NS21CountingInputIteratorIllEEPS6_NSA_22TransformInputIteratorIb7NonZeroIfEPflEENS0_5tupleIJPlS6_EEENSJ_IJSD_SD_EEES6_SK_JS6_EEE10hipError_tPvRmT3_T4_T5_T6_T7_T9_mT8_P12ihipStream_tbDpT10_ENKUlT_T0_E_clISt17integral_constantIbLb1EES16_EEDaS11_S12_EUlS11_E_NS1_11comp_targetILNS1_3genE8ELNS1_11target_archE1030ELNS1_3gpuE2ELNS1_3repE0EEENS1_30default_config_static_selectorELNS0_4arch9wavefront6targetE0EEEvT1_
	.p2align	8
	.type	_ZN7rocprim17ROCPRIM_400000_NS6detail17trampoline_kernelINS0_14default_configENS1_25partition_config_selectorILNS1_17partition_subalgoE5ElNS0_10empty_typeEbEEZZNS1_14partition_implILS5_5ELb0ES3_mN6hipcub16HIPCUB_304000_NS21CountingInputIteratorIllEEPS6_NSA_22TransformInputIteratorIb7NonZeroIfEPflEENS0_5tupleIJPlS6_EEENSJ_IJSD_SD_EEES6_SK_JS6_EEE10hipError_tPvRmT3_T4_T5_T6_T7_T9_mT8_P12ihipStream_tbDpT10_ENKUlT_T0_E_clISt17integral_constantIbLb1EES16_EEDaS11_S12_EUlS11_E_NS1_11comp_targetILNS1_3genE8ELNS1_11target_archE1030ELNS1_3gpuE2ELNS1_3repE0EEENS1_30default_config_static_selectorELNS0_4arch9wavefront6targetE0EEEvT1_,@function
_ZN7rocprim17ROCPRIM_400000_NS6detail17trampoline_kernelINS0_14default_configENS1_25partition_config_selectorILNS1_17partition_subalgoE5ElNS0_10empty_typeEbEEZZNS1_14partition_implILS5_5ELb0ES3_mN6hipcub16HIPCUB_304000_NS21CountingInputIteratorIllEEPS6_NSA_22TransformInputIteratorIb7NonZeroIfEPflEENS0_5tupleIJPlS6_EEENSJ_IJSD_SD_EEES6_SK_JS6_EEE10hipError_tPvRmT3_T4_T5_T6_T7_T9_mT8_P12ihipStream_tbDpT10_ENKUlT_T0_E_clISt17integral_constantIbLb1EES16_EEDaS11_S12_EUlS11_E_NS1_11comp_targetILNS1_3genE8ELNS1_11target_archE1030ELNS1_3gpuE2ELNS1_3repE0EEENS1_30default_config_static_selectorELNS0_4arch9wavefront6targetE0EEEvT1_: ; @_ZN7rocprim17ROCPRIM_400000_NS6detail17trampoline_kernelINS0_14default_configENS1_25partition_config_selectorILNS1_17partition_subalgoE5ElNS0_10empty_typeEbEEZZNS1_14partition_implILS5_5ELb0ES3_mN6hipcub16HIPCUB_304000_NS21CountingInputIteratorIllEEPS6_NSA_22TransformInputIteratorIb7NonZeroIfEPflEENS0_5tupleIJPlS6_EEENSJ_IJSD_SD_EEES6_SK_JS6_EEE10hipError_tPvRmT3_T4_T5_T6_T7_T9_mT8_P12ihipStream_tbDpT10_ENKUlT_T0_E_clISt17integral_constantIbLb1EES16_EEDaS11_S12_EUlS11_E_NS1_11comp_targetILNS1_3genE8ELNS1_11target_archE1030ELNS1_3gpuE2ELNS1_3repE0EEENS1_30default_config_static_selectorELNS0_4arch9wavefront6targetE0EEEvT1_
; %bb.0:
	.section	.rodata,"a",@progbits
	.p2align	6, 0x0
	.amdhsa_kernel _ZN7rocprim17ROCPRIM_400000_NS6detail17trampoline_kernelINS0_14default_configENS1_25partition_config_selectorILNS1_17partition_subalgoE5ElNS0_10empty_typeEbEEZZNS1_14partition_implILS5_5ELb0ES3_mN6hipcub16HIPCUB_304000_NS21CountingInputIteratorIllEEPS6_NSA_22TransformInputIteratorIb7NonZeroIfEPflEENS0_5tupleIJPlS6_EEENSJ_IJSD_SD_EEES6_SK_JS6_EEE10hipError_tPvRmT3_T4_T5_T6_T7_T9_mT8_P12ihipStream_tbDpT10_ENKUlT_T0_E_clISt17integral_constantIbLb1EES16_EEDaS11_S12_EUlS11_E_NS1_11comp_targetILNS1_3genE8ELNS1_11target_archE1030ELNS1_3gpuE2ELNS1_3repE0EEENS1_30default_config_static_selectorELNS0_4arch9wavefront6targetE0EEEvT1_
		.amdhsa_group_segment_fixed_size 0
		.amdhsa_private_segment_fixed_size 0
		.amdhsa_kernarg_size 136
		.amdhsa_user_sgpr_count 15
		.amdhsa_user_sgpr_dispatch_ptr 0
		.amdhsa_user_sgpr_queue_ptr 0
		.amdhsa_user_sgpr_kernarg_segment_ptr 1
		.amdhsa_user_sgpr_dispatch_id 0
		.amdhsa_user_sgpr_private_segment_size 0
		.amdhsa_wavefront_size32 1
		.amdhsa_uses_dynamic_stack 0
		.amdhsa_enable_private_segment 0
		.amdhsa_system_sgpr_workgroup_id_x 1
		.amdhsa_system_sgpr_workgroup_id_y 0
		.amdhsa_system_sgpr_workgroup_id_z 0
		.amdhsa_system_sgpr_workgroup_info 0
		.amdhsa_system_vgpr_workitem_id 0
		.amdhsa_next_free_vgpr 1
		.amdhsa_next_free_sgpr 1
		.amdhsa_reserve_vcc 0
		.amdhsa_float_round_mode_32 0
		.amdhsa_float_round_mode_16_64 0
		.amdhsa_float_denorm_mode_32 3
		.amdhsa_float_denorm_mode_16_64 3
		.amdhsa_dx10_clamp 1
		.amdhsa_ieee_mode 1
		.amdhsa_fp16_overflow 0
		.amdhsa_workgroup_processor_mode 1
		.amdhsa_memory_ordered 1
		.amdhsa_forward_progress 0
		.amdhsa_shared_vgpr_count 0
		.amdhsa_exception_fp_ieee_invalid_op 0
		.amdhsa_exception_fp_denorm_src 0
		.amdhsa_exception_fp_ieee_div_zero 0
		.amdhsa_exception_fp_ieee_overflow 0
		.amdhsa_exception_fp_ieee_underflow 0
		.amdhsa_exception_fp_ieee_inexact 0
		.amdhsa_exception_int_div_zero 0
	.end_amdhsa_kernel
	.section	.text._ZN7rocprim17ROCPRIM_400000_NS6detail17trampoline_kernelINS0_14default_configENS1_25partition_config_selectorILNS1_17partition_subalgoE5ElNS0_10empty_typeEbEEZZNS1_14partition_implILS5_5ELb0ES3_mN6hipcub16HIPCUB_304000_NS21CountingInputIteratorIllEEPS6_NSA_22TransformInputIteratorIb7NonZeroIfEPflEENS0_5tupleIJPlS6_EEENSJ_IJSD_SD_EEES6_SK_JS6_EEE10hipError_tPvRmT3_T4_T5_T6_T7_T9_mT8_P12ihipStream_tbDpT10_ENKUlT_T0_E_clISt17integral_constantIbLb1EES16_EEDaS11_S12_EUlS11_E_NS1_11comp_targetILNS1_3genE8ELNS1_11target_archE1030ELNS1_3gpuE2ELNS1_3repE0EEENS1_30default_config_static_selectorELNS0_4arch9wavefront6targetE0EEEvT1_,"axG",@progbits,_ZN7rocprim17ROCPRIM_400000_NS6detail17trampoline_kernelINS0_14default_configENS1_25partition_config_selectorILNS1_17partition_subalgoE5ElNS0_10empty_typeEbEEZZNS1_14partition_implILS5_5ELb0ES3_mN6hipcub16HIPCUB_304000_NS21CountingInputIteratorIllEEPS6_NSA_22TransformInputIteratorIb7NonZeroIfEPflEENS0_5tupleIJPlS6_EEENSJ_IJSD_SD_EEES6_SK_JS6_EEE10hipError_tPvRmT3_T4_T5_T6_T7_T9_mT8_P12ihipStream_tbDpT10_ENKUlT_T0_E_clISt17integral_constantIbLb1EES16_EEDaS11_S12_EUlS11_E_NS1_11comp_targetILNS1_3genE8ELNS1_11target_archE1030ELNS1_3gpuE2ELNS1_3repE0EEENS1_30default_config_static_selectorELNS0_4arch9wavefront6targetE0EEEvT1_,comdat
.Lfunc_end268:
	.size	_ZN7rocprim17ROCPRIM_400000_NS6detail17trampoline_kernelINS0_14default_configENS1_25partition_config_selectorILNS1_17partition_subalgoE5ElNS0_10empty_typeEbEEZZNS1_14partition_implILS5_5ELb0ES3_mN6hipcub16HIPCUB_304000_NS21CountingInputIteratorIllEEPS6_NSA_22TransformInputIteratorIb7NonZeroIfEPflEENS0_5tupleIJPlS6_EEENSJ_IJSD_SD_EEES6_SK_JS6_EEE10hipError_tPvRmT3_T4_T5_T6_T7_T9_mT8_P12ihipStream_tbDpT10_ENKUlT_T0_E_clISt17integral_constantIbLb1EES16_EEDaS11_S12_EUlS11_E_NS1_11comp_targetILNS1_3genE8ELNS1_11target_archE1030ELNS1_3gpuE2ELNS1_3repE0EEENS1_30default_config_static_selectorELNS0_4arch9wavefront6targetE0EEEvT1_, .Lfunc_end268-_ZN7rocprim17ROCPRIM_400000_NS6detail17trampoline_kernelINS0_14default_configENS1_25partition_config_selectorILNS1_17partition_subalgoE5ElNS0_10empty_typeEbEEZZNS1_14partition_implILS5_5ELb0ES3_mN6hipcub16HIPCUB_304000_NS21CountingInputIteratorIllEEPS6_NSA_22TransformInputIteratorIb7NonZeroIfEPflEENS0_5tupleIJPlS6_EEENSJ_IJSD_SD_EEES6_SK_JS6_EEE10hipError_tPvRmT3_T4_T5_T6_T7_T9_mT8_P12ihipStream_tbDpT10_ENKUlT_T0_E_clISt17integral_constantIbLb1EES16_EEDaS11_S12_EUlS11_E_NS1_11comp_targetILNS1_3genE8ELNS1_11target_archE1030ELNS1_3gpuE2ELNS1_3repE0EEENS1_30default_config_static_selectorELNS0_4arch9wavefront6targetE0EEEvT1_
                                        ; -- End function
	.section	.AMDGPU.csdata,"",@progbits
; Kernel info:
; codeLenInByte = 0
; NumSgprs: 0
; NumVgprs: 0
; ScratchSize: 0
; MemoryBound: 0
; FloatMode: 240
; IeeeMode: 1
; LDSByteSize: 0 bytes/workgroup (compile time only)
; SGPRBlocks: 0
; VGPRBlocks: 0
; NumSGPRsForWavesPerEU: 1
; NumVGPRsForWavesPerEU: 1
; Occupancy: 16
; WaveLimiterHint : 0
; COMPUTE_PGM_RSRC2:SCRATCH_EN: 0
; COMPUTE_PGM_RSRC2:USER_SGPR: 15
; COMPUTE_PGM_RSRC2:TRAP_HANDLER: 0
; COMPUTE_PGM_RSRC2:TGID_X_EN: 1
; COMPUTE_PGM_RSRC2:TGID_Y_EN: 0
; COMPUTE_PGM_RSRC2:TGID_Z_EN: 0
; COMPUTE_PGM_RSRC2:TIDIG_COMP_CNT: 0
	.section	.text._ZN7rocprim17ROCPRIM_400000_NS6detail17trampoline_kernelINS0_14default_configENS1_25partition_config_selectorILNS1_17partition_subalgoE5ElNS0_10empty_typeEbEEZZNS1_14partition_implILS5_5ELb0ES3_mN6hipcub16HIPCUB_304000_NS21CountingInputIteratorIllEEPS6_NSA_22TransformInputIteratorIb7NonZeroIfEPflEENS0_5tupleIJPlS6_EEENSJ_IJSD_SD_EEES6_SK_JS6_EEE10hipError_tPvRmT3_T4_T5_T6_T7_T9_mT8_P12ihipStream_tbDpT10_ENKUlT_T0_E_clISt17integral_constantIbLb1EES15_IbLb0EEEEDaS11_S12_EUlS11_E_NS1_11comp_targetILNS1_3genE0ELNS1_11target_archE4294967295ELNS1_3gpuE0ELNS1_3repE0EEENS1_30default_config_static_selectorELNS0_4arch9wavefront6targetE0EEEvT1_,"axG",@progbits,_ZN7rocprim17ROCPRIM_400000_NS6detail17trampoline_kernelINS0_14default_configENS1_25partition_config_selectorILNS1_17partition_subalgoE5ElNS0_10empty_typeEbEEZZNS1_14partition_implILS5_5ELb0ES3_mN6hipcub16HIPCUB_304000_NS21CountingInputIteratorIllEEPS6_NSA_22TransformInputIteratorIb7NonZeroIfEPflEENS0_5tupleIJPlS6_EEENSJ_IJSD_SD_EEES6_SK_JS6_EEE10hipError_tPvRmT3_T4_T5_T6_T7_T9_mT8_P12ihipStream_tbDpT10_ENKUlT_T0_E_clISt17integral_constantIbLb1EES15_IbLb0EEEEDaS11_S12_EUlS11_E_NS1_11comp_targetILNS1_3genE0ELNS1_11target_archE4294967295ELNS1_3gpuE0ELNS1_3repE0EEENS1_30default_config_static_selectorELNS0_4arch9wavefront6targetE0EEEvT1_,comdat
	.protected	_ZN7rocprim17ROCPRIM_400000_NS6detail17trampoline_kernelINS0_14default_configENS1_25partition_config_selectorILNS1_17partition_subalgoE5ElNS0_10empty_typeEbEEZZNS1_14partition_implILS5_5ELb0ES3_mN6hipcub16HIPCUB_304000_NS21CountingInputIteratorIllEEPS6_NSA_22TransformInputIteratorIb7NonZeroIfEPflEENS0_5tupleIJPlS6_EEENSJ_IJSD_SD_EEES6_SK_JS6_EEE10hipError_tPvRmT3_T4_T5_T6_T7_T9_mT8_P12ihipStream_tbDpT10_ENKUlT_T0_E_clISt17integral_constantIbLb1EES15_IbLb0EEEEDaS11_S12_EUlS11_E_NS1_11comp_targetILNS1_3genE0ELNS1_11target_archE4294967295ELNS1_3gpuE0ELNS1_3repE0EEENS1_30default_config_static_selectorELNS0_4arch9wavefront6targetE0EEEvT1_ ; -- Begin function _ZN7rocprim17ROCPRIM_400000_NS6detail17trampoline_kernelINS0_14default_configENS1_25partition_config_selectorILNS1_17partition_subalgoE5ElNS0_10empty_typeEbEEZZNS1_14partition_implILS5_5ELb0ES3_mN6hipcub16HIPCUB_304000_NS21CountingInputIteratorIllEEPS6_NSA_22TransformInputIteratorIb7NonZeroIfEPflEENS0_5tupleIJPlS6_EEENSJ_IJSD_SD_EEES6_SK_JS6_EEE10hipError_tPvRmT3_T4_T5_T6_T7_T9_mT8_P12ihipStream_tbDpT10_ENKUlT_T0_E_clISt17integral_constantIbLb1EES15_IbLb0EEEEDaS11_S12_EUlS11_E_NS1_11comp_targetILNS1_3genE0ELNS1_11target_archE4294967295ELNS1_3gpuE0ELNS1_3repE0EEENS1_30default_config_static_selectorELNS0_4arch9wavefront6targetE0EEEvT1_
	.globl	_ZN7rocprim17ROCPRIM_400000_NS6detail17trampoline_kernelINS0_14default_configENS1_25partition_config_selectorILNS1_17partition_subalgoE5ElNS0_10empty_typeEbEEZZNS1_14partition_implILS5_5ELb0ES3_mN6hipcub16HIPCUB_304000_NS21CountingInputIteratorIllEEPS6_NSA_22TransformInputIteratorIb7NonZeroIfEPflEENS0_5tupleIJPlS6_EEENSJ_IJSD_SD_EEES6_SK_JS6_EEE10hipError_tPvRmT3_T4_T5_T6_T7_T9_mT8_P12ihipStream_tbDpT10_ENKUlT_T0_E_clISt17integral_constantIbLb1EES15_IbLb0EEEEDaS11_S12_EUlS11_E_NS1_11comp_targetILNS1_3genE0ELNS1_11target_archE4294967295ELNS1_3gpuE0ELNS1_3repE0EEENS1_30default_config_static_selectorELNS0_4arch9wavefront6targetE0EEEvT1_
	.p2align	8
	.type	_ZN7rocprim17ROCPRIM_400000_NS6detail17trampoline_kernelINS0_14default_configENS1_25partition_config_selectorILNS1_17partition_subalgoE5ElNS0_10empty_typeEbEEZZNS1_14partition_implILS5_5ELb0ES3_mN6hipcub16HIPCUB_304000_NS21CountingInputIteratorIllEEPS6_NSA_22TransformInputIteratorIb7NonZeroIfEPflEENS0_5tupleIJPlS6_EEENSJ_IJSD_SD_EEES6_SK_JS6_EEE10hipError_tPvRmT3_T4_T5_T6_T7_T9_mT8_P12ihipStream_tbDpT10_ENKUlT_T0_E_clISt17integral_constantIbLb1EES15_IbLb0EEEEDaS11_S12_EUlS11_E_NS1_11comp_targetILNS1_3genE0ELNS1_11target_archE4294967295ELNS1_3gpuE0ELNS1_3repE0EEENS1_30default_config_static_selectorELNS0_4arch9wavefront6targetE0EEEvT1_,@function
_ZN7rocprim17ROCPRIM_400000_NS6detail17trampoline_kernelINS0_14default_configENS1_25partition_config_selectorILNS1_17partition_subalgoE5ElNS0_10empty_typeEbEEZZNS1_14partition_implILS5_5ELb0ES3_mN6hipcub16HIPCUB_304000_NS21CountingInputIteratorIllEEPS6_NSA_22TransformInputIteratorIb7NonZeroIfEPflEENS0_5tupleIJPlS6_EEENSJ_IJSD_SD_EEES6_SK_JS6_EEE10hipError_tPvRmT3_T4_T5_T6_T7_T9_mT8_P12ihipStream_tbDpT10_ENKUlT_T0_E_clISt17integral_constantIbLb1EES15_IbLb0EEEEDaS11_S12_EUlS11_E_NS1_11comp_targetILNS1_3genE0ELNS1_11target_archE4294967295ELNS1_3gpuE0ELNS1_3repE0EEENS1_30default_config_static_selectorELNS0_4arch9wavefront6targetE0EEEvT1_: ; @_ZN7rocprim17ROCPRIM_400000_NS6detail17trampoline_kernelINS0_14default_configENS1_25partition_config_selectorILNS1_17partition_subalgoE5ElNS0_10empty_typeEbEEZZNS1_14partition_implILS5_5ELb0ES3_mN6hipcub16HIPCUB_304000_NS21CountingInputIteratorIllEEPS6_NSA_22TransformInputIteratorIb7NonZeroIfEPflEENS0_5tupleIJPlS6_EEENSJ_IJSD_SD_EEES6_SK_JS6_EEE10hipError_tPvRmT3_T4_T5_T6_T7_T9_mT8_P12ihipStream_tbDpT10_ENKUlT_T0_E_clISt17integral_constantIbLb1EES15_IbLb0EEEEDaS11_S12_EUlS11_E_NS1_11comp_targetILNS1_3genE0ELNS1_11target_archE4294967295ELNS1_3gpuE0ELNS1_3repE0EEENS1_30default_config_static_selectorELNS0_4arch9wavefront6targetE0EEEvT1_
; %bb.0:
	.section	.rodata,"a",@progbits
	.p2align	6, 0x0
	.amdhsa_kernel _ZN7rocprim17ROCPRIM_400000_NS6detail17trampoline_kernelINS0_14default_configENS1_25partition_config_selectorILNS1_17partition_subalgoE5ElNS0_10empty_typeEbEEZZNS1_14partition_implILS5_5ELb0ES3_mN6hipcub16HIPCUB_304000_NS21CountingInputIteratorIllEEPS6_NSA_22TransformInputIteratorIb7NonZeroIfEPflEENS0_5tupleIJPlS6_EEENSJ_IJSD_SD_EEES6_SK_JS6_EEE10hipError_tPvRmT3_T4_T5_T6_T7_T9_mT8_P12ihipStream_tbDpT10_ENKUlT_T0_E_clISt17integral_constantIbLb1EES15_IbLb0EEEEDaS11_S12_EUlS11_E_NS1_11comp_targetILNS1_3genE0ELNS1_11target_archE4294967295ELNS1_3gpuE0ELNS1_3repE0EEENS1_30default_config_static_selectorELNS0_4arch9wavefront6targetE0EEEvT1_
		.amdhsa_group_segment_fixed_size 0
		.amdhsa_private_segment_fixed_size 0
		.amdhsa_kernarg_size 120
		.amdhsa_user_sgpr_count 15
		.amdhsa_user_sgpr_dispatch_ptr 0
		.amdhsa_user_sgpr_queue_ptr 0
		.amdhsa_user_sgpr_kernarg_segment_ptr 1
		.amdhsa_user_sgpr_dispatch_id 0
		.amdhsa_user_sgpr_private_segment_size 0
		.amdhsa_wavefront_size32 1
		.amdhsa_uses_dynamic_stack 0
		.amdhsa_enable_private_segment 0
		.amdhsa_system_sgpr_workgroup_id_x 1
		.amdhsa_system_sgpr_workgroup_id_y 0
		.amdhsa_system_sgpr_workgroup_id_z 0
		.amdhsa_system_sgpr_workgroup_info 0
		.amdhsa_system_vgpr_workitem_id 0
		.amdhsa_next_free_vgpr 1
		.amdhsa_next_free_sgpr 1
		.amdhsa_reserve_vcc 0
		.amdhsa_float_round_mode_32 0
		.amdhsa_float_round_mode_16_64 0
		.amdhsa_float_denorm_mode_32 3
		.amdhsa_float_denorm_mode_16_64 3
		.amdhsa_dx10_clamp 1
		.amdhsa_ieee_mode 1
		.amdhsa_fp16_overflow 0
		.amdhsa_workgroup_processor_mode 1
		.amdhsa_memory_ordered 1
		.amdhsa_forward_progress 0
		.amdhsa_shared_vgpr_count 0
		.amdhsa_exception_fp_ieee_invalid_op 0
		.amdhsa_exception_fp_denorm_src 0
		.amdhsa_exception_fp_ieee_div_zero 0
		.amdhsa_exception_fp_ieee_overflow 0
		.amdhsa_exception_fp_ieee_underflow 0
		.amdhsa_exception_fp_ieee_inexact 0
		.amdhsa_exception_int_div_zero 0
	.end_amdhsa_kernel
	.section	.text._ZN7rocprim17ROCPRIM_400000_NS6detail17trampoline_kernelINS0_14default_configENS1_25partition_config_selectorILNS1_17partition_subalgoE5ElNS0_10empty_typeEbEEZZNS1_14partition_implILS5_5ELb0ES3_mN6hipcub16HIPCUB_304000_NS21CountingInputIteratorIllEEPS6_NSA_22TransformInputIteratorIb7NonZeroIfEPflEENS0_5tupleIJPlS6_EEENSJ_IJSD_SD_EEES6_SK_JS6_EEE10hipError_tPvRmT3_T4_T5_T6_T7_T9_mT8_P12ihipStream_tbDpT10_ENKUlT_T0_E_clISt17integral_constantIbLb1EES15_IbLb0EEEEDaS11_S12_EUlS11_E_NS1_11comp_targetILNS1_3genE0ELNS1_11target_archE4294967295ELNS1_3gpuE0ELNS1_3repE0EEENS1_30default_config_static_selectorELNS0_4arch9wavefront6targetE0EEEvT1_,"axG",@progbits,_ZN7rocprim17ROCPRIM_400000_NS6detail17trampoline_kernelINS0_14default_configENS1_25partition_config_selectorILNS1_17partition_subalgoE5ElNS0_10empty_typeEbEEZZNS1_14partition_implILS5_5ELb0ES3_mN6hipcub16HIPCUB_304000_NS21CountingInputIteratorIllEEPS6_NSA_22TransformInputIteratorIb7NonZeroIfEPflEENS0_5tupleIJPlS6_EEENSJ_IJSD_SD_EEES6_SK_JS6_EEE10hipError_tPvRmT3_T4_T5_T6_T7_T9_mT8_P12ihipStream_tbDpT10_ENKUlT_T0_E_clISt17integral_constantIbLb1EES15_IbLb0EEEEDaS11_S12_EUlS11_E_NS1_11comp_targetILNS1_3genE0ELNS1_11target_archE4294967295ELNS1_3gpuE0ELNS1_3repE0EEENS1_30default_config_static_selectorELNS0_4arch9wavefront6targetE0EEEvT1_,comdat
.Lfunc_end269:
	.size	_ZN7rocprim17ROCPRIM_400000_NS6detail17trampoline_kernelINS0_14default_configENS1_25partition_config_selectorILNS1_17partition_subalgoE5ElNS0_10empty_typeEbEEZZNS1_14partition_implILS5_5ELb0ES3_mN6hipcub16HIPCUB_304000_NS21CountingInputIteratorIllEEPS6_NSA_22TransformInputIteratorIb7NonZeroIfEPflEENS0_5tupleIJPlS6_EEENSJ_IJSD_SD_EEES6_SK_JS6_EEE10hipError_tPvRmT3_T4_T5_T6_T7_T9_mT8_P12ihipStream_tbDpT10_ENKUlT_T0_E_clISt17integral_constantIbLb1EES15_IbLb0EEEEDaS11_S12_EUlS11_E_NS1_11comp_targetILNS1_3genE0ELNS1_11target_archE4294967295ELNS1_3gpuE0ELNS1_3repE0EEENS1_30default_config_static_selectorELNS0_4arch9wavefront6targetE0EEEvT1_, .Lfunc_end269-_ZN7rocprim17ROCPRIM_400000_NS6detail17trampoline_kernelINS0_14default_configENS1_25partition_config_selectorILNS1_17partition_subalgoE5ElNS0_10empty_typeEbEEZZNS1_14partition_implILS5_5ELb0ES3_mN6hipcub16HIPCUB_304000_NS21CountingInputIteratorIllEEPS6_NSA_22TransformInputIteratorIb7NonZeroIfEPflEENS0_5tupleIJPlS6_EEENSJ_IJSD_SD_EEES6_SK_JS6_EEE10hipError_tPvRmT3_T4_T5_T6_T7_T9_mT8_P12ihipStream_tbDpT10_ENKUlT_T0_E_clISt17integral_constantIbLb1EES15_IbLb0EEEEDaS11_S12_EUlS11_E_NS1_11comp_targetILNS1_3genE0ELNS1_11target_archE4294967295ELNS1_3gpuE0ELNS1_3repE0EEENS1_30default_config_static_selectorELNS0_4arch9wavefront6targetE0EEEvT1_
                                        ; -- End function
	.section	.AMDGPU.csdata,"",@progbits
; Kernel info:
; codeLenInByte = 0
; NumSgprs: 0
; NumVgprs: 0
; ScratchSize: 0
; MemoryBound: 0
; FloatMode: 240
; IeeeMode: 1
; LDSByteSize: 0 bytes/workgroup (compile time only)
; SGPRBlocks: 0
; VGPRBlocks: 0
; NumSGPRsForWavesPerEU: 1
; NumVGPRsForWavesPerEU: 1
; Occupancy: 16
; WaveLimiterHint : 0
; COMPUTE_PGM_RSRC2:SCRATCH_EN: 0
; COMPUTE_PGM_RSRC2:USER_SGPR: 15
; COMPUTE_PGM_RSRC2:TRAP_HANDLER: 0
; COMPUTE_PGM_RSRC2:TGID_X_EN: 1
; COMPUTE_PGM_RSRC2:TGID_Y_EN: 0
; COMPUTE_PGM_RSRC2:TGID_Z_EN: 0
; COMPUTE_PGM_RSRC2:TIDIG_COMP_CNT: 0
	.section	.text._ZN7rocprim17ROCPRIM_400000_NS6detail17trampoline_kernelINS0_14default_configENS1_25partition_config_selectorILNS1_17partition_subalgoE5ElNS0_10empty_typeEbEEZZNS1_14partition_implILS5_5ELb0ES3_mN6hipcub16HIPCUB_304000_NS21CountingInputIteratorIllEEPS6_NSA_22TransformInputIteratorIb7NonZeroIfEPflEENS0_5tupleIJPlS6_EEENSJ_IJSD_SD_EEES6_SK_JS6_EEE10hipError_tPvRmT3_T4_T5_T6_T7_T9_mT8_P12ihipStream_tbDpT10_ENKUlT_T0_E_clISt17integral_constantIbLb1EES15_IbLb0EEEEDaS11_S12_EUlS11_E_NS1_11comp_targetILNS1_3genE5ELNS1_11target_archE942ELNS1_3gpuE9ELNS1_3repE0EEENS1_30default_config_static_selectorELNS0_4arch9wavefront6targetE0EEEvT1_,"axG",@progbits,_ZN7rocprim17ROCPRIM_400000_NS6detail17trampoline_kernelINS0_14default_configENS1_25partition_config_selectorILNS1_17partition_subalgoE5ElNS0_10empty_typeEbEEZZNS1_14partition_implILS5_5ELb0ES3_mN6hipcub16HIPCUB_304000_NS21CountingInputIteratorIllEEPS6_NSA_22TransformInputIteratorIb7NonZeroIfEPflEENS0_5tupleIJPlS6_EEENSJ_IJSD_SD_EEES6_SK_JS6_EEE10hipError_tPvRmT3_T4_T5_T6_T7_T9_mT8_P12ihipStream_tbDpT10_ENKUlT_T0_E_clISt17integral_constantIbLb1EES15_IbLb0EEEEDaS11_S12_EUlS11_E_NS1_11comp_targetILNS1_3genE5ELNS1_11target_archE942ELNS1_3gpuE9ELNS1_3repE0EEENS1_30default_config_static_selectorELNS0_4arch9wavefront6targetE0EEEvT1_,comdat
	.protected	_ZN7rocprim17ROCPRIM_400000_NS6detail17trampoline_kernelINS0_14default_configENS1_25partition_config_selectorILNS1_17partition_subalgoE5ElNS0_10empty_typeEbEEZZNS1_14partition_implILS5_5ELb0ES3_mN6hipcub16HIPCUB_304000_NS21CountingInputIteratorIllEEPS6_NSA_22TransformInputIteratorIb7NonZeroIfEPflEENS0_5tupleIJPlS6_EEENSJ_IJSD_SD_EEES6_SK_JS6_EEE10hipError_tPvRmT3_T4_T5_T6_T7_T9_mT8_P12ihipStream_tbDpT10_ENKUlT_T0_E_clISt17integral_constantIbLb1EES15_IbLb0EEEEDaS11_S12_EUlS11_E_NS1_11comp_targetILNS1_3genE5ELNS1_11target_archE942ELNS1_3gpuE9ELNS1_3repE0EEENS1_30default_config_static_selectorELNS0_4arch9wavefront6targetE0EEEvT1_ ; -- Begin function _ZN7rocprim17ROCPRIM_400000_NS6detail17trampoline_kernelINS0_14default_configENS1_25partition_config_selectorILNS1_17partition_subalgoE5ElNS0_10empty_typeEbEEZZNS1_14partition_implILS5_5ELb0ES3_mN6hipcub16HIPCUB_304000_NS21CountingInputIteratorIllEEPS6_NSA_22TransformInputIteratorIb7NonZeroIfEPflEENS0_5tupleIJPlS6_EEENSJ_IJSD_SD_EEES6_SK_JS6_EEE10hipError_tPvRmT3_T4_T5_T6_T7_T9_mT8_P12ihipStream_tbDpT10_ENKUlT_T0_E_clISt17integral_constantIbLb1EES15_IbLb0EEEEDaS11_S12_EUlS11_E_NS1_11comp_targetILNS1_3genE5ELNS1_11target_archE942ELNS1_3gpuE9ELNS1_3repE0EEENS1_30default_config_static_selectorELNS0_4arch9wavefront6targetE0EEEvT1_
	.globl	_ZN7rocprim17ROCPRIM_400000_NS6detail17trampoline_kernelINS0_14default_configENS1_25partition_config_selectorILNS1_17partition_subalgoE5ElNS0_10empty_typeEbEEZZNS1_14partition_implILS5_5ELb0ES3_mN6hipcub16HIPCUB_304000_NS21CountingInputIteratorIllEEPS6_NSA_22TransformInputIteratorIb7NonZeroIfEPflEENS0_5tupleIJPlS6_EEENSJ_IJSD_SD_EEES6_SK_JS6_EEE10hipError_tPvRmT3_T4_T5_T6_T7_T9_mT8_P12ihipStream_tbDpT10_ENKUlT_T0_E_clISt17integral_constantIbLb1EES15_IbLb0EEEEDaS11_S12_EUlS11_E_NS1_11comp_targetILNS1_3genE5ELNS1_11target_archE942ELNS1_3gpuE9ELNS1_3repE0EEENS1_30default_config_static_selectorELNS0_4arch9wavefront6targetE0EEEvT1_
	.p2align	8
	.type	_ZN7rocprim17ROCPRIM_400000_NS6detail17trampoline_kernelINS0_14default_configENS1_25partition_config_selectorILNS1_17partition_subalgoE5ElNS0_10empty_typeEbEEZZNS1_14partition_implILS5_5ELb0ES3_mN6hipcub16HIPCUB_304000_NS21CountingInputIteratorIllEEPS6_NSA_22TransformInputIteratorIb7NonZeroIfEPflEENS0_5tupleIJPlS6_EEENSJ_IJSD_SD_EEES6_SK_JS6_EEE10hipError_tPvRmT3_T4_T5_T6_T7_T9_mT8_P12ihipStream_tbDpT10_ENKUlT_T0_E_clISt17integral_constantIbLb1EES15_IbLb0EEEEDaS11_S12_EUlS11_E_NS1_11comp_targetILNS1_3genE5ELNS1_11target_archE942ELNS1_3gpuE9ELNS1_3repE0EEENS1_30default_config_static_selectorELNS0_4arch9wavefront6targetE0EEEvT1_,@function
_ZN7rocprim17ROCPRIM_400000_NS6detail17trampoline_kernelINS0_14default_configENS1_25partition_config_selectorILNS1_17partition_subalgoE5ElNS0_10empty_typeEbEEZZNS1_14partition_implILS5_5ELb0ES3_mN6hipcub16HIPCUB_304000_NS21CountingInputIteratorIllEEPS6_NSA_22TransformInputIteratorIb7NonZeroIfEPflEENS0_5tupleIJPlS6_EEENSJ_IJSD_SD_EEES6_SK_JS6_EEE10hipError_tPvRmT3_T4_T5_T6_T7_T9_mT8_P12ihipStream_tbDpT10_ENKUlT_T0_E_clISt17integral_constantIbLb1EES15_IbLb0EEEEDaS11_S12_EUlS11_E_NS1_11comp_targetILNS1_3genE5ELNS1_11target_archE942ELNS1_3gpuE9ELNS1_3repE0EEENS1_30default_config_static_selectorELNS0_4arch9wavefront6targetE0EEEvT1_: ; @_ZN7rocprim17ROCPRIM_400000_NS6detail17trampoline_kernelINS0_14default_configENS1_25partition_config_selectorILNS1_17partition_subalgoE5ElNS0_10empty_typeEbEEZZNS1_14partition_implILS5_5ELb0ES3_mN6hipcub16HIPCUB_304000_NS21CountingInputIteratorIllEEPS6_NSA_22TransformInputIteratorIb7NonZeroIfEPflEENS0_5tupleIJPlS6_EEENSJ_IJSD_SD_EEES6_SK_JS6_EEE10hipError_tPvRmT3_T4_T5_T6_T7_T9_mT8_P12ihipStream_tbDpT10_ENKUlT_T0_E_clISt17integral_constantIbLb1EES15_IbLb0EEEEDaS11_S12_EUlS11_E_NS1_11comp_targetILNS1_3genE5ELNS1_11target_archE942ELNS1_3gpuE9ELNS1_3repE0EEENS1_30default_config_static_selectorELNS0_4arch9wavefront6targetE0EEEvT1_
; %bb.0:
	.section	.rodata,"a",@progbits
	.p2align	6, 0x0
	.amdhsa_kernel _ZN7rocprim17ROCPRIM_400000_NS6detail17trampoline_kernelINS0_14default_configENS1_25partition_config_selectorILNS1_17partition_subalgoE5ElNS0_10empty_typeEbEEZZNS1_14partition_implILS5_5ELb0ES3_mN6hipcub16HIPCUB_304000_NS21CountingInputIteratorIllEEPS6_NSA_22TransformInputIteratorIb7NonZeroIfEPflEENS0_5tupleIJPlS6_EEENSJ_IJSD_SD_EEES6_SK_JS6_EEE10hipError_tPvRmT3_T4_T5_T6_T7_T9_mT8_P12ihipStream_tbDpT10_ENKUlT_T0_E_clISt17integral_constantIbLb1EES15_IbLb0EEEEDaS11_S12_EUlS11_E_NS1_11comp_targetILNS1_3genE5ELNS1_11target_archE942ELNS1_3gpuE9ELNS1_3repE0EEENS1_30default_config_static_selectorELNS0_4arch9wavefront6targetE0EEEvT1_
		.amdhsa_group_segment_fixed_size 0
		.amdhsa_private_segment_fixed_size 0
		.amdhsa_kernarg_size 120
		.amdhsa_user_sgpr_count 15
		.amdhsa_user_sgpr_dispatch_ptr 0
		.amdhsa_user_sgpr_queue_ptr 0
		.amdhsa_user_sgpr_kernarg_segment_ptr 1
		.amdhsa_user_sgpr_dispatch_id 0
		.amdhsa_user_sgpr_private_segment_size 0
		.amdhsa_wavefront_size32 1
		.amdhsa_uses_dynamic_stack 0
		.amdhsa_enable_private_segment 0
		.amdhsa_system_sgpr_workgroup_id_x 1
		.amdhsa_system_sgpr_workgroup_id_y 0
		.amdhsa_system_sgpr_workgroup_id_z 0
		.amdhsa_system_sgpr_workgroup_info 0
		.amdhsa_system_vgpr_workitem_id 0
		.amdhsa_next_free_vgpr 1
		.amdhsa_next_free_sgpr 1
		.amdhsa_reserve_vcc 0
		.amdhsa_float_round_mode_32 0
		.amdhsa_float_round_mode_16_64 0
		.amdhsa_float_denorm_mode_32 3
		.amdhsa_float_denorm_mode_16_64 3
		.amdhsa_dx10_clamp 1
		.amdhsa_ieee_mode 1
		.amdhsa_fp16_overflow 0
		.amdhsa_workgroup_processor_mode 1
		.amdhsa_memory_ordered 1
		.amdhsa_forward_progress 0
		.amdhsa_shared_vgpr_count 0
		.amdhsa_exception_fp_ieee_invalid_op 0
		.amdhsa_exception_fp_denorm_src 0
		.amdhsa_exception_fp_ieee_div_zero 0
		.amdhsa_exception_fp_ieee_overflow 0
		.amdhsa_exception_fp_ieee_underflow 0
		.amdhsa_exception_fp_ieee_inexact 0
		.amdhsa_exception_int_div_zero 0
	.end_amdhsa_kernel
	.section	.text._ZN7rocprim17ROCPRIM_400000_NS6detail17trampoline_kernelINS0_14default_configENS1_25partition_config_selectorILNS1_17partition_subalgoE5ElNS0_10empty_typeEbEEZZNS1_14partition_implILS5_5ELb0ES3_mN6hipcub16HIPCUB_304000_NS21CountingInputIteratorIllEEPS6_NSA_22TransformInputIteratorIb7NonZeroIfEPflEENS0_5tupleIJPlS6_EEENSJ_IJSD_SD_EEES6_SK_JS6_EEE10hipError_tPvRmT3_T4_T5_T6_T7_T9_mT8_P12ihipStream_tbDpT10_ENKUlT_T0_E_clISt17integral_constantIbLb1EES15_IbLb0EEEEDaS11_S12_EUlS11_E_NS1_11comp_targetILNS1_3genE5ELNS1_11target_archE942ELNS1_3gpuE9ELNS1_3repE0EEENS1_30default_config_static_selectorELNS0_4arch9wavefront6targetE0EEEvT1_,"axG",@progbits,_ZN7rocprim17ROCPRIM_400000_NS6detail17trampoline_kernelINS0_14default_configENS1_25partition_config_selectorILNS1_17partition_subalgoE5ElNS0_10empty_typeEbEEZZNS1_14partition_implILS5_5ELb0ES3_mN6hipcub16HIPCUB_304000_NS21CountingInputIteratorIllEEPS6_NSA_22TransformInputIteratorIb7NonZeroIfEPflEENS0_5tupleIJPlS6_EEENSJ_IJSD_SD_EEES6_SK_JS6_EEE10hipError_tPvRmT3_T4_T5_T6_T7_T9_mT8_P12ihipStream_tbDpT10_ENKUlT_T0_E_clISt17integral_constantIbLb1EES15_IbLb0EEEEDaS11_S12_EUlS11_E_NS1_11comp_targetILNS1_3genE5ELNS1_11target_archE942ELNS1_3gpuE9ELNS1_3repE0EEENS1_30default_config_static_selectorELNS0_4arch9wavefront6targetE0EEEvT1_,comdat
.Lfunc_end270:
	.size	_ZN7rocprim17ROCPRIM_400000_NS6detail17trampoline_kernelINS0_14default_configENS1_25partition_config_selectorILNS1_17partition_subalgoE5ElNS0_10empty_typeEbEEZZNS1_14partition_implILS5_5ELb0ES3_mN6hipcub16HIPCUB_304000_NS21CountingInputIteratorIllEEPS6_NSA_22TransformInputIteratorIb7NonZeroIfEPflEENS0_5tupleIJPlS6_EEENSJ_IJSD_SD_EEES6_SK_JS6_EEE10hipError_tPvRmT3_T4_T5_T6_T7_T9_mT8_P12ihipStream_tbDpT10_ENKUlT_T0_E_clISt17integral_constantIbLb1EES15_IbLb0EEEEDaS11_S12_EUlS11_E_NS1_11comp_targetILNS1_3genE5ELNS1_11target_archE942ELNS1_3gpuE9ELNS1_3repE0EEENS1_30default_config_static_selectorELNS0_4arch9wavefront6targetE0EEEvT1_, .Lfunc_end270-_ZN7rocprim17ROCPRIM_400000_NS6detail17trampoline_kernelINS0_14default_configENS1_25partition_config_selectorILNS1_17partition_subalgoE5ElNS0_10empty_typeEbEEZZNS1_14partition_implILS5_5ELb0ES3_mN6hipcub16HIPCUB_304000_NS21CountingInputIteratorIllEEPS6_NSA_22TransformInputIteratorIb7NonZeroIfEPflEENS0_5tupleIJPlS6_EEENSJ_IJSD_SD_EEES6_SK_JS6_EEE10hipError_tPvRmT3_T4_T5_T6_T7_T9_mT8_P12ihipStream_tbDpT10_ENKUlT_T0_E_clISt17integral_constantIbLb1EES15_IbLb0EEEEDaS11_S12_EUlS11_E_NS1_11comp_targetILNS1_3genE5ELNS1_11target_archE942ELNS1_3gpuE9ELNS1_3repE0EEENS1_30default_config_static_selectorELNS0_4arch9wavefront6targetE0EEEvT1_
                                        ; -- End function
	.section	.AMDGPU.csdata,"",@progbits
; Kernel info:
; codeLenInByte = 0
; NumSgprs: 0
; NumVgprs: 0
; ScratchSize: 0
; MemoryBound: 0
; FloatMode: 240
; IeeeMode: 1
; LDSByteSize: 0 bytes/workgroup (compile time only)
; SGPRBlocks: 0
; VGPRBlocks: 0
; NumSGPRsForWavesPerEU: 1
; NumVGPRsForWavesPerEU: 1
; Occupancy: 16
; WaveLimiterHint : 0
; COMPUTE_PGM_RSRC2:SCRATCH_EN: 0
; COMPUTE_PGM_RSRC2:USER_SGPR: 15
; COMPUTE_PGM_RSRC2:TRAP_HANDLER: 0
; COMPUTE_PGM_RSRC2:TGID_X_EN: 1
; COMPUTE_PGM_RSRC2:TGID_Y_EN: 0
; COMPUTE_PGM_RSRC2:TGID_Z_EN: 0
; COMPUTE_PGM_RSRC2:TIDIG_COMP_CNT: 0
	.section	.text._ZN7rocprim17ROCPRIM_400000_NS6detail17trampoline_kernelINS0_14default_configENS1_25partition_config_selectorILNS1_17partition_subalgoE5ElNS0_10empty_typeEbEEZZNS1_14partition_implILS5_5ELb0ES3_mN6hipcub16HIPCUB_304000_NS21CountingInputIteratorIllEEPS6_NSA_22TransformInputIteratorIb7NonZeroIfEPflEENS0_5tupleIJPlS6_EEENSJ_IJSD_SD_EEES6_SK_JS6_EEE10hipError_tPvRmT3_T4_T5_T6_T7_T9_mT8_P12ihipStream_tbDpT10_ENKUlT_T0_E_clISt17integral_constantIbLb1EES15_IbLb0EEEEDaS11_S12_EUlS11_E_NS1_11comp_targetILNS1_3genE4ELNS1_11target_archE910ELNS1_3gpuE8ELNS1_3repE0EEENS1_30default_config_static_selectorELNS0_4arch9wavefront6targetE0EEEvT1_,"axG",@progbits,_ZN7rocprim17ROCPRIM_400000_NS6detail17trampoline_kernelINS0_14default_configENS1_25partition_config_selectorILNS1_17partition_subalgoE5ElNS0_10empty_typeEbEEZZNS1_14partition_implILS5_5ELb0ES3_mN6hipcub16HIPCUB_304000_NS21CountingInputIteratorIllEEPS6_NSA_22TransformInputIteratorIb7NonZeroIfEPflEENS0_5tupleIJPlS6_EEENSJ_IJSD_SD_EEES6_SK_JS6_EEE10hipError_tPvRmT3_T4_T5_T6_T7_T9_mT8_P12ihipStream_tbDpT10_ENKUlT_T0_E_clISt17integral_constantIbLb1EES15_IbLb0EEEEDaS11_S12_EUlS11_E_NS1_11comp_targetILNS1_3genE4ELNS1_11target_archE910ELNS1_3gpuE8ELNS1_3repE0EEENS1_30default_config_static_selectorELNS0_4arch9wavefront6targetE0EEEvT1_,comdat
	.protected	_ZN7rocprim17ROCPRIM_400000_NS6detail17trampoline_kernelINS0_14default_configENS1_25partition_config_selectorILNS1_17partition_subalgoE5ElNS0_10empty_typeEbEEZZNS1_14partition_implILS5_5ELb0ES3_mN6hipcub16HIPCUB_304000_NS21CountingInputIteratorIllEEPS6_NSA_22TransformInputIteratorIb7NonZeroIfEPflEENS0_5tupleIJPlS6_EEENSJ_IJSD_SD_EEES6_SK_JS6_EEE10hipError_tPvRmT3_T4_T5_T6_T7_T9_mT8_P12ihipStream_tbDpT10_ENKUlT_T0_E_clISt17integral_constantIbLb1EES15_IbLb0EEEEDaS11_S12_EUlS11_E_NS1_11comp_targetILNS1_3genE4ELNS1_11target_archE910ELNS1_3gpuE8ELNS1_3repE0EEENS1_30default_config_static_selectorELNS0_4arch9wavefront6targetE0EEEvT1_ ; -- Begin function _ZN7rocprim17ROCPRIM_400000_NS6detail17trampoline_kernelINS0_14default_configENS1_25partition_config_selectorILNS1_17partition_subalgoE5ElNS0_10empty_typeEbEEZZNS1_14partition_implILS5_5ELb0ES3_mN6hipcub16HIPCUB_304000_NS21CountingInputIteratorIllEEPS6_NSA_22TransformInputIteratorIb7NonZeroIfEPflEENS0_5tupleIJPlS6_EEENSJ_IJSD_SD_EEES6_SK_JS6_EEE10hipError_tPvRmT3_T4_T5_T6_T7_T9_mT8_P12ihipStream_tbDpT10_ENKUlT_T0_E_clISt17integral_constantIbLb1EES15_IbLb0EEEEDaS11_S12_EUlS11_E_NS1_11comp_targetILNS1_3genE4ELNS1_11target_archE910ELNS1_3gpuE8ELNS1_3repE0EEENS1_30default_config_static_selectorELNS0_4arch9wavefront6targetE0EEEvT1_
	.globl	_ZN7rocprim17ROCPRIM_400000_NS6detail17trampoline_kernelINS0_14default_configENS1_25partition_config_selectorILNS1_17partition_subalgoE5ElNS0_10empty_typeEbEEZZNS1_14partition_implILS5_5ELb0ES3_mN6hipcub16HIPCUB_304000_NS21CountingInputIteratorIllEEPS6_NSA_22TransformInputIteratorIb7NonZeroIfEPflEENS0_5tupleIJPlS6_EEENSJ_IJSD_SD_EEES6_SK_JS6_EEE10hipError_tPvRmT3_T4_T5_T6_T7_T9_mT8_P12ihipStream_tbDpT10_ENKUlT_T0_E_clISt17integral_constantIbLb1EES15_IbLb0EEEEDaS11_S12_EUlS11_E_NS1_11comp_targetILNS1_3genE4ELNS1_11target_archE910ELNS1_3gpuE8ELNS1_3repE0EEENS1_30default_config_static_selectorELNS0_4arch9wavefront6targetE0EEEvT1_
	.p2align	8
	.type	_ZN7rocprim17ROCPRIM_400000_NS6detail17trampoline_kernelINS0_14default_configENS1_25partition_config_selectorILNS1_17partition_subalgoE5ElNS0_10empty_typeEbEEZZNS1_14partition_implILS5_5ELb0ES3_mN6hipcub16HIPCUB_304000_NS21CountingInputIteratorIllEEPS6_NSA_22TransformInputIteratorIb7NonZeroIfEPflEENS0_5tupleIJPlS6_EEENSJ_IJSD_SD_EEES6_SK_JS6_EEE10hipError_tPvRmT3_T4_T5_T6_T7_T9_mT8_P12ihipStream_tbDpT10_ENKUlT_T0_E_clISt17integral_constantIbLb1EES15_IbLb0EEEEDaS11_S12_EUlS11_E_NS1_11comp_targetILNS1_3genE4ELNS1_11target_archE910ELNS1_3gpuE8ELNS1_3repE0EEENS1_30default_config_static_selectorELNS0_4arch9wavefront6targetE0EEEvT1_,@function
_ZN7rocprim17ROCPRIM_400000_NS6detail17trampoline_kernelINS0_14default_configENS1_25partition_config_selectorILNS1_17partition_subalgoE5ElNS0_10empty_typeEbEEZZNS1_14partition_implILS5_5ELb0ES3_mN6hipcub16HIPCUB_304000_NS21CountingInputIteratorIllEEPS6_NSA_22TransformInputIteratorIb7NonZeroIfEPflEENS0_5tupleIJPlS6_EEENSJ_IJSD_SD_EEES6_SK_JS6_EEE10hipError_tPvRmT3_T4_T5_T6_T7_T9_mT8_P12ihipStream_tbDpT10_ENKUlT_T0_E_clISt17integral_constantIbLb1EES15_IbLb0EEEEDaS11_S12_EUlS11_E_NS1_11comp_targetILNS1_3genE4ELNS1_11target_archE910ELNS1_3gpuE8ELNS1_3repE0EEENS1_30default_config_static_selectorELNS0_4arch9wavefront6targetE0EEEvT1_: ; @_ZN7rocprim17ROCPRIM_400000_NS6detail17trampoline_kernelINS0_14default_configENS1_25partition_config_selectorILNS1_17partition_subalgoE5ElNS0_10empty_typeEbEEZZNS1_14partition_implILS5_5ELb0ES3_mN6hipcub16HIPCUB_304000_NS21CountingInputIteratorIllEEPS6_NSA_22TransformInputIteratorIb7NonZeroIfEPflEENS0_5tupleIJPlS6_EEENSJ_IJSD_SD_EEES6_SK_JS6_EEE10hipError_tPvRmT3_T4_T5_T6_T7_T9_mT8_P12ihipStream_tbDpT10_ENKUlT_T0_E_clISt17integral_constantIbLb1EES15_IbLb0EEEEDaS11_S12_EUlS11_E_NS1_11comp_targetILNS1_3genE4ELNS1_11target_archE910ELNS1_3gpuE8ELNS1_3repE0EEENS1_30default_config_static_selectorELNS0_4arch9wavefront6targetE0EEEvT1_
; %bb.0:
	.section	.rodata,"a",@progbits
	.p2align	6, 0x0
	.amdhsa_kernel _ZN7rocprim17ROCPRIM_400000_NS6detail17trampoline_kernelINS0_14default_configENS1_25partition_config_selectorILNS1_17partition_subalgoE5ElNS0_10empty_typeEbEEZZNS1_14partition_implILS5_5ELb0ES3_mN6hipcub16HIPCUB_304000_NS21CountingInputIteratorIllEEPS6_NSA_22TransformInputIteratorIb7NonZeroIfEPflEENS0_5tupleIJPlS6_EEENSJ_IJSD_SD_EEES6_SK_JS6_EEE10hipError_tPvRmT3_T4_T5_T6_T7_T9_mT8_P12ihipStream_tbDpT10_ENKUlT_T0_E_clISt17integral_constantIbLb1EES15_IbLb0EEEEDaS11_S12_EUlS11_E_NS1_11comp_targetILNS1_3genE4ELNS1_11target_archE910ELNS1_3gpuE8ELNS1_3repE0EEENS1_30default_config_static_selectorELNS0_4arch9wavefront6targetE0EEEvT1_
		.amdhsa_group_segment_fixed_size 0
		.amdhsa_private_segment_fixed_size 0
		.amdhsa_kernarg_size 120
		.amdhsa_user_sgpr_count 15
		.amdhsa_user_sgpr_dispatch_ptr 0
		.amdhsa_user_sgpr_queue_ptr 0
		.amdhsa_user_sgpr_kernarg_segment_ptr 1
		.amdhsa_user_sgpr_dispatch_id 0
		.amdhsa_user_sgpr_private_segment_size 0
		.amdhsa_wavefront_size32 1
		.amdhsa_uses_dynamic_stack 0
		.amdhsa_enable_private_segment 0
		.amdhsa_system_sgpr_workgroup_id_x 1
		.amdhsa_system_sgpr_workgroup_id_y 0
		.amdhsa_system_sgpr_workgroup_id_z 0
		.amdhsa_system_sgpr_workgroup_info 0
		.amdhsa_system_vgpr_workitem_id 0
		.amdhsa_next_free_vgpr 1
		.amdhsa_next_free_sgpr 1
		.amdhsa_reserve_vcc 0
		.amdhsa_float_round_mode_32 0
		.amdhsa_float_round_mode_16_64 0
		.amdhsa_float_denorm_mode_32 3
		.amdhsa_float_denorm_mode_16_64 3
		.amdhsa_dx10_clamp 1
		.amdhsa_ieee_mode 1
		.amdhsa_fp16_overflow 0
		.amdhsa_workgroup_processor_mode 1
		.amdhsa_memory_ordered 1
		.amdhsa_forward_progress 0
		.amdhsa_shared_vgpr_count 0
		.amdhsa_exception_fp_ieee_invalid_op 0
		.amdhsa_exception_fp_denorm_src 0
		.amdhsa_exception_fp_ieee_div_zero 0
		.amdhsa_exception_fp_ieee_overflow 0
		.amdhsa_exception_fp_ieee_underflow 0
		.amdhsa_exception_fp_ieee_inexact 0
		.amdhsa_exception_int_div_zero 0
	.end_amdhsa_kernel
	.section	.text._ZN7rocprim17ROCPRIM_400000_NS6detail17trampoline_kernelINS0_14default_configENS1_25partition_config_selectorILNS1_17partition_subalgoE5ElNS0_10empty_typeEbEEZZNS1_14partition_implILS5_5ELb0ES3_mN6hipcub16HIPCUB_304000_NS21CountingInputIteratorIllEEPS6_NSA_22TransformInputIteratorIb7NonZeroIfEPflEENS0_5tupleIJPlS6_EEENSJ_IJSD_SD_EEES6_SK_JS6_EEE10hipError_tPvRmT3_T4_T5_T6_T7_T9_mT8_P12ihipStream_tbDpT10_ENKUlT_T0_E_clISt17integral_constantIbLb1EES15_IbLb0EEEEDaS11_S12_EUlS11_E_NS1_11comp_targetILNS1_3genE4ELNS1_11target_archE910ELNS1_3gpuE8ELNS1_3repE0EEENS1_30default_config_static_selectorELNS0_4arch9wavefront6targetE0EEEvT1_,"axG",@progbits,_ZN7rocprim17ROCPRIM_400000_NS6detail17trampoline_kernelINS0_14default_configENS1_25partition_config_selectorILNS1_17partition_subalgoE5ElNS0_10empty_typeEbEEZZNS1_14partition_implILS5_5ELb0ES3_mN6hipcub16HIPCUB_304000_NS21CountingInputIteratorIllEEPS6_NSA_22TransformInputIteratorIb7NonZeroIfEPflEENS0_5tupleIJPlS6_EEENSJ_IJSD_SD_EEES6_SK_JS6_EEE10hipError_tPvRmT3_T4_T5_T6_T7_T9_mT8_P12ihipStream_tbDpT10_ENKUlT_T0_E_clISt17integral_constantIbLb1EES15_IbLb0EEEEDaS11_S12_EUlS11_E_NS1_11comp_targetILNS1_3genE4ELNS1_11target_archE910ELNS1_3gpuE8ELNS1_3repE0EEENS1_30default_config_static_selectorELNS0_4arch9wavefront6targetE0EEEvT1_,comdat
.Lfunc_end271:
	.size	_ZN7rocprim17ROCPRIM_400000_NS6detail17trampoline_kernelINS0_14default_configENS1_25partition_config_selectorILNS1_17partition_subalgoE5ElNS0_10empty_typeEbEEZZNS1_14partition_implILS5_5ELb0ES3_mN6hipcub16HIPCUB_304000_NS21CountingInputIteratorIllEEPS6_NSA_22TransformInputIteratorIb7NonZeroIfEPflEENS0_5tupleIJPlS6_EEENSJ_IJSD_SD_EEES6_SK_JS6_EEE10hipError_tPvRmT3_T4_T5_T6_T7_T9_mT8_P12ihipStream_tbDpT10_ENKUlT_T0_E_clISt17integral_constantIbLb1EES15_IbLb0EEEEDaS11_S12_EUlS11_E_NS1_11comp_targetILNS1_3genE4ELNS1_11target_archE910ELNS1_3gpuE8ELNS1_3repE0EEENS1_30default_config_static_selectorELNS0_4arch9wavefront6targetE0EEEvT1_, .Lfunc_end271-_ZN7rocprim17ROCPRIM_400000_NS6detail17trampoline_kernelINS0_14default_configENS1_25partition_config_selectorILNS1_17partition_subalgoE5ElNS0_10empty_typeEbEEZZNS1_14partition_implILS5_5ELb0ES3_mN6hipcub16HIPCUB_304000_NS21CountingInputIteratorIllEEPS6_NSA_22TransformInputIteratorIb7NonZeroIfEPflEENS0_5tupleIJPlS6_EEENSJ_IJSD_SD_EEES6_SK_JS6_EEE10hipError_tPvRmT3_T4_T5_T6_T7_T9_mT8_P12ihipStream_tbDpT10_ENKUlT_T0_E_clISt17integral_constantIbLb1EES15_IbLb0EEEEDaS11_S12_EUlS11_E_NS1_11comp_targetILNS1_3genE4ELNS1_11target_archE910ELNS1_3gpuE8ELNS1_3repE0EEENS1_30default_config_static_selectorELNS0_4arch9wavefront6targetE0EEEvT1_
                                        ; -- End function
	.section	.AMDGPU.csdata,"",@progbits
; Kernel info:
; codeLenInByte = 0
; NumSgprs: 0
; NumVgprs: 0
; ScratchSize: 0
; MemoryBound: 0
; FloatMode: 240
; IeeeMode: 1
; LDSByteSize: 0 bytes/workgroup (compile time only)
; SGPRBlocks: 0
; VGPRBlocks: 0
; NumSGPRsForWavesPerEU: 1
; NumVGPRsForWavesPerEU: 1
; Occupancy: 15
; WaveLimiterHint : 0
; COMPUTE_PGM_RSRC2:SCRATCH_EN: 0
; COMPUTE_PGM_RSRC2:USER_SGPR: 15
; COMPUTE_PGM_RSRC2:TRAP_HANDLER: 0
; COMPUTE_PGM_RSRC2:TGID_X_EN: 1
; COMPUTE_PGM_RSRC2:TGID_Y_EN: 0
; COMPUTE_PGM_RSRC2:TGID_Z_EN: 0
; COMPUTE_PGM_RSRC2:TIDIG_COMP_CNT: 0
	.section	.text._ZN7rocprim17ROCPRIM_400000_NS6detail17trampoline_kernelINS0_14default_configENS1_25partition_config_selectorILNS1_17partition_subalgoE5ElNS0_10empty_typeEbEEZZNS1_14partition_implILS5_5ELb0ES3_mN6hipcub16HIPCUB_304000_NS21CountingInputIteratorIllEEPS6_NSA_22TransformInputIteratorIb7NonZeroIfEPflEENS0_5tupleIJPlS6_EEENSJ_IJSD_SD_EEES6_SK_JS6_EEE10hipError_tPvRmT3_T4_T5_T6_T7_T9_mT8_P12ihipStream_tbDpT10_ENKUlT_T0_E_clISt17integral_constantIbLb1EES15_IbLb0EEEEDaS11_S12_EUlS11_E_NS1_11comp_targetILNS1_3genE3ELNS1_11target_archE908ELNS1_3gpuE7ELNS1_3repE0EEENS1_30default_config_static_selectorELNS0_4arch9wavefront6targetE0EEEvT1_,"axG",@progbits,_ZN7rocprim17ROCPRIM_400000_NS6detail17trampoline_kernelINS0_14default_configENS1_25partition_config_selectorILNS1_17partition_subalgoE5ElNS0_10empty_typeEbEEZZNS1_14partition_implILS5_5ELb0ES3_mN6hipcub16HIPCUB_304000_NS21CountingInputIteratorIllEEPS6_NSA_22TransformInputIteratorIb7NonZeroIfEPflEENS0_5tupleIJPlS6_EEENSJ_IJSD_SD_EEES6_SK_JS6_EEE10hipError_tPvRmT3_T4_T5_T6_T7_T9_mT8_P12ihipStream_tbDpT10_ENKUlT_T0_E_clISt17integral_constantIbLb1EES15_IbLb0EEEEDaS11_S12_EUlS11_E_NS1_11comp_targetILNS1_3genE3ELNS1_11target_archE908ELNS1_3gpuE7ELNS1_3repE0EEENS1_30default_config_static_selectorELNS0_4arch9wavefront6targetE0EEEvT1_,comdat
	.protected	_ZN7rocprim17ROCPRIM_400000_NS6detail17trampoline_kernelINS0_14default_configENS1_25partition_config_selectorILNS1_17partition_subalgoE5ElNS0_10empty_typeEbEEZZNS1_14partition_implILS5_5ELb0ES3_mN6hipcub16HIPCUB_304000_NS21CountingInputIteratorIllEEPS6_NSA_22TransformInputIteratorIb7NonZeroIfEPflEENS0_5tupleIJPlS6_EEENSJ_IJSD_SD_EEES6_SK_JS6_EEE10hipError_tPvRmT3_T4_T5_T6_T7_T9_mT8_P12ihipStream_tbDpT10_ENKUlT_T0_E_clISt17integral_constantIbLb1EES15_IbLb0EEEEDaS11_S12_EUlS11_E_NS1_11comp_targetILNS1_3genE3ELNS1_11target_archE908ELNS1_3gpuE7ELNS1_3repE0EEENS1_30default_config_static_selectorELNS0_4arch9wavefront6targetE0EEEvT1_ ; -- Begin function _ZN7rocprim17ROCPRIM_400000_NS6detail17trampoline_kernelINS0_14default_configENS1_25partition_config_selectorILNS1_17partition_subalgoE5ElNS0_10empty_typeEbEEZZNS1_14partition_implILS5_5ELb0ES3_mN6hipcub16HIPCUB_304000_NS21CountingInputIteratorIllEEPS6_NSA_22TransformInputIteratorIb7NonZeroIfEPflEENS0_5tupleIJPlS6_EEENSJ_IJSD_SD_EEES6_SK_JS6_EEE10hipError_tPvRmT3_T4_T5_T6_T7_T9_mT8_P12ihipStream_tbDpT10_ENKUlT_T0_E_clISt17integral_constantIbLb1EES15_IbLb0EEEEDaS11_S12_EUlS11_E_NS1_11comp_targetILNS1_3genE3ELNS1_11target_archE908ELNS1_3gpuE7ELNS1_3repE0EEENS1_30default_config_static_selectorELNS0_4arch9wavefront6targetE0EEEvT1_
	.globl	_ZN7rocprim17ROCPRIM_400000_NS6detail17trampoline_kernelINS0_14default_configENS1_25partition_config_selectorILNS1_17partition_subalgoE5ElNS0_10empty_typeEbEEZZNS1_14partition_implILS5_5ELb0ES3_mN6hipcub16HIPCUB_304000_NS21CountingInputIteratorIllEEPS6_NSA_22TransformInputIteratorIb7NonZeroIfEPflEENS0_5tupleIJPlS6_EEENSJ_IJSD_SD_EEES6_SK_JS6_EEE10hipError_tPvRmT3_T4_T5_T6_T7_T9_mT8_P12ihipStream_tbDpT10_ENKUlT_T0_E_clISt17integral_constantIbLb1EES15_IbLb0EEEEDaS11_S12_EUlS11_E_NS1_11comp_targetILNS1_3genE3ELNS1_11target_archE908ELNS1_3gpuE7ELNS1_3repE0EEENS1_30default_config_static_selectorELNS0_4arch9wavefront6targetE0EEEvT1_
	.p2align	8
	.type	_ZN7rocprim17ROCPRIM_400000_NS6detail17trampoline_kernelINS0_14default_configENS1_25partition_config_selectorILNS1_17partition_subalgoE5ElNS0_10empty_typeEbEEZZNS1_14partition_implILS5_5ELb0ES3_mN6hipcub16HIPCUB_304000_NS21CountingInputIteratorIllEEPS6_NSA_22TransformInputIteratorIb7NonZeroIfEPflEENS0_5tupleIJPlS6_EEENSJ_IJSD_SD_EEES6_SK_JS6_EEE10hipError_tPvRmT3_T4_T5_T6_T7_T9_mT8_P12ihipStream_tbDpT10_ENKUlT_T0_E_clISt17integral_constantIbLb1EES15_IbLb0EEEEDaS11_S12_EUlS11_E_NS1_11comp_targetILNS1_3genE3ELNS1_11target_archE908ELNS1_3gpuE7ELNS1_3repE0EEENS1_30default_config_static_selectorELNS0_4arch9wavefront6targetE0EEEvT1_,@function
_ZN7rocprim17ROCPRIM_400000_NS6detail17trampoline_kernelINS0_14default_configENS1_25partition_config_selectorILNS1_17partition_subalgoE5ElNS0_10empty_typeEbEEZZNS1_14partition_implILS5_5ELb0ES3_mN6hipcub16HIPCUB_304000_NS21CountingInputIteratorIllEEPS6_NSA_22TransformInputIteratorIb7NonZeroIfEPflEENS0_5tupleIJPlS6_EEENSJ_IJSD_SD_EEES6_SK_JS6_EEE10hipError_tPvRmT3_T4_T5_T6_T7_T9_mT8_P12ihipStream_tbDpT10_ENKUlT_T0_E_clISt17integral_constantIbLb1EES15_IbLb0EEEEDaS11_S12_EUlS11_E_NS1_11comp_targetILNS1_3genE3ELNS1_11target_archE908ELNS1_3gpuE7ELNS1_3repE0EEENS1_30default_config_static_selectorELNS0_4arch9wavefront6targetE0EEEvT1_: ; @_ZN7rocprim17ROCPRIM_400000_NS6detail17trampoline_kernelINS0_14default_configENS1_25partition_config_selectorILNS1_17partition_subalgoE5ElNS0_10empty_typeEbEEZZNS1_14partition_implILS5_5ELb0ES3_mN6hipcub16HIPCUB_304000_NS21CountingInputIteratorIllEEPS6_NSA_22TransformInputIteratorIb7NonZeroIfEPflEENS0_5tupleIJPlS6_EEENSJ_IJSD_SD_EEES6_SK_JS6_EEE10hipError_tPvRmT3_T4_T5_T6_T7_T9_mT8_P12ihipStream_tbDpT10_ENKUlT_T0_E_clISt17integral_constantIbLb1EES15_IbLb0EEEEDaS11_S12_EUlS11_E_NS1_11comp_targetILNS1_3genE3ELNS1_11target_archE908ELNS1_3gpuE7ELNS1_3repE0EEENS1_30default_config_static_selectorELNS0_4arch9wavefront6targetE0EEEvT1_
; %bb.0:
	.section	.rodata,"a",@progbits
	.p2align	6, 0x0
	.amdhsa_kernel _ZN7rocprim17ROCPRIM_400000_NS6detail17trampoline_kernelINS0_14default_configENS1_25partition_config_selectorILNS1_17partition_subalgoE5ElNS0_10empty_typeEbEEZZNS1_14partition_implILS5_5ELb0ES3_mN6hipcub16HIPCUB_304000_NS21CountingInputIteratorIllEEPS6_NSA_22TransformInputIteratorIb7NonZeroIfEPflEENS0_5tupleIJPlS6_EEENSJ_IJSD_SD_EEES6_SK_JS6_EEE10hipError_tPvRmT3_T4_T5_T6_T7_T9_mT8_P12ihipStream_tbDpT10_ENKUlT_T0_E_clISt17integral_constantIbLb1EES15_IbLb0EEEEDaS11_S12_EUlS11_E_NS1_11comp_targetILNS1_3genE3ELNS1_11target_archE908ELNS1_3gpuE7ELNS1_3repE0EEENS1_30default_config_static_selectorELNS0_4arch9wavefront6targetE0EEEvT1_
		.amdhsa_group_segment_fixed_size 0
		.amdhsa_private_segment_fixed_size 0
		.amdhsa_kernarg_size 120
		.amdhsa_user_sgpr_count 15
		.amdhsa_user_sgpr_dispatch_ptr 0
		.amdhsa_user_sgpr_queue_ptr 0
		.amdhsa_user_sgpr_kernarg_segment_ptr 1
		.amdhsa_user_sgpr_dispatch_id 0
		.amdhsa_user_sgpr_private_segment_size 0
		.amdhsa_wavefront_size32 1
		.amdhsa_uses_dynamic_stack 0
		.amdhsa_enable_private_segment 0
		.amdhsa_system_sgpr_workgroup_id_x 1
		.amdhsa_system_sgpr_workgroup_id_y 0
		.amdhsa_system_sgpr_workgroup_id_z 0
		.amdhsa_system_sgpr_workgroup_info 0
		.amdhsa_system_vgpr_workitem_id 0
		.amdhsa_next_free_vgpr 1
		.amdhsa_next_free_sgpr 1
		.amdhsa_reserve_vcc 0
		.amdhsa_float_round_mode_32 0
		.amdhsa_float_round_mode_16_64 0
		.amdhsa_float_denorm_mode_32 3
		.amdhsa_float_denorm_mode_16_64 3
		.amdhsa_dx10_clamp 1
		.amdhsa_ieee_mode 1
		.amdhsa_fp16_overflow 0
		.amdhsa_workgroup_processor_mode 1
		.amdhsa_memory_ordered 1
		.amdhsa_forward_progress 0
		.amdhsa_shared_vgpr_count 0
		.amdhsa_exception_fp_ieee_invalid_op 0
		.amdhsa_exception_fp_denorm_src 0
		.amdhsa_exception_fp_ieee_div_zero 0
		.amdhsa_exception_fp_ieee_overflow 0
		.amdhsa_exception_fp_ieee_underflow 0
		.amdhsa_exception_fp_ieee_inexact 0
		.amdhsa_exception_int_div_zero 0
	.end_amdhsa_kernel
	.section	.text._ZN7rocprim17ROCPRIM_400000_NS6detail17trampoline_kernelINS0_14default_configENS1_25partition_config_selectorILNS1_17partition_subalgoE5ElNS0_10empty_typeEbEEZZNS1_14partition_implILS5_5ELb0ES3_mN6hipcub16HIPCUB_304000_NS21CountingInputIteratorIllEEPS6_NSA_22TransformInputIteratorIb7NonZeroIfEPflEENS0_5tupleIJPlS6_EEENSJ_IJSD_SD_EEES6_SK_JS6_EEE10hipError_tPvRmT3_T4_T5_T6_T7_T9_mT8_P12ihipStream_tbDpT10_ENKUlT_T0_E_clISt17integral_constantIbLb1EES15_IbLb0EEEEDaS11_S12_EUlS11_E_NS1_11comp_targetILNS1_3genE3ELNS1_11target_archE908ELNS1_3gpuE7ELNS1_3repE0EEENS1_30default_config_static_selectorELNS0_4arch9wavefront6targetE0EEEvT1_,"axG",@progbits,_ZN7rocprim17ROCPRIM_400000_NS6detail17trampoline_kernelINS0_14default_configENS1_25partition_config_selectorILNS1_17partition_subalgoE5ElNS0_10empty_typeEbEEZZNS1_14partition_implILS5_5ELb0ES3_mN6hipcub16HIPCUB_304000_NS21CountingInputIteratorIllEEPS6_NSA_22TransformInputIteratorIb7NonZeroIfEPflEENS0_5tupleIJPlS6_EEENSJ_IJSD_SD_EEES6_SK_JS6_EEE10hipError_tPvRmT3_T4_T5_T6_T7_T9_mT8_P12ihipStream_tbDpT10_ENKUlT_T0_E_clISt17integral_constantIbLb1EES15_IbLb0EEEEDaS11_S12_EUlS11_E_NS1_11comp_targetILNS1_3genE3ELNS1_11target_archE908ELNS1_3gpuE7ELNS1_3repE0EEENS1_30default_config_static_selectorELNS0_4arch9wavefront6targetE0EEEvT1_,comdat
.Lfunc_end272:
	.size	_ZN7rocprim17ROCPRIM_400000_NS6detail17trampoline_kernelINS0_14default_configENS1_25partition_config_selectorILNS1_17partition_subalgoE5ElNS0_10empty_typeEbEEZZNS1_14partition_implILS5_5ELb0ES3_mN6hipcub16HIPCUB_304000_NS21CountingInputIteratorIllEEPS6_NSA_22TransformInputIteratorIb7NonZeroIfEPflEENS0_5tupleIJPlS6_EEENSJ_IJSD_SD_EEES6_SK_JS6_EEE10hipError_tPvRmT3_T4_T5_T6_T7_T9_mT8_P12ihipStream_tbDpT10_ENKUlT_T0_E_clISt17integral_constantIbLb1EES15_IbLb0EEEEDaS11_S12_EUlS11_E_NS1_11comp_targetILNS1_3genE3ELNS1_11target_archE908ELNS1_3gpuE7ELNS1_3repE0EEENS1_30default_config_static_selectorELNS0_4arch9wavefront6targetE0EEEvT1_, .Lfunc_end272-_ZN7rocprim17ROCPRIM_400000_NS6detail17trampoline_kernelINS0_14default_configENS1_25partition_config_selectorILNS1_17partition_subalgoE5ElNS0_10empty_typeEbEEZZNS1_14partition_implILS5_5ELb0ES3_mN6hipcub16HIPCUB_304000_NS21CountingInputIteratorIllEEPS6_NSA_22TransformInputIteratorIb7NonZeroIfEPflEENS0_5tupleIJPlS6_EEENSJ_IJSD_SD_EEES6_SK_JS6_EEE10hipError_tPvRmT3_T4_T5_T6_T7_T9_mT8_P12ihipStream_tbDpT10_ENKUlT_T0_E_clISt17integral_constantIbLb1EES15_IbLb0EEEEDaS11_S12_EUlS11_E_NS1_11comp_targetILNS1_3genE3ELNS1_11target_archE908ELNS1_3gpuE7ELNS1_3repE0EEENS1_30default_config_static_selectorELNS0_4arch9wavefront6targetE0EEEvT1_
                                        ; -- End function
	.section	.AMDGPU.csdata,"",@progbits
; Kernel info:
; codeLenInByte = 0
; NumSgprs: 0
; NumVgprs: 0
; ScratchSize: 0
; MemoryBound: 0
; FloatMode: 240
; IeeeMode: 1
; LDSByteSize: 0 bytes/workgroup (compile time only)
; SGPRBlocks: 0
; VGPRBlocks: 0
; NumSGPRsForWavesPerEU: 1
; NumVGPRsForWavesPerEU: 1
; Occupancy: 16
; WaveLimiterHint : 0
; COMPUTE_PGM_RSRC2:SCRATCH_EN: 0
; COMPUTE_PGM_RSRC2:USER_SGPR: 15
; COMPUTE_PGM_RSRC2:TRAP_HANDLER: 0
; COMPUTE_PGM_RSRC2:TGID_X_EN: 1
; COMPUTE_PGM_RSRC2:TGID_Y_EN: 0
; COMPUTE_PGM_RSRC2:TGID_Z_EN: 0
; COMPUTE_PGM_RSRC2:TIDIG_COMP_CNT: 0
	.section	.text._ZN7rocprim17ROCPRIM_400000_NS6detail17trampoline_kernelINS0_14default_configENS1_25partition_config_selectorILNS1_17partition_subalgoE5ElNS0_10empty_typeEbEEZZNS1_14partition_implILS5_5ELb0ES3_mN6hipcub16HIPCUB_304000_NS21CountingInputIteratorIllEEPS6_NSA_22TransformInputIteratorIb7NonZeroIfEPflEENS0_5tupleIJPlS6_EEENSJ_IJSD_SD_EEES6_SK_JS6_EEE10hipError_tPvRmT3_T4_T5_T6_T7_T9_mT8_P12ihipStream_tbDpT10_ENKUlT_T0_E_clISt17integral_constantIbLb1EES15_IbLb0EEEEDaS11_S12_EUlS11_E_NS1_11comp_targetILNS1_3genE2ELNS1_11target_archE906ELNS1_3gpuE6ELNS1_3repE0EEENS1_30default_config_static_selectorELNS0_4arch9wavefront6targetE0EEEvT1_,"axG",@progbits,_ZN7rocprim17ROCPRIM_400000_NS6detail17trampoline_kernelINS0_14default_configENS1_25partition_config_selectorILNS1_17partition_subalgoE5ElNS0_10empty_typeEbEEZZNS1_14partition_implILS5_5ELb0ES3_mN6hipcub16HIPCUB_304000_NS21CountingInputIteratorIllEEPS6_NSA_22TransformInputIteratorIb7NonZeroIfEPflEENS0_5tupleIJPlS6_EEENSJ_IJSD_SD_EEES6_SK_JS6_EEE10hipError_tPvRmT3_T4_T5_T6_T7_T9_mT8_P12ihipStream_tbDpT10_ENKUlT_T0_E_clISt17integral_constantIbLb1EES15_IbLb0EEEEDaS11_S12_EUlS11_E_NS1_11comp_targetILNS1_3genE2ELNS1_11target_archE906ELNS1_3gpuE6ELNS1_3repE0EEENS1_30default_config_static_selectorELNS0_4arch9wavefront6targetE0EEEvT1_,comdat
	.protected	_ZN7rocprim17ROCPRIM_400000_NS6detail17trampoline_kernelINS0_14default_configENS1_25partition_config_selectorILNS1_17partition_subalgoE5ElNS0_10empty_typeEbEEZZNS1_14partition_implILS5_5ELb0ES3_mN6hipcub16HIPCUB_304000_NS21CountingInputIteratorIllEEPS6_NSA_22TransformInputIteratorIb7NonZeroIfEPflEENS0_5tupleIJPlS6_EEENSJ_IJSD_SD_EEES6_SK_JS6_EEE10hipError_tPvRmT3_T4_T5_T6_T7_T9_mT8_P12ihipStream_tbDpT10_ENKUlT_T0_E_clISt17integral_constantIbLb1EES15_IbLb0EEEEDaS11_S12_EUlS11_E_NS1_11comp_targetILNS1_3genE2ELNS1_11target_archE906ELNS1_3gpuE6ELNS1_3repE0EEENS1_30default_config_static_selectorELNS0_4arch9wavefront6targetE0EEEvT1_ ; -- Begin function _ZN7rocprim17ROCPRIM_400000_NS6detail17trampoline_kernelINS0_14default_configENS1_25partition_config_selectorILNS1_17partition_subalgoE5ElNS0_10empty_typeEbEEZZNS1_14partition_implILS5_5ELb0ES3_mN6hipcub16HIPCUB_304000_NS21CountingInputIteratorIllEEPS6_NSA_22TransformInputIteratorIb7NonZeroIfEPflEENS0_5tupleIJPlS6_EEENSJ_IJSD_SD_EEES6_SK_JS6_EEE10hipError_tPvRmT3_T4_T5_T6_T7_T9_mT8_P12ihipStream_tbDpT10_ENKUlT_T0_E_clISt17integral_constantIbLb1EES15_IbLb0EEEEDaS11_S12_EUlS11_E_NS1_11comp_targetILNS1_3genE2ELNS1_11target_archE906ELNS1_3gpuE6ELNS1_3repE0EEENS1_30default_config_static_selectorELNS0_4arch9wavefront6targetE0EEEvT1_
	.globl	_ZN7rocprim17ROCPRIM_400000_NS6detail17trampoline_kernelINS0_14default_configENS1_25partition_config_selectorILNS1_17partition_subalgoE5ElNS0_10empty_typeEbEEZZNS1_14partition_implILS5_5ELb0ES3_mN6hipcub16HIPCUB_304000_NS21CountingInputIteratorIllEEPS6_NSA_22TransformInputIteratorIb7NonZeroIfEPflEENS0_5tupleIJPlS6_EEENSJ_IJSD_SD_EEES6_SK_JS6_EEE10hipError_tPvRmT3_T4_T5_T6_T7_T9_mT8_P12ihipStream_tbDpT10_ENKUlT_T0_E_clISt17integral_constantIbLb1EES15_IbLb0EEEEDaS11_S12_EUlS11_E_NS1_11comp_targetILNS1_3genE2ELNS1_11target_archE906ELNS1_3gpuE6ELNS1_3repE0EEENS1_30default_config_static_selectorELNS0_4arch9wavefront6targetE0EEEvT1_
	.p2align	8
	.type	_ZN7rocprim17ROCPRIM_400000_NS6detail17trampoline_kernelINS0_14default_configENS1_25partition_config_selectorILNS1_17partition_subalgoE5ElNS0_10empty_typeEbEEZZNS1_14partition_implILS5_5ELb0ES3_mN6hipcub16HIPCUB_304000_NS21CountingInputIteratorIllEEPS6_NSA_22TransformInputIteratorIb7NonZeroIfEPflEENS0_5tupleIJPlS6_EEENSJ_IJSD_SD_EEES6_SK_JS6_EEE10hipError_tPvRmT3_T4_T5_T6_T7_T9_mT8_P12ihipStream_tbDpT10_ENKUlT_T0_E_clISt17integral_constantIbLb1EES15_IbLb0EEEEDaS11_S12_EUlS11_E_NS1_11comp_targetILNS1_3genE2ELNS1_11target_archE906ELNS1_3gpuE6ELNS1_3repE0EEENS1_30default_config_static_selectorELNS0_4arch9wavefront6targetE0EEEvT1_,@function
_ZN7rocprim17ROCPRIM_400000_NS6detail17trampoline_kernelINS0_14default_configENS1_25partition_config_selectorILNS1_17partition_subalgoE5ElNS0_10empty_typeEbEEZZNS1_14partition_implILS5_5ELb0ES3_mN6hipcub16HIPCUB_304000_NS21CountingInputIteratorIllEEPS6_NSA_22TransformInputIteratorIb7NonZeroIfEPflEENS0_5tupleIJPlS6_EEENSJ_IJSD_SD_EEES6_SK_JS6_EEE10hipError_tPvRmT3_T4_T5_T6_T7_T9_mT8_P12ihipStream_tbDpT10_ENKUlT_T0_E_clISt17integral_constantIbLb1EES15_IbLb0EEEEDaS11_S12_EUlS11_E_NS1_11comp_targetILNS1_3genE2ELNS1_11target_archE906ELNS1_3gpuE6ELNS1_3repE0EEENS1_30default_config_static_selectorELNS0_4arch9wavefront6targetE0EEEvT1_: ; @_ZN7rocprim17ROCPRIM_400000_NS6detail17trampoline_kernelINS0_14default_configENS1_25partition_config_selectorILNS1_17partition_subalgoE5ElNS0_10empty_typeEbEEZZNS1_14partition_implILS5_5ELb0ES3_mN6hipcub16HIPCUB_304000_NS21CountingInputIteratorIllEEPS6_NSA_22TransformInputIteratorIb7NonZeroIfEPflEENS0_5tupleIJPlS6_EEENSJ_IJSD_SD_EEES6_SK_JS6_EEE10hipError_tPvRmT3_T4_T5_T6_T7_T9_mT8_P12ihipStream_tbDpT10_ENKUlT_T0_E_clISt17integral_constantIbLb1EES15_IbLb0EEEEDaS11_S12_EUlS11_E_NS1_11comp_targetILNS1_3genE2ELNS1_11target_archE906ELNS1_3gpuE6ELNS1_3repE0EEENS1_30default_config_static_selectorELNS0_4arch9wavefront6targetE0EEEvT1_
; %bb.0:
	.section	.rodata,"a",@progbits
	.p2align	6, 0x0
	.amdhsa_kernel _ZN7rocprim17ROCPRIM_400000_NS6detail17trampoline_kernelINS0_14default_configENS1_25partition_config_selectorILNS1_17partition_subalgoE5ElNS0_10empty_typeEbEEZZNS1_14partition_implILS5_5ELb0ES3_mN6hipcub16HIPCUB_304000_NS21CountingInputIteratorIllEEPS6_NSA_22TransformInputIteratorIb7NonZeroIfEPflEENS0_5tupleIJPlS6_EEENSJ_IJSD_SD_EEES6_SK_JS6_EEE10hipError_tPvRmT3_T4_T5_T6_T7_T9_mT8_P12ihipStream_tbDpT10_ENKUlT_T0_E_clISt17integral_constantIbLb1EES15_IbLb0EEEEDaS11_S12_EUlS11_E_NS1_11comp_targetILNS1_3genE2ELNS1_11target_archE906ELNS1_3gpuE6ELNS1_3repE0EEENS1_30default_config_static_selectorELNS0_4arch9wavefront6targetE0EEEvT1_
		.amdhsa_group_segment_fixed_size 0
		.amdhsa_private_segment_fixed_size 0
		.amdhsa_kernarg_size 120
		.amdhsa_user_sgpr_count 15
		.amdhsa_user_sgpr_dispatch_ptr 0
		.amdhsa_user_sgpr_queue_ptr 0
		.amdhsa_user_sgpr_kernarg_segment_ptr 1
		.amdhsa_user_sgpr_dispatch_id 0
		.amdhsa_user_sgpr_private_segment_size 0
		.amdhsa_wavefront_size32 1
		.amdhsa_uses_dynamic_stack 0
		.amdhsa_enable_private_segment 0
		.amdhsa_system_sgpr_workgroup_id_x 1
		.amdhsa_system_sgpr_workgroup_id_y 0
		.amdhsa_system_sgpr_workgroup_id_z 0
		.amdhsa_system_sgpr_workgroup_info 0
		.amdhsa_system_vgpr_workitem_id 0
		.amdhsa_next_free_vgpr 1
		.amdhsa_next_free_sgpr 1
		.amdhsa_reserve_vcc 0
		.amdhsa_float_round_mode_32 0
		.amdhsa_float_round_mode_16_64 0
		.amdhsa_float_denorm_mode_32 3
		.amdhsa_float_denorm_mode_16_64 3
		.amdhsa_dx10_clamp 1
		.amdhsa_ieee_mode 1
		.amdhsa_fp16_overflow 0
		.amdhsa_workgroup_processor_mode 1
		.amdhsa_memory_ordered 1
		.amdhsa_forward_progress 0
		.amdhsa_shared_vgpr_count 0
		.amdhsa_exception_fp_ieee_invalid_op 0
		.amdhsa_exception_fp_denorm_src 0
		.amdhsa_exception_fp_ieee_div_zero 0
		.amdhsa_exception_fp_ieee_overflow 0
		.amdhsa_exception_fp_ieee_underflow 0
		.amdhsa_exception_fp_ieee_inexact 0
		.amdhsa_exception_int_div_zero 0
	.end_amdhsa_kernel
	.section	.text._ZN7rocprim17ROCPRIM_400000_NS6detail17trampoline_kernelINS0_14default_configENS1_25partition_config_selectorILNS1_17partition_subalgoE5ElNS0_10empty_typeEbEEZZNS1_14partition_implILS5_5ELb0ES3_mN6hipcub16HIPCUB_304000_NS21CountingInputIteratorIllEEPS6_NSA_22TransformInputIteratorIb7NonZeroIfEPflEENS0_5tupleIJPlS6_EEENSJ_IJSD_SD_EEES6_SK_JS6_EEE10hipError_tPvRmT3_T4_T5_T6_T7_T9_mT8_P12ihipStream_tbDpT10_ENKUlT_T0_E_clISt17integral_constantIbLb1EES15_IbLb0EEEEDaS11_S12_EUlS11_E_NS1_11comp_targetILNS1_3genE2ELNS1_11target_archE906ELNS1_3gpuE6ELNS1_3repE0EEENS1_30default_config_static_selectorELNS0_4arch9wavefront6targetE0EEEvT1_,"axG",@progbits,_ZN7rocprim17ROCPRIM_400000_NS6detail17trampoline_kernelINS0_14default_configENS1_25partition_config_selectorILNS1_17partition_subalgoE5ElNS0_10empty_typeEbEEZZNS1_14partition_implILS5_5ELb0ES3_mN6hipcub16HIPCUB_304000_NS21CountingInputIteratorIllEEPS6_NSA_22TransformInputIteratorIb7NonZeroIfEPflEENS0_5tupleIJPlS6_EEENSJ_IJSD_SD_EEES6_SK_JS6_EEE10hipError_tPvRmT3_T4_T5_T6_T7_T9_mT8_P12ihipStream_tbDpT10_ENKUlT_T0_E_clISt17integral_constantIbLb1EES15_IbLb0EEEEDaS11_S12_EUlS11_E_NS1_11comp_targetILNS1_3genE2ELNS1_11target_archE906ELNS1_3gpuE6ELNS1_3repE0EEENS1_30default_config_static_selectorELNS0_4arch9wavefront6targetE0EEEvT1_,comdat
.Lfunc_end273:
	.size	_ZN7rocprim17ROCPRIM_400000_NS6detail17trampoline_kernelINS0_14default_configENS1_25partition_config_selectorILNS1_17partition_subalgoE5ElNS0_10empty_typeEbEEZZNS1_14partition_implILS5_5ELb0ES3_mN6hipcub16HIPCUB_304000_NS21CountingInputIteratorIllEEPS6_NSA_22TransformInputIteratorIb7NonZeroIfEPflEENS0_5tupleIJPlS6_EEENSJ_IJSD_SD_EEES6_SK_JS6_EEE10hipError_tPvRmT3_T4_T5_T6_T7_T9_mT8_P12ihipStream_tbDpT10_ENKUlT_T0_E_clISt17integral_constantIbLb1EES15_IbLb0EEEEDaS11_S12_EUlS11_E_NS1_11comp_targetILNS1_3genE2ELNS1_11target_archE906ELNS1_3gpuE6ELNS1_3repE0EEENS1_30default_config_static_selectorELNS0_4arch9wavefront6targetE0EEEvT1_, .Lfunc_end273-_ZN7rocprim17ROCPRIM_400000_NS6detail17trampoline_kernelINS0_14default_configENS1_25partition_config_selectorILNS1_17partition_subalgoE5ElNS0_10empty_typeEbEEZZNS1_14partition_implILS5_5ELb0ES3_mN6hipcub16HIPCUB_304000_NS21CountingInputIteratorIllEEPS6_NSA_22TransformInputIteratorIb7NonZeroIfEPflEENS0_5tupleIJPlS6_EEENSJ_IJSD_SD_EEES6_SK_JS6_EEE10hipError_tPvRmT3_T4_T5_T6_T7_T9_mT8_P12ihipStream_tbDpT10_ENKUlT_T0_E_clISt17integral_constantIbLb1EES15_IbLb0EEEEDaS11_S12_EUlS11_E_NS1_11comp_targetILNS1_3genE2ELNS1_11target_archE906ELNS1_3gpuE6ELNS1_3repE0EEENS1_30default_config_static_selectorELNS0_4arch9wavefront6targetE0EEEvT1_
                                        ; -- End function
	.section	.AMDGPU.csdata,"",@progbits
; Kernel info:
; codeLenInByte = 0
; NumSgprs: 0
; NumVgprs: 0
; ScratchSize: 0
; MemoryBound: 0
; FloatMode: 240
; IeeeMode: 1
; LDSByteSize: 0 bytes/workgroup (compile time only)
; SGPRBlocks: 0
; VGPRBlocks: 0
; NumSGPRsForWavesPerEU: 1
; NumVGPRsForWavesPerEU: 1
; Occupancy: 16
; WaveLimiterHint : 0
; COMPUTE_PGM_RSRC2:SCRATCH_EN: 0
; COMPUTE_PGM_RSRC2:USER_SGPR: 15
; COMPUTE_PGM_RSRC2:TRAP_HANDLER: 0
; COMPUTE_PGM_RSRC2:TGID_X_EN: 1
; COMPUTE_PGM_RSRC2:TGID_Y_EN: 0
; COMPUTE_PGM_RSRC2:TGID_Z_EN: 0
; COMPUTE_PGM_RSRC2:TIDIG_COMP_CNT: 0
	.section	.text._ZN7rocprim17ROCPRIM_400000_NS6detail17trampoline_kernelINS0_14default_configENS1_25partition_config_selectorILNS1_17partition_subalgoE5ElNS0_10empty_typeEbEEZZNS1_14partition_implILS5_5ELb0ES3_mN6hipcub16HIPCUB_304000_NS21CountingInputIteratorIllEEPS6_NSA_22TransformInputIteratorIb7NonZeroIfEPflEENS0_5tupleIJPlS6_EEENSJ_IJSD_SD_EEES6_SK_JS6_EEE10hipError_tPvRmT3_T4_T5_T6_T7_T9_mT8_P12ihipStream_tbDpT10_ENKUlT_T0_E_clISt17integral_constantIbLb1EES15_IbLb0EEEEDaS11_S12_EUlS11_E_NS1_11comp_targetILNS1_3genE10ELNS1_11target_archE1200ELNS1_3gpuE4ELNS1_3repE0EEENS1_30default_config_static_selectorELNS0_4arch9wavefront6targetE0EEEvT1_,"axG",@progbits,_ZN7rocprim17ROCPRIM_400000_NS6detail17trampoline_kernelINS0_14default_configENS1_25partition_config_selectorILNS1_17partition_subalgoE5ElNS0_10empty_typeEbEEZZNS1_14partition_implILS5_5ELb0ES3_mN6hipcub16HIPCUB_304000_NS21CountingInputIteratorIllEEPS6_NSA_22TransformInputIteratorIb7NonZeroIfEPflEENS0_5tupleIJPlS6_EEENSJ_IJSD_SD_EEES6_SK_JS6_EEE10hipError_tPvRmT3_T4_T5_T6_T7_T9_mT8_P12ihipStream_tbDpT10_ENKUlT_T0_E_clISt17integral_constantIbLb1EES15_IbLb0EEEEDaS11_S12_EUlS11_E_NS1_11comp_targetILNS1_3genE10ELNS1_11target_archE1200ELNS1_3gpuE4ELNS1_3repE0EEENS1_30default_config_static_selectorELNS0_4arch9wavefront6targetE0EEEvT1_,comdat
	.protected	_ZN7rocprim17ROCPRIM_400000_NS6detail17trampoline_kernelINS0_14default_configENS1_25partition_config_selectorILNS1_17partition_subalgoE5ElNS0_10empty_typeEbEEZZNS1_14partition_implILS5_5ELb0ES3_mN6hipcub16HIPCUB_304000_NS21CountingInputIteratorIllEEPS6_NSA_22TransformInputIteratorIb7NonZeroIfEPflEENS0_5tupleIJPlS6_EEENSJ_IJSD_SD_EEES6_SK_JS6_EEE10hipError_tPvRmT3_T4_T5_T6_T7_T9_mT8_P12ihipStream_tbDpT10_ENKUlT_T0_E_clISt17integral_constantIbLb1EES15_IbLb0EEEEDaS11_S12_EUlS11_E_NS1_11comp_targetILNS1_3genE10ELNS1_11target_archE1200ELNS1_3gpuE4ELNS1_3repE0EEENS1_30default_config_static_selectorELNS0_4arch9wavefront6targetE0EEEvT1_ ; -- Begin function _ZN7rocprim17ROCPRIM_400000_NS6detail17trampoline_kernelINS0_14default_configENS1_25partition_config_selectorILNS1_17partition_subalgoE5ElNS0_10empty_typeEbEEZZNS1_14partition_implILS5_5ELb0ES3_mN6hipcub16HIPCUB_304000_NS21CountingInputIteratorIllEEPS6_NSA_22TransformInputIteratorIb7NonZeroIfEPflEENS0_5tupleIJPlS6_EEENSJ_IJSD_SD_EEES6_SK_JS6_EEE10hipError_tPvRmT3_T4_T5_T6_T7_T9_mT8_P12ihipStream_tbDpT10_ENKUlT_T0_E_clISt17integral_constantIbLb1EES15_IbLb0EEEEDaS11_S12_EUlS11_E_NS1_11comp_targetILNS1_3genE10ELNS1_11target_archE1200ELNS1_3gpuE4ELNS1_3repE0EEENS1_30default_config_static_selectorELNS0_4arch9wavefront6targetE0EEEvT1_
	.globl	_ZN7rocprim17ROCPRIM_400000_NS6detail17trampoline_kernelINS0_14default_configENS1_25partition_config_selectorILNS1_17partition_subalgoE5ElNS0_10empty_typeEbEEZZNS1_14partition_implILS5_5ELb0ES3_mN6hipcub16HIPCUB_304000_NS21CountingInputIteratorIllEEPS6_NSA_22TransformInputIteratorIb7NonZeroIfEPflEENS0_5tupleIJPlS6_EEENSJ_IJSD_SD_EEES6_SK_JS6_EEE10hipError_tPvRmT3_T4_T5_T6_T7_T9_mT8_P12ihipStream_tbDpT10_ENKUlT_T0_E_clISt17integral_constantIbLb1EES15_IbLb0EEEEDaS11_S12_EUlS11_E_NS1_11comp_targetILNS1_3genE10ELNS1_11target_archE1200ELNS1_3gpuE4ELNS1_3repE0EEENS1_30default_config_static_selectorELNS0_4arch9wavefront6targetE0EEEvT1_
	.p2align	8
	.type	_ZN7rocprim17ROCPRIM_400000_NS6detail17trampoline_kernelINS0_14default_configENS1_25partition_config_selectorILNS1_17partition_subalgoE5ElNS0_10empty_typeEbEEZZNS1_14partition_implILS5_5ELb0ES3_mN6hipcub16HIPCUB_304000_NS21CountingInputIteratorIllEEPS6_NSA_22TransformInputIteratorIb7NonZeroIfEPflEENS0_5tupleIJPlS6_EEENSJ_IJSD_SD_EEES6_SK_JS6_EEE10hipError_tPvRmT3_T4_T5_T6_T7_T9_mT8_P12ihipStream_tbDpT10_ENKUlT_T0_E_clISt17integral_constantIbLb1EES15_IbLb0EEEEDaS11_S12_EUlS11_E_NS1_11comp_targetILNS1_3genE10ELNS1_11target_archE1200ELNS1_3gpuE4ELNS1_3repE0EEENS1_30default_config_static_selectorELNS0_4arch9wavefront6targetE0EEEvT1_,@function
_ZN7rocprim17ROCPRIM_400000_NS6detail17trampoline_kernelINS0_14default_configENS1_25partition_config_selectorILNS1_17partition_subalgoE5ElNS0_10empty_typeEbEEZZNS1_14partition_implILS5_5ELb0ES3_mN6hipcub16HIPCUB_304000_NS21CountingInputIteratorIllEEPS6_NSA_22TransformInputIteratorIb7NonZeroIfEPflEENS0_5tupleIJPlS6_EEENSJ_IJSD_SD_EEES6_SK_JS6_EEE10hipError_tPvRmT3_T4_T5_T6_T7_T9_mT8_P12ihipStream_tbDpT10_ENKUlT_T0_E_clISt17integral_constantIbLb1EES15_IbLb0EEEEDaS11_S12_EUlS11_E_NS1_11comp_targetILNS1_3genE10ELNS1_11target_archE1200ELNS1_3gpuE4ELNS1_3repE0EEENS1_30default_config_static_selectorELNS0_4arch9wavefront6targetE0EEEvT1_: ; @_ZN7rocprim17ROCPRIM_400000_NS6detail17trampoline_kernelINS0_14default_configENS1_25partition_config_selectorILNS1_17partition_subalgoE5ElNS0_10empty_typeEbEEZZNS1_14partition_implILS5_5ELb0ES3_mN6hipcub16HIPCUB_304000_NS21CountingInputIteratorIllEEPS6_NSA_22TransformInputIteratorIb7NonZeroIfEPflEENS0_5tupleIJPlS6_EEENSJ_IJSD_SD_EEES6_SK_JS6_EEE10hipError_tPvRmT3_T4_T5_T6_T7_T9_mT8_P12ihipStream_tbDpT10_ENKUlT_T0_E_clISt17integral_constantIbLb1EES15_IbLb0EEEEDaS11_S12_EUlS11_E_NS1_11comp_targetILNS1_3genE10ELNS1_11target_archE1200ELNS1_3gpuE4ELNS1_3repE0EEENS1_30default_config_static_selectorELNS0_4arch9wavefront6targetE0EEEvT1_
; %bb.0:
	.section	.rodata,"a",@progbits
	.p2align	6, 0x0
	.amdhsa_kernel _ZN7rocprim17ROCPRIM_400000_NS6detail17trampoline_kernelINS0_14default_configENS1_25partition_config_selectorILNS1_17partition_subalgoE5ElNS0_10empty_typeEbEEZZNS1_14partition_implILS5_5ELb0ES3_mN6hipcub16HIPCUB_304000_NS21CountingInputIteratorIllEEPS6_NSA_22TransformInputIteratorIb7NonZeroIfEPflEENS0_5tupleIJPlS6_EEENSJ_IJSD_SD_EEES6_SK_JS6_EEE10hipError_tPvRmT3_T4_T5_T6_T7_T9_mT8_P12ihipStream_tbDpT10_ENKUlT_T0_E_clISt17integral_constantIbLb1EES15_IbLb0EEEEDaS11_S12_EUlS11_E_NS1_11comp_targetILNS1_3genE10ELNS1_11target_archE1200ELNS1_3gpuE4ELNS1_3repE0EEENS1_30default_config_static_selectorELNS0_4arch9wavefront6targetE0EEEvT1_
		.amdhsa_group_segment_fixed_size 0
		.amdhsa_private_segment_fixed_size 0
		.amdhsa_kernarg_size 120
		.amdhsa_user_sgpr_count 15
		.amdhsa_user_sgpr_dispatch_ptr 0
		.amdhsa_user_sgpr_queue_ptr 0
		.amdhsa_user_sgpr_kernarg_segment_ptr 1
		.amdhsa_user_sgpr_dispatch_id 0
		.amdhsa_user_sgpr_private_segment_size 0
		.amdhsa_wavefront_size32 1
		.amdhsa_uses_dynamic_stack 0
		.amdhsa_enable_private_segment 0
		.amdhsa_system_sgpr_workgroup_id_x 1
		.amdhsa_system_sgpr_workgroup_id_y 0
		.amdhsa_system_sgpr_workgroup_id_z 0
		.amdhsa_system_sgpr_workgroup_info 0
		.amdhsa_system_vgpr_workitem_id 0
		.amdhsa_next_free_vgpr 1
		.amdhsa_next_free_sgpr 1
		.amdhsa_reserve_vcc 0
		.amdhsa_float_round_mode_32 0
		.amdhsa_float_round_mode_16_64 0
		.amdhsa_float_denorm_mode_32 3
		.amdhsa_float_denorm_mode_16_64 3
		.amdhsa_dx10_clamp 1
		.amdhsa_ieee_mode 1
		.amdhsa_fp16_overflow 0
		.amdhsa_workgroup_processor_mode 1
		.amdhsa_memory_ordered 1
		.amdhsa_forward_progress 0
		.amdhsa_shared_vgpr_count 0
		.amdhsa_exception_fp_ieee_invalid_op 0
		.amdhsa_exception_fp_denorm_src 0
		.amdhsa_exception_fp_ieee_div_zero 0
		.amdhsa_exception_fp_ieee_overflow 0
		.amdhsa_exception_fp_ieee_underflow 0
		.amdhsa_exception_fp_ieee_inexact 0
		.amdhsa_exception_int_div_zero 0
	.end_amdhsa_kernel
	.section	.text._ZN7rocprim17ROCPRIM_400000_NS6detail17trampoline_kernelINS0_14default_configENS1_25partition_config_selectorILNS1_17partition_subalgoE5ElNS0_10empty_typeEbEEZZNS1_14partition_implILS5_5ELb0ES3_mN6hipcub16HIPCUB_304000_NS21CountingInputIteratorIllEEPS6_NSA_22TransformInputIteratorIb7NonZeroIfEPflEENS0_5tupleIJPlS6_EEENSJ_IJSD_SD_EEES6_SK_JS6_EEE10hipError_tPvRmT3_T4_T5_T6_T7_T9_mT8_P12ihipStream_tbDpT10_ENKUlT_T0_E_clISt17integral_constantIbLb1EES15_IbLb0EEEEDaS11_S12_EUlS11_E_NS1_11comp_targetILNS1_3genE10ELNS1_11target_archE1200ELNS1_3gpuE4ELNS1_3repE0EEENS1_30default_config_static_selectorELNS0_4arch9wavefront6targetE0EEEvT1_,"axG",@progbits,_ZN7rocprim17ROCPRIM_400000_NS6detail17trampoline_kernelINS0_14default_configENS1_25partition_config_selectorILNS1_17partition_subalgoE5ElNS0_10empty_typeEbEEZZNS1_14partition_implILS5_5ELb0ES3_mN6hipcub16HIPCUB_304000_NS21CountingInputIteratorIllEEPS6_NSA_22TransformInputIteratorIb7NonZeroIfEPflEENS0_5tupleIJPlS6_EEENSJ_IJSD_SD_EEES6_SK_JS6_EEE10hipError_tPvRmT3_T4_T5_T6_T7_T9_mT8_P12ihipStream_tbDpT10_ENKUlT_T0_E_clISt17integral_constantIbLb1EES15_IbLb0EEEEDaS11_S12_EUlS11_E_NS1_11comp_targetILNS1_3genE10ELNS1_11target_archE1200ELNS1_3gpuE4ELNS1_3repE0EEENS1_30default_config_static_selectorELNS0_4arch9wavefront6targetE0EEEvT1_,comdat
.Lfunc_end274:
	.size	_ZN7rocprim17ROCPRIM_400000_NS6detail17trampoline_kernelINS0_14default_configENS1_25partition_config_selectorILNS1_17partition_subalgoE5ElNS0_10empty_typeEbEEZZNS1_14partition_implILS5_5ELb0ES3_mN6hipcub16HIPCUB_304000_NS21CountingInputIteratorIllEEPS6_NSA_22TransformInputIteratorIb7NonZeroIfEPflEENS0_5tupleIJPlS6_EEENSJ_IJSD_SD_EEES6_SK_JS6_EEE10hipError_tPvRmT3_T4_T5_T6_T7_T9_mT8_P12ihipStream_tbDpT10_ENKUlT_T0_E_clISt17integral_constantIbLb1EES15_IbLb0EEEEDaS11_S12_EUlS11_E_NS1_11comp_targetILNS1_3genE10ELNS1_11target_archE1200ELNS1_3gpuE4ELNS1_3repE0EEENS1_30default_config_static_selectorELNS0_4arch9wavefront6targetE0EEEvT1_, .Lfunc_end274-_ZN7rocprim17ROCPRIM_400000_NS6detail17trampoline_kernelINS0_14default_configENS1_25partition_config_selectorILNS1_17partition_subalgoE5ElNS0_10empty_typeEbEEZZNS1_14partition_implILS5_5ELb0ES3_mN6hipcub16HIPCUB_304000_NS21CountingInputIteratorIllEEPS6_NSA_22TransformInputIteratorIb7NonZeroIfEPflEENS0_5tupleIJPlS6_EEENSJ_IJSD_SD_EEES6_SK_JS6_EEE10hipError_tPvRmT3_T4_T5_T6_T7_T9_mT8_P12ihipStream_tbDpT10_ENKUlT_T0_E_clISt17integral_constantIbLb1EES15_IbLb0EEEEDaS11_S12_EUlS11_E_NS1_11comp_targetILNS1_3genE10ELNS1_11target_archE1200ELNS1_3gpuE4ELNS1_3repE0EEENS1_30default_config_static_selectorELNS0_4arch9wavefront6targetE0EEEvT1_
                                        ; -- End function
	.section	.AMDGPU.csdata,"",@progbits
; Kernel info:
; codeLenInByte = 0
; NumSgprs: 0
; NumVgprs: 0
; ScratchSize: 0
; MemoryBound: 0
; FloatMode: 240
; IeeeMode: 1
; LDSByteSize: 0 bytes/workgroup (compile time only)
; SGPRBlocks: 0
; VGPRBlocks: 0
; NumSGPRsForWavesPerEU: 1
; NumVGPRsForWavesPerEU: 1
; Occupancy: 16
; WaveLimiterHint : 0
; COMPUTE_PGM_RSRC2:SCRATCH_EN: 0
; COMPUTE_PGM_RSRC2:USER_SGPR: 15
; COMPUTE_PGM_RSRC2:TRAP_HANDLER: 0
; COMPUTE_PGM_RSRC2:TGID_X_EN: 1
; COMPUTE_PGM_RSRC2:TGID_Y_EN: 0
; COMPUTE_PGM_RSRC2:TGID_Z_EN: 0
; COMPUTE_PGM_RSRC2:TIDIG_COMP_CNT: 0
	.section	.text._ZN7rocprim17ROCPRIM_400000_NS6detail17trampoline_kernelINS0_14default_configENS1_25partition_config_selectorILNS1_17partition_subalgoE5ElNS0_10empty_typeEbEEZZNS1_14partition_implILS5_5ELb0ES3_mN6hipcub16HIPCUB_304000_NS21CountingInputIteratorIllEEPS6_NSA_22TransformInputIteratorIb7NonZeroIfEPflEENS0_5tupleIJPlS6_EEENSJ_IJSD_SD_EEES6_SK_JS6_EEE10hipError_tPvRmT3_T4_T5_T6_T7_T9_mT8_P12ihipStream_tbDpT10_ENKUlT_T0_E_clISt17integral_constantIbLb1EES15_IbLb0EEEEDaS11_S12_EUlS11_E_NS1_11comp_targetILNS1_3genE9ELNS1_11target_archE1100ELNS1_3gpuE3ELNS1_3repE0EEENS1_30default_config_static_selectorELNS0_4arch9wavefront6targetE0EEEvT1_,"axG",@progbits,_ZN7rocprim17ROCPRIM_400000_NS6detail17trampoline_kernelINS0_14default_configENS1_25partition_config_selectorILNS1_17partition_subalgoE5ElNS0_10empty_typeEbEEZZNS1_14partition_implILS5_5ELb0ES3_mN6hipcub16HIPCUB_304000_NS21CountingInputIteratorIllEEPS6_NSA_22TransformInputIteratorIb7NonZeroIfEPflEENS0_5tupleIJPlS6_EEENSJ_IJSD_SD_EEES6_SK_JS6_EEE10hipError_tPvRmT3_T4_T5_T6_T7_T9_mT8_P12ihipStream_tbDpT10_ENKUlT_T0_E_clISt17integral_constantIbLb1EES15_IbLb0EEEEDaS11_S12_EUlS11_E_NS1_11comp_targetILNS1_3genE9ELNS1_11target_archE1100ELNS1_3gpuE3ELNS1_3repE0EEENS1_30default_config_static_selectorELNS0_4arch9wavefront6targetE0EEEvT1_,comdat
	.protected	_ZN7rocprim17ROCPRIM_400000_NS6detail17trampoline_kernelINS0_14default_configENS1_25partition_config_selectorILNS1_17partition_subalgoE5ElNS0_10empty_typeEbEEZZNS1_14partition_implILS5_5ELb0ES3_mN6hipcub16HIPCUB_304000_NS21CountingInputIteratorIllEEPS6_NSA_22TransformInputIteratorIb7NonZeroIfEPflEENS0_5tupleIJPlS6_EEENSJ_IJSD_SD_EEES6_SK_JS6_EEE10hipError_tPvRmT3_T4_T5_T6_T7_T9_mT8_P12ihipStream_tbDpT10_ENKUlT_T0_E_clISt17integral_constantIbLb1EES15_IbLb0EEEEDaS11_S12_EUlS11_E_NS1_11comp_targetILNS1_3genE9ELNS1_11target_archE1100ELNS1_3gpuE3ELNS1_3repE0EEENS1_30default_config_static_selectorELNS0_4arch9wavefront6targetE0EEEvT1_ ; -- Begin function _ZN7rocprim17ROCPRIM_400000_NS6detail17trampoline_kernelINS0_14default_configENS1_25partition_config_selectorILNS1_17partition_subalgoE5ElNS0_10empty_typeEbEEZZNS1_14partition_implILS5_5ELb0ES3_mN6hipcub16HIPCUB_304000_NS21CountingInputIteratorIllEEPS6_NSA_22TransformInputIteratorIb7NonZeroIfEPflEENS0_5tupleIJPlS6_EEENSJ_IJSD_SD_EEES6_SK_JS6_EEE10hipError_tPvRmT3_T4_T5_T6_T7_T9_mT8_P12ihipStream_tbDpT10_ENKUlT_T0_E_clISt17integral_constantIbLb1EES15_IbLb0EEEEDaS11_S12_EUlS11_E_NS1_11comp_targetILNS1_3genE9ELNS1_11target_archE1100ELNS1_3gpuE3ELNS1_3repE0EEENS1_30default_config_static_selectorELNS0_4arch9wavefront6targetE0EEEvT1_
	.globl	_ZN7rocprim17ROCPRIM_400000_NS6detail17trampoline_kernelINS0_14default_configENS1_25partition_config_selectorILNS1_17partition_subalgoE5ElNS0_10empty_typeEbEEZZNS1_14partition_implILS5_5ELb0ES3_mN6hipcub16HIPCUB_304000_NS21CountingInputIteratorIllEEPS6_NSA_22TransformInputIteratorIb7NonZeroIfEPflEENS0_5tupleIJPlS6_EEENSJ_IJSD_SD_EEES6_SK_JS6_EEE10hipError_tPvRmT3_T4_T5_T6_T7_T9_mT8_P12ihipStream_tbDpT10_ENKUlT_T0_E_clISt17integral_constantIbLb1EES15_IbLb0EEEEDaS11_S12_EUlS11_E_NS1_11comp_targetILNS1_3genE9ELNS1_11target_archE1100ELNS1_3gpuE3ELNS1_3repE0EEENS1_30default_config_static_selectorELNS0_4arch9wavefront6targetE0EEEvT1_
	.p2align	8
	.type	_ZN7rocprim17ROCPRIM_400000_NS6detail17trampoline_kernelINS0_14default_configENS1_25partition_config_selectorILNS1_17partition_subalgoE5ElNS0_10empty_typeEbEEZZNS1_14partition_implILS5_5ELb0ES3_mN6hipcub16HIPCUB_304000_NS21CountingInputIteratorIllEEPS6_NSA_22TransformInputIteratorIb7NonZeroIfEPflEENS0_5tupleIJPlS6_EEENSJ_IJSD_SD_EEES6_SK_JS6_EEE10hipError_tPvRmT3_T4_T5_T6_T7_T9_mT8_P12ihipStream_tbDpT10_ENKUlT_T0_E_clISt17integral_constantIbLb1EES15_IbLb0EEEEDaS11_S12_EUlS11_E_NS1_11comp_targetILNS1_3genE9ELNS1_11target_archE1100ELNS1_3gpuE3ELNS1_3repE0EEENS1_30default_config_static_selectorELNS0_4arch9wavefront6targetE0EEEvT1_,@function
_ZN7rocprim17ROCPRIM_400000_NS6detail17trampoline_kernelINS0_14default_configENS1_25partition_config_selectorILNS1_17partition_subalgoE5ElNS0_10empty_typeEbEEZZNS1_14partition_implILS5_5ELb0ES3_mN6hipcub16HIPCUB_304000_NS21CountingInputIteratorIllEEPS6_NSA_22TransformInputIteratorIb7NonZeroIfEPflEENS0_5tupleIJPlS6_EEENSJ_IJSD_SD_EEES6_SK_JS6_EEE10hipError_tPvRmT3_T4_T5_T6_T7_T9_mT8_P12ihipStream_tbDpT10_ENKUlT_T0_E_clISt17integral_constantIbLb1EES15_IbLb0EEEEDaS11_S12_EUlS11_E_NS1_11comp_targetILNS1_3genE9ELNS1_11target_archE1100ELNS1_3gpuE3ELNS1_3repE0EEENS1_30default_config_static_selectorELNS0_4arch9wavefront6targetE0EEEvT1_: ; @_ZN7rocprim17ROCPRIM_400000_NS6detail17trampoline_kernelINS0_14default_configENS1_25partition_config_selectorILNS1_17partition_subalgoE5ElNS0_10empty_typeEbEEZZNS1_14partition_implILS5_5ELb0ES3_mN6hipcub16HIPCUB_304000_NS21CountingInputIteratorIllEEPS6_NSA_22TransformInputIteratorIb7NonZeroIfEPflEENS0_5tupleIJPlS6_EEENSJ_IJSD_SD_EEES6_SK_JS6_EEE10hipError_tPvRmT3_T4_T5_T6_T7_T9_mT8_P12ihipStream_tbDpT10_ENKUlT_T0_E_clISt17integral_constantIbLb1EES15_IbLb0EEEEDaS11_S12_EUlS11_E_NS1_11comp_targetILNS1_3genE9ELNS1_11target_archE1100ELNS1_3gpuE3ELNS1_3repE0EEENS1_30default_config_static_selectorELNS0_4arch9wavefront6targetE0EEEvT1_
; %bb.0:
	s_clause 0x4
	s_load_b128 s[8:11], s[0:1], 0x8
	s_load_b128 s[4:7], s[0:1], 0x48
	s_load_b32 s14, s[0:1], 0x70
	s_load_b64 s[2:3], s[0:1], 0x58
	s_load_b64 s[12:13], s[0:1], 0x20
	s_waitcnt lgkmcnt(0)
	s_add_u32 s18, s10, s8
	s_load_b64 s[6:7], s[6:7], 0x0
	s_mul_i32 s17, s14, 0x300
	s_addc_u32 s19, s11, s9
	s_add_i32 s14, s14, -1
	s_add_u32 s8, s10, s17
	s_addc_u32 s9, s11, 0
	s_cmp_eq_u32 s15, s14
	v_cmp_ge_u64_e64 s3, s[8:9], s[2:3]
	s_cselect_b32 s14, -1, 0
	s_mul_i32 s8, s15, 0x300
	s_mov_b32 s9, 0
	s_delay_alu instid0(VALU_DEP_1) | instskip(NEXT) | instid1(SALU_CYCLE_1)
	s_and_b32 s3, s14, s3
	s_xor_b32 s16, s3, -1
	s_mov_b32 s3, -1
	s_and_b32 vcc_lo, exec_lo, s16
	s_cbranch_vccz .LBB275_2
; %bb.1:
	s_add_u32 s3, s18, s8
	s_addc_u32 s20, s19, 0
	v_add_co_u32 v1, s3, s3, v0
	s_delay_alu instid0(VALU_DEP_1) | instskip(SKIP_1) | instid1(VALU_DEP_3)
	v_add_co_ci_u32_e64 v2, null, s20, 0, s3
	v_lshlrev_b32_e32 v13, 3, v0
	v_add_co_u32 v3, vcc_lo, 0x80, v1
	s_delay_alu instid0(VALU_DEP_3)
	v_add_co_ci_u32_e32 v4, vcc_lo, 0, v2, vcc_lo
	v_add_co_u32 v5, vcc_lo, 0x100, v1
	v_add_co_ci_u32_e32 v6, vcc_lo, 0, v2, vcc_lo
	v_add_co_u32 v7, vcc_lo, 0x180, v1
	;; [unrolled: 2-line block ×4, first 2 shown]
	v_add_co_ci_u32_e32 v12, vcc_lo, 0, v2, vcc_lo
	ds_store_2addr_stride64_b64 v13, v[1:2], v[3:4] offset1:2
	ds_store_2addr_stride64_b64 v13, v[5:6], v[7:8] offset0:4 offset1:6
	ds_store_2addr_stride64_b64 v13, v[9:10], v[11:12] offset0:8 offset1:10
	s_waitcnt lgkmcnt(0)
	s_mov_b32 s3, s9
	s_barrier
.LBB275_2:
	v_or_b32_e32 v17, 0x100, v0
	v_or_b32_e32 v16, 0x180, v0
	;; [unrolled: 1-line block ×4, first 2 shown]
	s_and_not1_b32 vcc_lo, exec_lo, s3
	s_cbranch_vccnz .LBB275_4
; %bb.3:
	v_or_b32_e32 v3, 0x80, v0
	s_add_u32 s3, s18, s8
	s_addc_u32 s18, s19, 0
	v_add_co_u32 v1, s19, s3, v0
	s_delay_alu instid0(VALU_DEP_1) | instskip(SKIP_1) | instid1(VALU_DEP_1)
	v_add_co_ci_u32_e64 v2, null, s18, 0, s19
	v_add_co_u32 v3, s19, s3, v3
	v_add_co_ci_u32_e64 v4, null, s18, 0, s19
	v_add_co_u32 v5, s19, s3, v17
	s_delay_alu instid0(VALU_DEP_1) | instskip(SKIP_1) | instid1(VALU_DEP_1)
	v_add_co_ci_u32_e64 v6, null, s18, 0, s19
	v_add_co_u32 v7, s19, s3, v16
	v_add_co_ci_u32_e64 v8, null, s18, 0, s19
	v_add_co_u32 v9, s19, s3, v14
	v_lshlrev_b32_e32 v15, 3, v0
	v_add_co_u32 v11, s3, s3, v13
	v_add_co_ci_u32_e64 v10, null, s18, 0, s19
	v_add_co_ci_u32_e64 v12, null, s18, 0, s3
	ds_store_2addr_stride64_b64 v15, v[1:2], v[3:4] offset1:2
	ds_store_2addr_stride64_b64 v15, v[5:6], v[7:8] offset0:4 offset1:6
	ds_store_2addr_stride64_b64 v15, v[9:10], v[11:12] offset0:8 offset1:10
	s_waitcnt lgkmcnt(0)
	s_barrier
.LBB275_4:
	v_mul_u32_u24_e32 v1, 6, v0
	s_waitcnt lgkmcnt(0)
	buffer_gl0_inv
	s_lshl_b64 s[18:19], s[10:11], 2
	s_delay_alu instid0(SALU_CYCLE_1)
	s_add_u32 s3, s12, s18
	v_lshlrev_b32_e32 v15, 3, v1
	s_addc_u32 s11, s13, s19
	s_lshl_b64 s[8:9], s[8:9], 2
	ds_load_b128 v[9:12], v15
	ds_load_b128 v[5:8], v15 offset:16
	ds_load_b128 v[1:4], v15 offset:32
	s_add_u32 s12, s3, s8
	s_addc_u32 s13, s11, s9
	s_and_b32 vcc_lo, exec_lo, s16
	s_mov_b32 s3, -1
	s_waitcnt lgkmcnt(0)
	s_barrier
	buffer_gl0_inv
	s_cbranch_vccz .LBB275_6
; %bb.5:
	v_lshlrev_b32_e32 v18, 2, v0
	s_mov_b32 s3, 0
	s_clause 0x5
	global_load_b32 v19, v18, s[12:13]
	global_load_b32 v20, v18, s[12:13] offset:512
	global_load_b32 v21, v18, s[12:13] offset:1024
	;; [unrolled: 1-line block ×5, first 2 shown]
	s_waitcnt vmcnt(5)
	v_cmp_neq_f32_e32 vcc_lo, 0, v19
	v_cndmask_b32_e64 v19, 0, 1, vcc_lo
	s_waitcnt vmcnt(4)
	v_cmp_neq_f32_e32 vcc_lo, 0, v20
	v_cndmask_b32_e64 v20, 0, 1, vcc_lo
	;; [unrolled: 3-line block ×6, first 2 shown]
	ds_store_b8 v0, v19
	ds_store_b8 v0, v20 offset:128
	ds_store_b8 v0, v21 offset:256
	;; [unrolled: 1-line block ×5, first 2 shown]
	s_waitcnt lgkmcnt(0)
	s_barrier
.LBB275_6:
	s_load_b64 s[8:9], s[0:1], 0x68
	s_and_not1_b32 vcc_lo, exec_lo, s3
	s_cbranch_vccnz .LBB275_20
; %bb.7:
	s_add_i32 s17, s17, s10
	v_dual_mov_b32 v18, 0 :: v_dual_mov_b32 v19, 0
	s_sub_i32 s2, s2, s17
	s_mov_b32 s3, exec_lo
	s_addk_i32 s2, 0x300
	s_delay_alu instid0(SALU_CYCLE_1)
	v_cmpx_gt_u32_e64 s2, v0
	s_cbranch_execz .LBB275_9
; %bb.8:
	v_lshlrev_b32_e32 v19, 2, v0
	global_load_b32 v19, v19, s[12:13]
	s_waitcnt vmcnt(0)
	v_cmp_neq_f32_e32 vcc_lo, 0, v19
	v_cndmask_b32_e64 v19, 0, 1, vcc_lo
.LBB275_9:
	s_or_b32 exec_lo, exec_lo, s3
	v_or_b32_e32 v20, 0x80, v0
	s_mov_b32 s3, exec_lo
	s_delay_alu instid0(VALU_DEP_1)
	v_cmpx_gt_u32_e64 s2, v20
	s_cbranch_execz .LBB275_11
; %bb.10:
	v_lshlrev_b32_e32 v18, 2, v0
	global_load_b32 v18, v18, s[12:13] offset:512
	s_waitcnt vmcnt(0)
	v_cmp_neq_f32_e32 vcc_lo, 0, v18
	v_cndmask_b32_e64 v18, 0, 1, vcc_lo
.LBB275_11:
	s_or_b32 exec_lo, exec_lo, s3
	v_cmp_gt_u32_e32 vcc_lo, s2, v17
	v_dual_mov_b32 v17, 0 :: v_dual_mov_b32 v20, 0
	s_and_saveexec_b32 s3, vcc_lo
	s_cbranch_execz .LBB275_13
; %bb.12:
	v_lshlrev_b32_e32 v20, 2, v0
	global_load_b32 v20, v20, s[12:13] offset:1024
	s_waitcnt vmcnt(0)
	v_cmp_neq_f32_e32 vcc_lo, 0, v20
	v_cndmask_b32_e64 v20, 0, 1, vcc_lo
.LBB275_13:
	s_or_b32 exec_lo, exec_lo, s3
	s_delay_alu instid0(SALU_CYCLE_1)
	s_mov_b32 s3, exec_lo
	v_cmpx_gt_u32_e64 s2, v16
	s_cbranch_execz .LBB275_15
; %bb.14:
	v_lshlrev_b32_e32 v16, 2, v0
	global_load_b32 v16, v16, s[12:13] offset:1536
	s_waitcnt vmcnt(0)
	v_cmp_neq_f32_e32 vcc_lo, 0, v16
	v_cndmask_b32_e64 v17, 0, 1, vcc_lo
.LBB275_15:
	s_or_b32 exec_lo, exec_lo, s3
	v_cmp_gt_u32_e32 vcc_lo, s2, v14
	v_mov_b32_e32 v14, 0
	v_mov_b32_e32 v16, 0
	s_and_saveexec_b32 s3, vcc_lo
	s_cbranch_execz .LBB275_17
; %bb.16:
	v_lshlrev_b32_e32 v16, 2, v0
	global_load_b32 v16, v16, s[12:13] offset:2048
	s_waitcnt vmcnt(0)
	v_cmp_neq_f32_e32 vcc_lo, 0, v16
	v_cndmask_b32_e64 v16, 0, 1, vcc_lo
.LBB275_17:
	s_or_b32 exec_lo, exec_lo, s3
	v_cmp_gt_u32_e32 vcc_lo, s2, v13
	s_and_saveexec_b32 s2, vcc_lo
	s_cbranch_execz .LBB275_19
; %bb.18:
	v_lshlrev_b32_e32 v13, 2, v0
	global_load_b32 v13, v13, s[12:13] offset:2560
	s_waitcnt vmcnt(0)
	v_cmp_neq_f32_e32 vcc_lo, 0, v13
	v_cndmask_b32_e64 v14, 0, 1, vcc_lo
.LBB275_19:
	s_or_b32 exec_lo, exec_lo, s2
	ds_store_b8 v0, v19
	ds_store_b8 v0, v18 offset:128
	ds_store_b8 v0, v20 offset:256
	;; [unrolled: 1-line block ×5, first 2 shown]
	s_waitcnt lgkmcnt(0)
	s_barrier
.LBB275_20:
	v_mad_i32_i24 v43, 0xffffffd6, v0, v15
	s_waitcnt lgkmcnt(0)
	buffer_gl0_inv
	v_mbcnt_lo_u32_b32 v42, -1, 0
	s_cmp_lg_u32 s15, 0
	s_mov_b32 s3, -1
	ds_load_u16 v36, v43
	ds_load_u16 v33, v43 offset:2
	ds_load_u16 v31, v43 offset:4
	v_mov_b32_e32 v14, 0
	v_and_b32_e32 v44, 15, v42
	s_waitcnt lgkmcnt(0)
	s_barrier
	buffer_gl0_inv
	v_and_b32_e32 v41, 0xff, v36
	v_lshrrev_b16 v34, 8, v36
	v_lshrrev_b16 v35, 8, v33
	v_and_b32_e32 v39, 0xff, v33
	v_lshrrev_b16 v32, 8, v31
	v_and_b32_e32 v37, 0xff, v31
	v_and_b32_e32 v40, 0xffff, v34
	;; [unrolled: 1-line block ×3, first 2 shown]
	s_delay_alu instid0(VALU_DEP_4) | instskip(NEXT) | instid1(VALU_DEP_3)
	v_and_b32_e32 v16, 0xffff, v32
	v_add_co_u32 v13, s2, v40, v41
	s_delay_alu instid0(VALU_DEP_1) | instskip(SKIP_1) | instid1(VALU_DEP_3)
	v_add_co_ci_u32_e64 v15, null, 0, 0, s2
	v_cmp_ne_u32_e64 s2, 0, v44
	v_add_co_u32 v13, vcc_lo, v13, v39
	s_delay_alu instid0(VALU_DEP_3) | instskip(NEXT) | instid1(VALU_DEP_2)
	v_add_co_ci_u32_e32 v15, vcc_lo, 0, v15, vcc_lo
	v_add_co_u32 v13, vcc_lo, v13, v38
	s_delay_alu instid0(VALU_DEP_2) | instskip(NEXT) | instid1(VALU_DEP_2)
	v_add_co_ci_u32_e32 v15, vcc_lo, 0, v15, vcc_lo
	v_add_co_u32 v13, vcc_lo, v13, v37
	s_delay_alu instid0(VALU_DEP_2) | instskip(NEXT) | instid1(VALU_DEP_2)
	v_add_co_ci_u32_e32 v15, vcc_lo, 0, v15, vcc_lo
	v_add_co_u32 v21, vcc_lo, v13, v16
	s_delay_alu instid0(VALU_DEP_2)
	v_add_co_ci_u32_e32 v22, vcc_lo, 0, v15, vcc_lo
	s_cbranch_scc0 .LBB275_89
; %bb.21:
	s_delay_alu instid0(VALU_DEP_2)
	v_mov_b32_e32 v15, v21
	v_mov_b32_dpp v13, v21 row_shr:1 row_mask:0xf bank_mask:0xf
	v_mov_b32_dpp v18, v14 row_shr:1 row_mask:0xf bank_mask:0xf
	v_dual_mov_b32 v17, v21 :: v_dual_mov_b32 v16, v22
	s_and_saveexec_b32 s3, s2
; %bb.22:
	s_delay_alu instid0(VALU_DEP_3) | instskip(SKIP_1) | instid1(VALU_DEP_2)
	v_add_co_u32 v17, vcc_lo, v21, v13
	v_add_co_ci_u32_e32 v14, vcc_lo, 0, v22, vcc_lo
	v_add_co_u32 v13, vcc_lo, 0, v17
	s_delay_alu instid0(VALU_DEP_2) | instskip(NEXT) | instid1(VALU_DEP_1)
	v_add_co_ci_u32_e32 v14, vcc_lo, v18, v14, vcc_lo
	v_dual_mov_b32 v16, v14 :: v_dual_mov_b32 v15, v13
; %bb.23:
	s_or_b32 exec_lo, exec_lo, s3
	v_mov_b32_dpp v13, v17 row_shr:2 row_mask:0xf bank_mask:0xf
	v_mov_b32_dpp v18, v14 row_shr:2 row_mask:0xf bank_mask:0xf
	s_mov_b32 s3, exec_lo
	v_cmpx_lt_u32_e32 1, v44
; %bb.24:
	s_delay_alu instid0(VALU_DEP_3) | instskip(SKIP_1) | instid1(VALU_DEP_2)
	v_add_co_u32 v17, vcc_lo, v15, v13
	v_add_co_ci_u32_e32 v14, vcc_lo, 0, v16, vcc_lo
	v_add_co_u32 v13, vcc_lo, 0, v17
	s_delay_alu instid0(VALU_DEP_2) | instskip(NEXT) | instid1(VALU_DEP_1)
	v_add_co_ci_u32_e32 v14, vcc_lo, v18, v14, vcc_lo
	v_dual_mov_b32 v16, v14 :: v_dual_mov_b32 v15, v13
; %bb.25:
	s_or_b32 exec_lo, exec_lo, s3
	v_mov_b32_dpp v13, v17 row_shr:4 row_mask:0xf bank_mask:0xf
	v_mov_b32_dpp v18, v14 row_shr:4 row_mask:0xf bank_mask:0xf
	s_mov_b32 s3, exec_lo
	v_cmpx_lt_u32_e32 3, v44
	;; [unrolled: 14-line block ×3, first 2 shown]
; %bb.28:
	s_delay_alu instid0(VALU_DEP_3) | instskip(SKIP_1) | instid1(VALU_DEP_2)
	v_add_co_u32 v17, vcc_lo, v15, v18
	v_add_co_ci_u32_e32 v14, vcc_lo, 0, v16, vcc_lo
	v_add_co_u32 v15, vcc_lo, 0, v17
	s_delay_alu instid0(VALU_DEP_2) | instskip(NEXT) | instid1(VALU_DEP_1)
	v_add_co_ci_u32_e32 v16, vcc_lo, v13, v14, vcc_lo
	v_mov_b32_e32 v14, v16
; %bb.29:
	s_or_b32 exec_lo, exec_lo, s3
	ds_swizzle_b32 v13, v17 offset:swizzle(BROADCAST,32,15)
	ds_swizzle_b32 v18, v14 offset:swizzle(BROADCAST,32,15)
	v_and_b32_e32 v19, 16, v42
	s_mov_b32 s3, exec_lo
	s_delay_alu instid0(VALU_DEP_1)
	v_cmpx_ne_u32_e32 0, v19
	s_cbranch_execz .LBB275_31
; %bb.30:
	s_waitcnt lgkmcnt(1)
	v_add_co_u32 v17, vcc_lo, v15, v13
	v_add_co_ci_u32_e32 v14, vcc_lo, 0, v16, vcc_lo
	s_delay_alu instid0(VALU_DEP_2) | instskip(SKIP_1) | instid1(VALU_DEP_2)
	v_add_co_u32 v13, vcc_lo, 0, v17
	s_waitcnt lgkmcnt(0)
	v_add_co_ci_u32_e32 v14, vcc_lo, v18, v14, vcc_lo
	s_delay_alu instid0(VALU_DEP_1)
	v_dual_mov_b32 v16, v14 :: v_dual_mov_b32 v15, v13
.LBB275_31:
	s_or_b32 exec_lo, exec_lo, s3
	s_waitcnt lgkmcnt(0)
	v_or_b32_e32 v18, 31, v0
	v_lshrrev_b32_e32 v13, 5, v0
	s_mov_b32 s3, exec_lo
	s_delay_alu instid0(VALU_DEP_2)
	v_cmpx_eq_u32_e64 v18, v0
	s_cbranch_execz .LBB275_33
; %bb.32:
	s_delay_alu instid0(VALU_DEP_2)
	v_lshlrev_b32_e32 v18, 3, v13
	ds_store_b64 v18, v[15:16]
.LBB275_33:
	s_or_b32 exec_lo, exec_lo, s3
	s_delay_alu instid0(SALU_CYCLE_1)
	s_mov_b32 s3, exec_lo
	s_waitcnt lgkmcnt(0)
	s_barrier
	buffer_gl0_inv
	v_cmpx_gt_u32_e32 4, v0
	s_cbranch_execz .LBB275_39
; %bb.34:
	v_lshlrev_b32_e32 v18, 3, v0
	s_mov_b32 s10, exec_lo
	ds_load_b64 v[15:16], v18
	s_waitcnt lgkmcnt(0)
	v_dual_mov_b32 v20, v15 :: v_dual_and_b32 v19, 3, v42
	v_mov_b32_dpp v24, v15 row_shr:1 row_mask:0xf bank_mask:0xf
	v_mov_b32_dpp v23, v16 row_shr:1 row_mask:0xf bank_mask:0xf
	s_delay_alu instid0(VALU_DEP_3)
	v_cmpx_ne_u32_e32 0, v19
; %bb.35:
	s_delay_alu instid0(VALU_DEP_3) | instskip(SKIP_1) | instid1(VALU_DEP_2)
	v_add_co_u32 v20, vcc_lo, v15, v24
	v_add_co_ci_u32_e32 v16, vcc_lo, 0, v16, vcc_lo
	v_add_co_u32 v15, vcc_lo, 0, v20
	s_delay_alu instid0(VALU_DEP_2)
	v_add_co_ci_u32_e32 v16, vcc_lo, v23, v16, vcc_lo
; %bb.36:
	s_or_b32 exec_lo, exec_lo, s10
	v_mov_b32_dpp v23, v20 row_shr:2 row_mask:0xf bank_mask:0xf
	s_delay_alu instid0(VALU_DEP_2)
	v_mov_b32_dpp v20, v16 row_shr:2 row_mask:0xf bank_mask:0xf
	s_mov_b32 s10, exec_lo
	v_cmpx_lt_u32_e32 1, v19
; %bb.37:
	s_delay_alu instid0(VALU_DEP_3) | instskip(SKIP_1) | instid1(VALU_DEP_2)
	v_add_co_u32 v15, vcc_lo, v15, v23
	v_add_co_ci_u32_e32 v16, vcc_lo, 0, v16, vcc_lo
	v_add_co_u32 v15, vcc_lo, v15, 0
	s_delay_alu instid0(VALU_DEP_2)
	v_add_co_ci_u32_e32 v16, vcc_lo, v16, v20, vcc_lo
; %bb.38:
	s_or_b32 exec_lo, exec_lo, s10
	ds_store_b64 v18, v[15:16]
.LBB275_39:
	s_or_b32 exec_lo, exec_lo, s3
	v_cmp_gt_u32_e32 vcc_lo, 32, v0
	s_mov_b32 s10, exec_lo
	s_waitcnt lgkmcnt(0)
	s_barrier
	buffer_gl0_inv
                                        ; implicit-def: $vgpr23_vgpr24
	v_cmpx_lt_u32_e32 31, v0
	s_cbranch_execz .LBB275_41
; %bb.40:
	v_lshl_add_u32 v13, v13, 3, -8
	ds_load_b64 v[23:24], v13
	s_waitcnt lgkmcnt(0)
	v_add_co_u32 v17, s3, v17, v23
	s_delay_alu instid0(VALU_DEP_1)
	v_add_co_ci_u32_e64 v14, s3, v14, v24, s3
.LBB275_41:
	s_or_b32 exec_lo, exec_lo, s10
	v_add_nc_u32_e32 v13, -1, v42
	s_delay_alu instid0(VALU_DEP_1) | instskip(NEXT) | instid1(VALU_DEP_1)
	v_cmp_gt_i32_e64 s3, 0, v13
	v_cndmask_b32_e64 v13, v13, v42, s3
	v_cmp_eq_u32_e64 s3, 0, v42
	s_delay_alu instid0(VALU_DEP_2)
	v_lshlrev_b32_e32 v13, 2, v13
	ds_bpermute_b32 v29, v13, v17
	ds_bpermute_b32 v30, v13, v14
	s_and_saveexec_b32 s10, vcc_lo
	s_cbranch_execz .LBB275_84
; %bb.42:
	v_mov_b32_e32 v16, 0
	ds_load_b64 v[13:14], v16 offset:24
	s_and_saveexec_b32 s11, s3
	s_cbranch_execz .LBB275_44
; %bb.43:
	s_add_i32 s12, s15, 32
	s_mov_b32 s13, 0
	s_delay_alu instid0(SALU_CYCLE_1) | instskip(NEXT) | instid1(SALU_CYCLE_1)
	s_lshl_b64 s[12:13], s[12:13], 4
	s_add_u32 s12, s8, s12
	s_addc_u32 s13, s9, s13
	s_delay_alu instid0(SALU_CYCLE_1)
	v_dual_mov_b32 v15, 1 :: v_dual_mov_b32 v18, s13
	v_mov_b32_e32 v17, s12
	s_waitcnt lgkmcnt(0)
	;;#ASMSTART
	global_store_dwordx4 v[17:18], v[13:16] off	
s_waitcnt vmcnt(0)
	;;#ASMEND
.LBB275_44:
	s_or_b32 exec_lo, exec_lo, s11
	v_xad_u32 v25, v42, -1, s15
	s_mov_b32 s12, 0
	s_mov_b32 s11, exec_lo
	s_delay_alu instid0(VALU_DEP_1) | instskip(NEXT) | instid1(VALU_DEP_1)
	v_add_nc_u32_e32 v15, 32, v25
	v_lshlrev_b64 v[15:16], 4, v[15:16]
	s_delay_alu instid0(VALU_DEP_1) | instskip(NEXT) | instid1(VALU_DEP_2)
	v_add_co_u32 v15, vcc_lo, s8, v15
	v_add_co_ci_u32_e32 v16, vcc_lo, s9, v16, vcc_lo
	;;#ASMSTART
	global_load_dwordx4 v[17:20], v[15:16] off glc	
s_waitcnt vmcnt(0)
	;;#ASMEND
	v_and_b32_e32 v20, 0xff, v18
	v_and_b32_e32 v26, 0xff00, v18
	;; [unrolled: 1-line block ×3, first 2 shown]
	v_or3_b32 v17, v17, 0, 0
	v_and_b32_e32 v18, 0xff000000, v18
	s_delay_alu instid0(VALU_DEP_4) | instskip(SKIP_1) | instid1(VALU_DEP_4)
	v_or3_b32 v20, 0, v20, v26
	v_and_b32_e32 v26, 0xff, v19
	v_or3_b32 v17, v17, 0, 0
	s_delay_alu instid0(VALU_DEP_3) | instskip(NEXT) | instid1(VALU_DEP_3)
	v_or3_b32 v18, v20, v27, v18
	v_cmpx_eq_u16_e32 0, v26
	s_cbranch_execz .LBB275_50
; %bb.45:
	s_mov_b32 s13, 1
	.p2align	6
.LBB275_46:                             ; =>This Loop Header: Depth=1
                                        ;     Child Loop BB275_47 Depth 2
	s_delay_alu instid0(SALU_CYCLE_1)
	s_max_u32 s17, s13, 1
.LBB275_47:                             ;   Parent Loop BB275_46 Depth=1
                                        ; =>  This Inner Loop Header: Depth=2
	s_delay_alu instid0(SALU_CYCLE_1)
	s_add_i32 s17, s17, -1
	s_sleep 1
	s_cmp_eq_u32 s17, 0
	s_cbranch_scc0 .LBB275_47
; %bb.48:                               ;   in Loop: Header=BB275_46 Depth=1
	;;#ASMSTART
	global_load_dwordx4 v[17:20], v[15:16] off glc	
s_waitcnt vmcnt(0)
	;;#ASMEND
	v_and_b32_e32 v20, 0xff, v19
	s_cmp_lt_u32 s13, 32
	s_cselect_b32 s17, -1, 0
	s_delay_alu instid0(SALU_CYCLE_1) | instskip(NEXT) | instid1(VALU_DEP_1)
	s_cmp_lg_u32 s17, 0
	v_cmp_ne_u16_e32 vcc_lo, 0, v20
	s_addc_u32 s13, s13, 0
	s_or_b32 s12, vcc_lo, s12
	s_delay_alu instid0(SALU_CYCLE_1)
	s_and_not1_b32 exec_lo, exec_lo, s12
	s_cbranch_execnz .LBB275_46
; %bb.49:
	s_or_b32 exec_lo, exec_lo, s12
.LBB275_50:
	s_delay_alu instid0(SALU_CYCLE_1)
	s_or_b32 exec_lo, exec_lo, s11
	v_cmp_ne_u32_e32 vcc_lo, 31, v42
	v_and_b32_e32 v16, 0xff, v19
	v_lshlrev_b32_e64 v46, v42, -1
	s_mov_b32 s11, exec_lo
	v_add_co_ci_u32_e32 v15, vcc_lo, 0, v42, vcc_lo
	s_delay_alu instid0(VALU_DEP_3) | instskip(NEXT) | instid1(VALU_DEP_2)
	v_cmp_eq_u16_e32 vcc_lo, 2, v16
	v_dual_mov_b32 v16, v17 :: v_dual_lshlrev_b32 v45, 2, v15
	v_and_or_b32 v15, vcc_lo, v46, 0x80000000
	ds_bpermute_b32 v26, v45, v17
	ds_bpermute_b32 v20, v45, v18
	v_ctz_i32_b32_e32 v15, v15
	s_delay_alu instid0(VALU_DEP_1)
	v_cmpx_lt_u32_e64 v42, v15
	s_cbranch_execz .LBB275_52
; %bb.51:
	s_waitcnt lgkmcnt(1)
	v_add_co_u32 v16, vcc_lo, v17, v26
	v_add_co_ci_u32_e32 v18, vcc_lo, 0, v18, vcc_lo
	s_delay_alu instid0(VALU_DEP_2) | instskip(SKIP_1) | instid1(VALU_DEP_2)
	v_add_co_u32 v17, vcc_lo, 0, v16
	s_waitcnt lgkmcnt(0)
	v_add_co_ci_u32_e32 v18, vcc_lo, v20, v18, vcc_lo
.LBB275_52:
	s_or_b32 exec_lo, exec_lo, s11
	v_cmp_gt_u32_e32 vcc_lo, 30, v42
	v_add_nc_u32_e32 v48, 2, v42
	s_mov_b32 s11, exec_lo
	s_waitcnt lgkmcnt(0)
	v_cndmask_b32_e64 v20, 0, 1, vcc_lo
	s_delay_alu instid0(VALU_DEP_1) | instskip(NEXT) | instid1(VALU_DEP_1)
	v_lshlrev_b32_e32 v20, 1, v20
	v_add_lshl_u32 v47, v20, v42, 2
	ds_bpermute_b32 v26, v47, v16
	ds_bpermute_b32 v20, v47, v18
	v_cmpx_le_u32_e64 v48, v15
	s_cbranch_execz .LBB275_54
; %bb.53:
	s_waitcnt lgkmcnt(1)
	v_add_co_u32 v16, vcc_lo, v17, v26
	v_add_co_ci_u32_e32 v18, vcc_lo, 0, v18, vcc_lo
	s_delay_alu instid0(VALU_DEP_2) | instskip(SKIP_1) | instid1(VALU_DEP_2)
	v_add_co_u32 v17, vcc_lo, 0, v16
	s_waitcnt lgkmcnt(0)
	v_add_co_ci_u32_e32 v18, vcc_lo, v20, v18, vcc_lo
.LBB275_54:
	s_or_b32 exec_lo, exec_lo, s11
	v_cmp_gt_u32_e32 vcc_lo, 28, v42
	v_add_nc_u32_e32 v50, 4, v42
	s_mov_b32 s11, exec_lo
	s_waitcnt lgkmcnt(0)
	v_cndmask_b32_e64 v20, 0, 1, vcc_lo
	s_delay_alu instid0(VALU_DEP_1) | instskip(NEXT) | instid1(VALU_DEP_1)
	v_lshlrev_b32_e32 v20, 2, v20
	v_add_lshl_u32 v49, v20, v42, 2
	ds_bpermute_b32 v26, v49, v16
	ds_bpermute_b32 v20, v49, v18
	v_cmpx_le_u32_e64 v50, v15
	;; [unrolled: 22-line block ×4, first 2 shown]
	s_cbranch_execz .LBB275_60
; %bb.59:
	s_waitcnt lgkmcnt(1)
	v_add_co_u32 v15, vcc_lo, v17, v20
	v_add_co_ci_u32_e32 v18, vcc_lo, 0, v18, vcc_lo
	s_delay_alu instid0(VALU_DEP_2) | instskip(SKIP_1) | instid1(VALU_DEP_2)
	v_add_co_u32 v17, vcc_lo, v15, 0
	s_waitcnt lgkmcnt(0)
	v_add_co_ci_u32_e32 v18, vcc_lo, v18, v16, vcc_lo
.LBB275_60:
	s_or_b32 exec_lo, exec_lo, s11
	v_mov_b32_e32 v26, 0
	s_branch .LBB275_62
.LBB275_61:                             ;   in Loop: Header=BB275_62 Depth=1
	s_or_b32 exec_lo, exec_lo, s11
	v_add_co_u32 v17, vcc_lo, v17, v15
	v_subrev_nc_u32_e32 v25, 32, v25
	v_add_co_ci_u32_e32 v18, vcc_lo, v18, v16, vcc_lo
.LBB275_62:                             ; =>This Loop Header: Depth=1
                                        ;     Child Loop BB275_65 Depth 2
                                        ;       Child Loop BB275_66 Depth 3
	v_and_b32_e32 v15, 0xff, v19
	s_delay_alu instid0(VALU_DEP_1) | instskip(SKIP_2) | instid1(VALU_DEP_1)
	v_cmp_ne_u16_e32 vcc_lo, 2, v15
	v_cndmask_b32_e64 v15, 0, 1, vcc_lo
	;;#ASMSTART
	;;#ASMEND
	v_cmp_ne_u32_e32 vcc_lo, 0, v15
	s_waitcnt lgkmcnt(0)
	v_dual_mov_b32 v15, v17 :: v_dual_mov_b32 v16, v18
	s_cmp_lg_u32 vcc_lo, exec_lo
	s_cbranch_scc1 .LBB275_79
; %bb.63:                               ;   in Loop: Header=BB275_62 Depth=1
	v_lshlrev_b64 v[17:18], 4, v[25:26]
	s_mov_b32 s11, exec_lo
	s_delay_alu instid0(VALU_DEP_1) | instskip(NEXT) | instid1(VALU_DEP_2)
	v_add_co_u32 v27, vcc_lo, s8, v17
	v_add_co_ci_u32_e32 v28, vcc_lo, s9, v18, vcc_lo
	;;#ASMSTART
	global_load_dwordx4 v[17:20], v[27:28] off glc	
s_waitcnt vmcnt(0)
	;;#ASMEND
	v_and_b32_e32 v20, 0xff, v18
	v_and_b32_e32 v55, 0xff00, v18
	v_and_b32_e32 v56, 0xff0000, v18
	v_or3_b32 v17, v17, 0, 0
	v_and_b32_e32 v18, 0xff000000, v18
	s_delay_alu instid0(VALU_DEP_4) | instskip(SKIP_1) | instid1(VALU_DEP_4)
	v_or3_b32 v20, 0, v20, v55
	v_and_b32_e32 v55, 0xff, v19
	v_or3_b32 v17, v17, 0, 0
	s_delay_alu instid0(VALU_DEP_3) | instskip(NEXT) | instid1(VALU_DEP_3)
	v_or3_b32 v18, v20, v56, v18
	v_cmpx_eq_u16_e32 0, v55
	s_cbranch_execz .LBB275_69
; %bb.64:                               ;   in Loop: Header=BB275_62 Depth=1
	s_mov_b32 s13, 1
	s_mov_b32 s12, 0
	.p2align	6
.LBB275_65:                             ;   Parent Loop BB275_62 Depth=1
                                        ; =>  This Loop Header: Depth=2
                                        ;       Child Loop BB275_66 Depth 3
	s_max_u32 s17, s13, 1
.LBB275_66:                             ;   Parent Loop BB275_62 Depth=1
                                        ;     Parent Loop BB275_65 Depth=2
                                        ; =>    This Inner Loop Header: Depth=3
	s_delay_alu instid0(SALU_CYCLE_1)
	s_add_i32 s17, s17, -1
	s_sleep 1
	s_cmp_eq_u32 s17, 0
	s_cbranch_scc0 .LBB275_66
; %bb.67:                               ;   in Loop: Header=BB275_65 Depth=2
	;;#ASMSTART
	global_load_dwordx4 v[17:20], v[27:28] off glc	
s_waitcnt vmcnt(0)
	;;#ASMEND
	v_and_b32_e32 v20, 0xff, v19
	s_cmp_lt_u32 s13, 32
	s_cselect_b32 s17, -1, 0
	s_delay_alu instid0(SALU_CYCLE_1) | instskip(NEXT) | instid1(VALU_DEP_1)
	s_cmp_lg_u32 s17, 0
	v_cmp_ne_u16_e32 vcc_lo, 0, v20
	s_addc_u32 s13, s13, 0
	s_or_b32 s12, vcc_lo, s12
	s_delay_alu instid0(SALU_CYCLE_1)
	s_and_not1_b32 exec_lo, exec_lo, s12
	s_cbranch_execnz .LBB275_65
; %bb.68:                               ;   in Loop: Header=BB275_62 Depth=1
	s_or_b32 exec_lo, exec_lo, s12
.LBB275_69:                             ;   in Loop: Header=BB275_62 Depth=1
	s_delay_alu instid0(SALU_CYCLE_1)
	s_or_b32 exec_lo, exec_lo, s11
	v_dual_mov_b32 v27, v17 :: v_dual_and_b32 v20, 0xff, v19
	ds_bpermute_b32 v55, v45, v17
	ds_bpermute_b32 v28, v45, v18
	s_mov_b32 s11, exec_lo
	v_cmp_eq_u16_e32 vcc_lo, 2, v20
	v_and_or_b32 v20, vcc_lo, v46, 0x80000000
	s_delay_alu instid0(VALU_DEP_1) | instskip(NEXT) | instid1(VALU_DEP_1)
	v_ctz_i32_b32_e32 v20, v20
	v_cmpx_lt_u32_e64 v42, v20
	s_cbranch_execz .LBB275_71
; %bb.70:                               ;   in Loop: Header=BB275_62 Depth=1
	s_waitcnt lgkmcnt(1)
	v_add_co_u32 v27, vcc_lo, v17, v55
	v_add_co_ci_u32_e32 v18, vcc_lo, 0, v18, vcc_lo
	s_delay_alu instid0(VALU_DEP_2) | instskip(SKIP_1) | instid1(VALU_DEP_2)
	v_add_co_u32 v17, vcc_lo, 0, v27
	s_waitcnt lgkmcnt(0)
	v_add_co_ci_u32_e32 v18, vcc_lo, v28, v18, vcc_lo
.LBB275_71:                             ;   in Loop: Header=BB275_62 Depth=1
	s_or_b32 exec_lo, exec_lo, s11
	s_waitcnt lgkmcnt(1)
	ds_bpermute_b32 v55, v47, v27
	s_waitcnt lgkmcnt(1)
	ds_bpermute_b32 v28, v47, v18
	s_mov_b32 s11, exec_lo
	v_cmpx_le_u32_e64 v48, v20
	s_cbranch_execz .LBB275_73
; %bb.72:                               ;   in Loop: Header=BB275_62 Depth=1
	s_waitcnt lgkmcnt(1)
	v_add_co_u32 v27, vcc_lo, v17, v55
	v_add_co_ci_u32_e32 v18, vcc_lo, 0, v18, vcc_lo
	s_delay_alu instid0(VALU_DEP_2) | instskip(SKIP_1) | instid1(VALU_DEP_2)
	v_add_co_u32 v17, vcc_lo, 0, v27
	s_waitcnt lgkmcnt(0)
	v_add_co_ci_u32_e32 v18, vcc_lo, v28, v18, vcc_lo
.LBB275_73:                             ;   in Loop: Header=BB275_62 Depth=1
	s_or_b32 exec_lo, exec_lo, s11
	s_waitcnt lgkmcnt(1)
	ds_bpermute_b32 v55, v49, v27
	s_waitcnt lgkmcnt(1)
	ds_bpermute_b32 v28, v49, v18
	s_mov_b32 s11, exec_lo
	v_cmpx_le_u32_e64 v50, v20
	;; [unrolled: 17-line block ×3, first 2 shown]
	s_cbranch_execz .LBB275_77
; %bb.76:                               ;   in Loop: Header=BB275_62 Depth=1
	s_waitcnt lgkmcnt(1)
	v_add_co_u32 v27, vcc_lo, v17, v55
	v_add_co_ci_u32_e32 v18, vcc_lo, 0, v18, vcc_lo
	s_delay_alu instid0(VALU_DEP_2) | instskip(SKIP_1) | instid1(VALU_DEP_2)
	v_add_co_u32 v17, vcc_lo, 0, v27
	s_waitcnt lgkmcnt(0)
	v_add_co_ci_u32_e32 v18, vcc_lo, v28, v18, vcc_lo
.LBB275_77:                             ;   in Loop: Header=BB275_62 Depth=1
	s_or_b32 exec_lo, exec_lo, s11
	s_waitcnt lgkmcnt(0)
	ds_bpermute_b32 v28, v53, v27
	ds_bpermute_b32 v27, v53, v18
	s_mov_b32 s11, exec_lo
	v_cmpx_le_u32_e64 v54, v20
	s_cbranch_execz .LBB275_61
; %bb.78:                               ;   in Loop: Header=BB275_62 Depth=1
	s_waitcnt lgkmcnt(1)
	v_add_co_u32 v17, vcc_lo, v17, v28
	v_add_co_ci_u32_e32 v18, vcc_lo, 0, v18, vcc_lo
	s_delay_alu instid0(VALU_DEP_2) | instskip(SKIP_1) | instid1(VALU_DEP_2)
	v_add_co_u32 v17, vcc_lo, v17, 0
	s_waitcnt lgkmcnt(0)
	v_add_co_ci_u32_e32 v18, vcc_lo, v18, v27, vcc_lo
	s_branch .LBB275_61
.LBB275_79:                             ;   in Loop: Header=BB275_62 Depth=1
                                        ; implicit-def: $vgpr17_vgpr18
	s_cbranch_execz .LBB275_62
; %bb.80:
	s_and_saveexec_b32 s11, s3
	s_cbranch_execz .LBB275_82
; %bb.81:
	s_add_i32 s12, s15, 32
	s_mov_b32 s13, 0
	v_add_co_u32 v17, vcc_lo, v15, v13
	s_lshl_b64 s[12:13], s[12:13], 4
	v_dual_mov_b32 v19, 2 :: v_dual_mov_b32 v20, 0
	s_add_u32 s12, s8, s12
	s_addc_u32 s13, s9, s13
	v_add_co_ci_u32_e32 v18, vcc_lo, v16, v14, vcc_lo
	v_dual_mov_b32 v26, s13 :: v_dual_mov_b32 v25, s12
	;;#ASMSTART
	global_store_dwordx4 v[25:26], v[17:20] off	
s_waitcnt vmcnt(0)
	;;#ASMEND
	ds_store_b128 v20, v[13:16] offset:6144
.LBB275_82:
	s_or_b32 exec_lo, exec_lo, s11
	v_cmp_eq_u32_e32 vcc_lo, 0, v0
	s_and_b32 exec_lo, exec_lo, vcc_lo
	s_cbranch_execz .LBB275_84
; %bb.83:
	v_mov_b32_e32 v13, 0
	ds_store_b64 v13, v[15:16] offset:24
.LBB275_84:
	s_or_b32 exec_lo, exec_lo, s10
	s_waitcnt lgkmcnt(1)
	v_cndmask_b32_e64 v16, v29, v23, s3
	v_cmp_ne_u32_e32 vcc_lo, 0, v0
	v_mov_b32_e32 v15, 0
	s_waitcnt lgkmcnt(0)
	s_barrier
	buffer_gl0_inv
	v_cndmask_b32_e32 v16, 0, v16, vcc_lo
	ds_load_b64 v[13:14], v15 offset:24
	v_cndmask_b32_e64 v17, v30, v24, s3
	s_waitcnt lgkmcnt(0)
	s_barrier
	buffer_gl0_inv
	v_cndmask_b32_e32 v17, 0, v17, vcc_lo
	v_add_co_u32 v29, vcc_lo, v13, v16
	s_delay_alu instid0(VALU_DEP_2) | instskip(SKIP_3) | instid1(VALU_DEP_2)
	v_add_co_ci_u32_e32 v30, vcc_lo, v14, v17, vcc_lo
	ds_load_b128 v[13:16], v15 offset:6144
	v_add_co_u32 v27, vcc_lo, v29, v41
	v_add_co_ci_u32_e32 v28, vcc_lo, 0, v30, vcc_lo
	v_add_co_u32 v25, vcc_lo, v27, v40
	s_delay_alu instid0(VALU_DEP_2) | instskip(NEXT) | instid1(VALU_DEP_2)
	v_add_co_ci_u32_e32 v26, vcc_lo, 0, v28, vcc_lo
	v_add_co_u32 v23, vcc_lo, v25, v39
	s_delay_alu instid0(VALU_DEP_2) | instskip(NEXT) | instid1(VALU_DEP_2)
	;; [unrolled: 3-line block ×3, first 2 shown]
	v_add_co_ci_u32_e32 v20, vcc_lo, 0, v24, vcc_lo
	v_add_co_u32 v17, vcc_lo, v19, v37
	s_delay_alu instid0(VALU_DEP_2)
	v_add_co_ci_u32_e32 v18, vcc_lo, 0, v20, vcc_lo
	s_load_b64 s[10:11], s[0:1], 0x30
.LBB275_85:
	s_waitcnt lgkmcnt(0)
	v_cmp_gt_u64_e32 vcc_lo, 0x81, v[13:14]
	s_mov_b32 s0, -1
	s_cbranch_vccnz .LBB275_113
.LBB275_86:
	s_and_b32 vcc_lo, exec_lo, s0
	s_cbranch_vccnz .LBB275_132
.LBB275_87:
	v_cmp_eq_u32_e32 vcc_lo, 0, v0
	s_and_b32 s0, vcc_lo, s14
	s_delay_alu instid0(SALU_CYCLE_1)
	s_and_saveexec_b32 s1, s0
	s_cbranch_execnz .LBB275_148
.LBB275_88:
	s_nop 0
	s_sendmsg sendmsg(MSG_DEALLOC_VGPRS)
	s_endpgm
.LBB275_89:
                                        ; kill: def $vgpr13_vgpr14 killed $sgpr0_sgpr1 killed $exec
                                        ; implicit-def: $vgpr17_vgpr18
                                        ; implicit-def: $vgpr19_vgpr20
                                        ; implicit-def: $vgpr23_vgpr24
                                        ; implicit-def: $vgpr25_vgpr26
                                        ; implicit-def: $vgpr27_vgpr28
                                        ; implicit-def: $vgpr29_vgpr30
                                        ; implicit-def: $vgpr15_vgpr16
	s_load_b64 s[10:11], s[0:1], 0x30
	s_and_b32 vcc_lo, exec_lo, s3
	s_cbranch_vccz .LBB275_85
; %bb.90:
	s_waitcnt lgkmcnt(0)
	v_dual_mov_b32 v14, 0 :: v_dual_mov_b32 v15, v21
	v_mov_b32_dpp v16, v21 row_shr:1 row_mask:0xf bank_mask:0xf
	s_delay_alu instid0(VALU_DEP_2)
	v_mov_b32_dpp v13, v14 row_shr:1 row_mask:0xf bank_mask:0xf
	s_and_saveexec_b32 s0, s2
; %bb.91:
	s_delay_alu instid0(VALU_DEP_2) | instskip(SKIP_1) | instid1(VALU_DEP_2)
	v_add_co_u32 v15, vcc_lo, v21, v16
	v_add_co_ci_u32_e32 v14, vcc_lo, 0, v22, vcc_lo
	v_add_co_u32 v21, vcc_lo, 0, v15
	s_delay_alu instid0(VALU_DEP_2) | instskip(NEXT) | instid1(VALU_DEP_1)
	v_add_co_ci_u32_e32 v22, vcc_lo, v13, v14, vcc_lo
	v_mov_b32_e32 v14, v22
; %bb.92:
	s_or_b32 exec_lo, exec_lo, s0
	v_mov_b32_dpp v13, v15 row_shr:2 row_mask:0xf bank_mask:0xf
	s_delay_alu instid0(VALU_DEP_2)
	v_mov_b32_dpp v16, v14 row_shr:2 row_mask:0xf bank_mask:0xf
	s_mov_b32 s0, exec_lo
	v_cmpx_lt_u32_e32 1, v44
; %bb.93:
	s_delay_alu instid0(VALU_DEP_3) | instskip(SKIP_1) | instid1(VALU_DEP_2)
	v_add_co_u32 v15, vcc_lo, v21, v13
	v_add_co_ci_u32_e32 v14, vcc_lo, 0, v22, vcc_lo
	v_add_co_u32 v13, vcc_lo, 0, v15
	s_delay_alu instid0(VALU_DEP_2) | instskip(NEXT) | instid1(VALU_DEP_1)
	v_add_co_ci_u32_e32 v14, vcc_lo, v16, v14, vcc_lo
	v_dual_mov_b32 v22, v14 :: v_dual_mov_b32 v21, v13
; %bb.94:
	s_or_b32 exec_lo, exec_lo, s0
	v_mov_b32_dpp v13, v15 row_shr:4 row_mask:0xf bank_mask:0xf
	v_mov_b32_dpp v16, v14 row_shr:4 row_mask:0xf bank_mask:0xf
	s_mov_b32 s0, exec_lo
	v_cmpx_lt_u32_e32 3, v44
; %bb.95:
	s_delay_alu instid0(VALU_DEP_3) | instskip(SKIP_1) | instid1(VALU_DEP_2)
	v_add_co_u32 v15, vcc_lo, v21, v13
	v_add_co_ci_u32_e32 v14, vcc_lo, 0, v22, vcc_lo
	v_add_co_u32 v13, vcc_lo, 0, v15
	s_delay_alu instid0(VALU_DEP_2) | instskip(NEXT) | instid1(VALU_DEP_1)
	v_add_co_ci_u32_e32 v14, vcc_lo, v16, v14, vcc_lo
	v_dual_mov_b32 v22, v14 :: v_dual_mov_b32 v21, v13
; %bb.96:
	s_or_b32 exec_lo, exec_lo, s0
	v_mov_b32_dpp v16, v15 row_shr:8 row_mask:0xf bank_mask:0xf
	v_mov_b32_dpp v13, v14 row_shr:8 row_mask:0xf bank_mask:0xf
	s_mov_b32 s0, exec_lo
	v_cmpx_lt_u32_e32 7, v44
; %bb.97:
	s_delay_alu instid0(VALU_DEP_3) | instskip(SKIP_1) | instid1(VALU_DEP_2)
	v_add_co_u32 v15, vcc_lo, v21, v16
	v_add_co_ci_u32_e32 v14, vcc_lo, 0, v22, vcc_lo
	v_add_co_u32 v21, vcc_lo, 0, v15
	s_delay_alu instid0(VALU_DEP_2) | instskip(NEXT) | instid1(VALU_DEP_1)
	v_add_co_ci_u32_e32 v22, vcc_lo, v13, v14, vcc_lo
	v_mov_b32_e32 v14, v22
; %bb.98:
	s_or_b32 exec_lo, exec_lo, s0
	ds_swizzle_b32 v15, v15 offset:swizzle(BROADCAST,32,15)
	ds_swizzle_b32 v13, v14 offset:swizzle(BROADCAST,32,15)
	v_and_b32_e32 v14, 16, v42
	s_mov_b32 s0, exec_lo
	s_delay_alu instid0(VALU_DEP_1)
	v_cmpx_ne_u32_e32 0, v14
	s_cbranch_execz .LBB275_100
; %bb.99:
	s_waitcnt lgkmcnt(1)
	v_add_co_u32 v14, vcc_lo, v21, v15
	v_add_co_ci_u32_e32 v15, vcc_lo, 0, v22, vcc_lo
	s_delay_alu instid0(VALU_DEP_2) | instskip(SKIP_1) | instid1(VALU_DEP_2)
	v_add_co_u32 v21, vcc_lo, v14, 0
	s_waitcnt lgkmcnt(0)
	v_add_co_ci_u32_e32 v22, vcc_lo, v15, v13, vcc_lo
.LBB275_100:
	s_or_b32 exec_lo, exec_lo, s0
	s_waitcnt lgkmcnt(0)
	v_or_b32_e32 v13, 31, v0
	v_lshrrev_b32_e32 v15, 5, v0
	s_mov_b32 s0, exec_lo
	s_delay_alu instid0(VALU_DEP_2)
	v_cmpx_eq_u32_e64 v13, v0
	s_cbranch_execz .LBB275_102
; %bb.101:
	s_delay_alu instid0(VALU_DEP_2)
	v_lshlrev_b32_e32 v13, 3, v15
	ds_store_b64 v13, v[21:22]
.LBB275_102:
	s_or_b32 exec_lo, exec_lo, s0
	s_delay_alu instid0(SALU_CYCLE_1)
	s_mov_b32 s0, exec_lo
	s_waitcnt lgkmcnt(0)
	s_barrier
	buffer_gl0_inv
	v_cmpx_gt_u32_e32 4, v0
	s_cbranch_execz .LBB275_108
; %bb.103:
	v_lshlrev_b32_e32 v13, 1, v0
	s_mov_b32 s1, exec_lo
	s_delay_alu instid0(VALU_DEP_1)
	v_add_nc_u32_e32 v16, v43, v13
	ds_load_b64 v[13:14], v16
	s_waitcnt lgkmcnt(0)
	v_dual_mov_b32 v18, v13 :: v_dual_and_b32 v17, 3, v42
	v_mov_b32_dpp v20, v13 row_shr:1 row_mask:0xf bank_mask:0xf
	v_mov_b32_dpp v19, v14 row_shr:1 row_mask:0xf bank_mask:0xf
	s_delay_alu instid0(VALU_DEP_3)
	v_cmpx_ne_u32_e32 0, v17
; %bb.104:
	s_delay_alu instid0(VALU_DEP_3) | instskip(SKIP_1) | instid1(VALU_DEP_2)
	v_add_co_u32 v18, vcc_lo, v13, v20
	v_add_co_ci_u32_e32 v14, vcc_lo, 0, v14, vcc_lo
	v_add_co_u32 v13, vcc_lo, 0, v18
	s_delay_alu instid0(VALU_DEP_2)
	v_add_co_ci_u32_e32 v14, vcc_lo, v19, v14, vcc_lo
; %bb.105:
	s_or_b32 exec_lo, exec_lo, s1
	v_mov_b32_dpp v19, v18 row_shr:2 row_mask:0xf bank_mask:0xf
	s_delay_alu instid0(VALU_DEP_2)
	v_mov_b32_dpp v18, v14 row_shr:2 row_mask:0xf bank_mask:0xf
	s_mov_b32 s1, exec_lo
	v_cmpx_lt_u32_e32 1, v17
; %bb.106:
	s_delay_alu instid0(VALU_DEP_3) | instskip(SKIP_1) | instid1(VALU_DEP_2)
	v_add_co_u32 v13, vcc_lo, v13, v19
	v_add_co_ci_u32_e32 v14, vcc_lo, 0, v14, vcc_lo
	v_add_co_u32 v13, vcc_lo, v13, 0
	s_delay_alu instid0(VALU_DEP_2)
	v_add_co_ci_u32_e32 v14, vcc_lo, v14, v18, vcc_lo
; %bb.107:
	s_or_b32 exec_lo, exec_lo, s1
	ds_store_b64 v16, v[13:14]
.LBB275_108:
	s_or_b32 exec_lo, exec_lo, s0
	v_mov_b32_e32 v17, 0
	v_mov_b32_e32 v18, 0
	s_mov_b32 s0, exec_lo
	s_waitcnt lgkmcnt(0)
	s_barrier
	buffer_gl0_inv
	v_cmpx_lt_u32_e32 31, v0
	s_cbranch_execz .LBB275_110
; %bb.109:
	v_lshl_add_u32 v13, v15, 3, -8
	ds_load_b64 v[17:18], v13
.LBB275_110:
	s_or_b32 exec_lo, exec_lo, s0
	v_dual_mov_b32 v16, 0 :: v_dual_add_nc_u32 v13, -1, v42
	s_delay_alu instid0(VALU_DEP_1) | instskip(SKIP_4) | instid1(VALU_DEP_3)
	v_cmp_gt_i32_e32 vcc_lo, 0, v13
	v_cndmask_b32_e32 v13, v13, v42, vcc_lo
	s_waitcnt lgkmcnt(0)
	v_add_co_u32 v14, vcc_lo, v17, v21
	v_add_co_ci_u32_e32 v15, vcc_lo, v18, v22, vcc_lo
	v_lshlrev_b32_e32 v13, 2, v13
	v_cmp_eq_u32_e32 vcc_lo, 0, v0
	ds_bpermute_b32 v19, v13, v14
	ds_bpermute_b32 v20, v13, v15
	ds_load_b64 v[13:14], v16 offset:24
	s_and_saveexec_b32 s0, vcc_lo
	s_cbranch_execz .LBB275_112
; %bb.111:
	s_add_u32 s2, s8, 0x200
	s_addc_u32 s3, s9, 0
	s_delay_alu instid0(SALU_CYCLE_1)
	v_dual_mov_b32 v15, 2 :: v_dual_mov_b32 v22, s3
	v_mov_b32_e32 v21, s2
	s_waitcnt lgkmcnt(0)
	;;#ASMSTART
	global_store_dwordx4 v[21:22], v[13:16] off	
s_waitcnt vmcnt(0)
	;;#ASMEND
.LBB275_112:
	s_or_b32 exec_lo, exec_lo, s0
	v_cmp_eq_u32_e64 s0, 0, v42
	s_waitcnt lgkmcnt(0)
	s_barrier
	buffer_gl0_inv
	v_cndmask_b32_e64 v15, v19, v17, s0
	v_cndmask_b32_e64 v16, v20, v18, s0
	s_delay_alu instid0(VALU_DEP_2) | instskip(NEXT) | instid1(VALU_DEP_2)
	v_cndmask_b32_e64 v29, v15, 0, vcc_lo
	v_cndmask_b32_e64 v30, v16, 0, vcc_lo
	v_mov_b32_e32 v15, 0
	v_mov_b32_e32 v16, 0
	s_delay_alu instid0(VALU_DEP_4) | instskip(NEXT) | instid1(VALU_DEP_4)
	v_add_co_u32 v27, vcc_lo, v29, v41
	v_add_co_ci_u32_e32 v28, vcc_lo, 0, v30, vcc_lo
	s_delay_alu instid0(VALU_DEP_2) | instskip(NEXT) | instid1(VALU_DEP_2)
	v_add_co_u32 v25, vcc_lo, v27, v40
	v_add_co_ci_u32_e32 v26, vcc_lo, 0, v28, vcc_lo
	s_delay_alu instid0(VALU_DEP_2) | instskip(NEXT) | instid1(VALU_DEP_2)
	;; [unrolled: 3-line block ×4, first 2 shown]
	v_add_co_u32 v17, vcc_lo, v19, v37
	v_add_co_ci_u32_e32 v18, vcc_lo, 0, v20, vcc_lo
	v_cmp_gt_u64_e32 vcc_lo, 0x81, v[13:14]
	s_mov_b32 s0, -1
	s_cbranch_vccz .LBB275_86
.LBB275_113:
	v_add_co_u32 v21, vcc_lo, v15, v13
	v_add_co_ci_u32_e32 v22, vcc_lo, v16, v14, vcc_lo
	s_delay_alu instid0(VALU_DEP_1) | instskip(SKIP_1) | instid1(SALU_CYCLE_1)
	v_cmp_lt_u64_e32 vcc_lo, v[29:30], v[21:22]
	s_or_b32 s1, s16, vcc_lo
	s_and_saveexec_b32 s0, s1
	s_cbranch_execz .LBB275_116
; %bb.114:
	v_and_b32_e32 v37, 1, v36
	s_delay_alu instid0(VALU_DEP_1)
	v_cmp_eq_u32_e32 vcc_lo, 1, v37
	s_and_b32 exec_lo, exec_lo, vcc_lo
	s_cbranch_execz .LBB275_116
; %bb.115:
	v_lshlrev_b64 v[37:38], 3, v[29:30]
	s_lshl_b64 s[2:3], s[6:7], 3
	s_delay_alu instid0(SALU_CYCLE_1) | instskip(SKIP_1) | instid1(VALU_DEP_1)
	s_add_u32 s1, s10, s2
	s_addc_u32 s2, s11, s3
	v_add_co_u32 v37, vcc_lo, s1, v37
	s_delay_alu instid0(VALU_DEP_2)
	v_add_co_ci_u32_e32 v38, vcc_lo, s2, v38, vcc_lo
	global_store_b64 v[37:38], v[9:10], off
.LBB275_116:
	s_or_b32 exec_lo, exec_lo, s0
	v_cmp_lt_u64_e32 vcc_lo, v[27:28], v[21:22]
	s_or_b32 s1, s16, vcc_lo
	s_delay_alu instid0(SALU_CYCLE_1)
	s_and_saveexec_b32 s0, s1
	s_cbranch_execz .LBB275_119
; %bb.117:
	v_and_b32_e32 v30, 1, v34
	s_delay_alu instid0(VALU_DEP_1)
	v_cmp_eq_u32_e32 vcc_lo, 1, v30
	s_and_b32 exec_lo, exec_lo, vcc_lo
	s_cbranch_execz .LBB275_119
; %bb.118:
	v_lshlrev_b64 v[37:38], 3, v[27:28]
	s_lshl_b64 s[2:3], s[6:7], 3
	s_delay_alu instid0(SALU_CYCLE_1) | instskip(SKIP_1) | instid1(VALU_DEP_1)
	s_add_u32 s1, s10, s2
	s_addc_u32 s2, s11, s3
	v_add_co_u32 v37, vcc_lo, s1, v37
	s_delay_alu instid0(VALU_DEP_2)
	v_add_co_ci_u32_e32 v38, vcc_lo, s2, v38, vcc_lo
	global_store_b64 v[37:38], v[11:12], off
.LBB275_119:
	s_or_b32 exec_lo, exec_lo, s0
	v_cmp_lt_u64_e32 vcc_lo, v[25:26], v[21:22]
	s_or_b32 s1, s16, vcc_lo
	s_delay_alu instid0(SALU_CYCLE_1)
	s_and_saveexec_b32 s0, s1
	s_cbranch_execz .LBB275_122
; %bb.120:
	v_and_b32_e32 v28, 1, v33
	s_delay_alu instid0(VALU_DEP_1)
	v_cmp_eq_u32_e32 vcc_lo, 1, v28
	s_and_b32 exec_lo, exec_lo, vcc_lo
	s_cbranch_execz .LBB275_122
; %bb.121:
	v_lshlrev_b64 v[37:38], 3, v[25:26]
	s_lshl_b64 s[2:3], s[6:7], 3
	s_delay_alu instid0(SALU_CYCLE_1) | instskip(SKIP_1) | instid1(VALU_DEP_1)
	s_add_u32 s1, s10, s2
	s_addc_u32 s2, s11, s3
	v_add_co_u32 v37, vcc_lo, s1, v37
	s_delay_alu instid0(VALU_DEP_2)
	v_add_co_ci_u32_e32 v38, vcc_lo, s2, v38, vcc_lo
	global_store_b64 v[37:38], v[5:6], off
.LBB275_122:
	s_or_b32 exec_lo, exec_lo, s0
	v_cmp_lt_u64_e32 vcc_lo, v[23:24], v[21:22]
	s_or_b32 s1, s16, vcc_lo
	s_delay_alu instid0(SALU_CYCLE_1)
	s_and_saveexec_b32 s0, s1
	s_cbranch_execz .LBB275_125
; %bb.123:
	v_and_b32_e32 v26, 1, v35
	s_delay_alu instid0(VALU_DEP_1)
	v_cmp_eq_u32_e32 vcc_lo, 1, v26
	s_and_b32 exec_lo, exec_lo, vcc_lo
	s_cbranch_execz .LBB275_125
; %bb.124:
	v_lshlrev_b64 v[37:38], 3, v[23:24]
	s_lshl_b64 s[2:3], s[6:7], 3
	s_delay_alu instid0(SALU_CYCLE_1) | instskip(SKIP_1) | instid1(VALU_DEP_1)
	s_add_u32 s1, s10, s2
	s_addc_u32 s2, s11, s3
	v_add_co_u32 v37, vcc_lo, s1, v37
	s_delay_alu instid0(VALU_DEP_2)
	v_add_co_ci_u32_e32 v38, vcc_lo, s2, v38, vcc_lo
	global_store_b64 v[37:38], v[7:8], off
.LBB275_125:
	s_or_b32 exec_lo, exec_lo, s0
	v_cmp_lt_u64_e32 vcc_lo, v[19:20], v[21:22]
	s_or_b32 s1, s16, vcc_lo
	s_delay_alu instid0(SALU_CYCLE_1)
	s_and_saveexec_b32 s0, s1
	s_cbranch_execz .LBB275_128
; %bb.126:
	v_and_b32_e32 v24, 1, v31
	s_delay_alu instid0(VALU_DEP_1)
	v_cmp_eq_u32_e32 vcc_lo, 1, v24
	s_and_b32 exec_lo, exec_lo, vcc_lo
	s_cbranch_execz .LBB275_128
; %bb.127:
	v_lshlrev_b64 v[37:38], 3, v[19:20]
	s_lshl_b64 s[2:3], s[6:7], 3
	s_delay_alu instid0(SALU_CYCLE_1) | instskip(SKIP_1) | instid1(VALU_DEP_1)
	s_add_u32 s1, s10, s2
	s_addc_u32 s2, s11, s3
	v_add_co_u32 v37, vcc_lo, s1, v37
	s_delay_alu instid0(VALU_DEP_2)
	v_add_co_ci_u32_e32 v38, vcc_lo, s2, v38, vcc_lo
	global_store_b64 v[37:38], v[1:2], off
.LBB275_128:
	s_or_b32 exec_lo, exec_lo, s0
	v_cmp_lt_u64_e32 vcc_lo, v[17:18], v[21:22]
	s_or_b32 s1, s16, vcc_lo
	s_delay_alu instid0(SALU_CYCLE_1)
	s_and_saveexec_b32 s0, s1
	s_cbranch_execz .LBB275_131
; %bb.129:
	v_and_b32_e32 v20, 1, v32
	s_delay_alu instid0(VALU_DEP_1)
	v_cmp_eq_u32_e32 vcc_lo, 1, v20
	s_and_b32 exec_lo, exec_lo, vcc_lo
	s_cbranch_execz .LBB275_131
; %bb.130:
	v_lshlrev_b64 v[20:21], 3, v[17:18]
	s_lshl_b64 s[2:3], s[6:7], 3
	s_delay_alu instid0(SALU_CYCLE_1) | instskip(SKIP_1) | instid1(VALU_DEP_1)
	s_add_u32 s1, s10, s2
	s_addc_u32 s2, s11, s3
	v_add_co_u32 v20, vcc_lo, s1, v20
	s_delay_alu instid0(VALU_DEP_2)
	v_add_co_ci_u32_e32 v21, vcc_lo, s2, v21, vcc_lo
	global_store_b64 v[20:21], v[3:4], off
.LBB275_131:
	s_or_b32 exec_lo, exec_lo, s0
	s_branch .LBB275_87
.LBB275_132:
	v_and_b32_e32 v18, 1, v36
	s_mov_b32 s0, exec_lo
	s_delay_alu instid0(VALU_DEP_1)
	v_cmpx_eq_u32_e32 1, v18
	s_cbranch_execz .LBB275_134
; %bb.133:
	v_sub_nc_u32_e32 v18, v29, v15
	s_delay_alu instid0(VALU_DEP_1)
	v_lshlrev_b32_e32 v18, 3, v18
	ds_store_b64 v18, v[9:10]
.LBB275_134:
	s_or_b32 exec_lo, exec_lo, s0
	v_and_b32_e32 v9, 1, v34
	s_mov_b32 s0, exec_lo
	s_delay_alu instid0(VALU_DEP_1)
	v_cmpx_eq_u32_e32 1, v9
	s_cbranch_execz .LBB275_136
; %bb.135:
	v_sub_nc_u32_e32 v9, v27, v15
	s_delay_alu instid0(VALU_DEP_1)
	v_lshlrev_b32_e32 v9, 3, v9
	ds_store_b64 v9, v[11:12]
.LBB275_136:
	s_or_b32 exec_lo, exec_lo, s0
	;; [unrolled: 12-line block ×6, first 2 shown]
	v_mov_b32_e32 v3, 0
	s_mov_b32 s1, exec_lo
	s_waitcnt lgkmcnt(0)
	s_waitcnt_vscnt null, 0x0
	s_barrier
	buffer_gl0_inv
	v_mov_b32_e32 v1, v3
	s_delay_alu instid0(VALU_DEP_1)
	v_cmpx_gt_u64_e64 v[13:14], v[0:1]
	s_cbranch_execz .LBB275_147
; %bb.145:
	v_lshlrev_b64 v[4:5], 3, v[15:16]
	s_lshl_b64 s[2:3], s[6:7], 3
	v_or_b32_e32 v2, 0x80, v0
	s_delay_alu instid0(VALU_DEP_2) | instskip(NEXT) | instid1(VALU_DEP_3)
	v_add_co_u32 v4, vcc_lo, s10, v4
	v_add_co_ci_u32_e32 v5, vcc_lo, s11, v5, vcc_lo
	s_delay_alu instid0(VALU_DEP_2) | instskip(NEXT) | instid1(VALU_DEP_2)
	v_add_co_u32 v6, vcc_lo, v4, s2
	v_add_co_ci_u32_e32 v7, vcc_lo, s3, v5, vcc_lo
	v_dual_mov_b32 v5, v1 :: v_dual_mov_b32 v4, v0
	s_mov_b32 s2, 0
	.p2align	6
.LBB275_146:                            ; =>This Inner Loop Header: Depth=1
	s_delay_alu instid0(VALU_DEP_1) | instskip(NEXT) | instid1(VALU_DEP_2)
	v_lshlrev_b32_e32 v1, 3, v4
	v_lshlrev_b64 v[10:11], 3, v[4:5]
	v_dual_mov_b32 v5, v3 :: v_dual_mov_b32 v4, v2
	v_cmp_le_u64_e32 vcc_lo, v[13:14], v[2:3]
	v_add_nc_u32_e32 v2, 0x80, v2
	ds_load_b64 v[8:9], v1
	v_add_co_u32 v10, s0, v6, v10
	s_delay_alu instid0(VALU_DEP_1)
	v_add_co_ci_u32_e64 v11, s0, v7, v11, s0
	s_or_b32 s2, vcc_lo, s2
	s_waitcnt lgkmcnt(0)
	global_store_b64 v[10:11], v[8:9], off
	s_and_not1_b32 exec_lo, exec_lo, s2
	s_cbranch_execnz .LBB275_146
.LBB275_147:
	s_or_b32 exec_lo, exec_lo, s1
	v_cmp_eq_u32_e32 vcc_lo, 0, v0
	s_and_b32 s0, vcc_lo, s14
	s_delay_alu instid0(SALU_CYCLE_1)
	s_and_saveexec_b32 s1, s0
	s_cbranch_execz .LBB275_88
.LBB275_148:
	v_add_co_u32 v0, vcc_lo, v15, v13
	v_add_co_ci_u32_e32 v1, vcc_lo, v16, v14, vcc_lo
	v_mov_b32_e32 v2, 0
	s_delay_alu instid0(VALU_DEP_3) | instskip(NEXT) | instid1(VALU_DEP_3)
	v_add_co_u32 v0, vcc_lo, v0, s6
	v_add_co_ci_u32_e32 v1, vcc_lo, s7, v1, vcc_lo
	global_store_b64 v2, v[0:1], s[4:5]
	s_nop 0
	s_sendmsg sendmsg(MSG_DEALLOC_VGPRS)
	s_endpgm
	.section	.rodata,"a",@progbits
	.p2align	6, 0x0
	.amdhsa_kernel _ZN7rocprim17ROCPRIM_400000_NS6detail17trampoline_kernelINS0_14default_configENS1_25partition_config_selectorILNS1_17partition_subalgoE5ElNS0_10empty_typeEbEEZZNS1_14partition_implILS5_5ELb0ES3_mN6hipcub16HIPCUB_304000_NS21CountingInputIteratorIllEEPS6_NSA_22TransformInputIteratorIb7NonZeroIfEPflEENS0_5tupleIJPlS6_EEENSJ_IJSD_SD_EEES6_SK_JS6_EEE10hipError_tPvRmT3_T4_T5_T6_T7_T9_mT8_P12ihipStream_tbDpT10_ENKUlT_T0_E_clISt17integral_constantIbLb1EES15_IbLb0EEEEDaS11_S12_EUlS11_E_NS1_11comp_targetILNS1_3genE9ELNS1_11target_archE1100ELNS1_3gpuE3ELNS1_3repE0EEENS1_30default_config_static_selectorELNS0_4arch9wavefront6targetE0EEEvT1_
		.amdhsa_group_segment_fixed_size 6160
		.amdhsa_private_segment_fixed_size 0
		.amdhsa_kernarg_size 120
		.amdhsa_user_sgpr_count 15
		.amdhsa_user_sgpr_dispatch_ptr 0
		.amdhsa_user_sgpr_queue_ptr 0
		.amdhsa_user_sgpr_kernarg_segment_ptr 1
		.amdhsa_user_sgpr_dispatch_id 0
		.amdhsa_user_sgpr_private_segment_size 0
		.amdhsa_wavefront_size32 1
		.amdhsa_uses_dynamic_stack 0
		.amdhsa_enable_private_segment 0
		.amdhsa_system_sgpr_workgroup_id_x 1
		.amdhsa_system_sgpr_workgroup_id_y 0
		.amdhsa_system_sgpr_workgroup_id_z 0
		.amdhsa_system_sgpr_workgroup_info 0
		.amdhsa_system_vgpr_workitem_id 0
		.amdhsa_next_free_vgpr 57
		.amdhsa_next_free_sgpr 21
		.amdhsa_reserve_vcc 1
		.amdhsa_float_round_mode_32 0
		.amdhsa_float_round_mode_16_64 0
		.amdhsa_float_denorm_mode_32 3
		.amdhsa_float_denorm_mode_16_64 3
		.amdhsa_dx10_clamp 1
		.amdhsa_ieee_mode 1
		.amdhsa_fp16_overflow 0
		.amdhsa_workgroup_processor_mode 1
		.amdhsa_memory_ordered 1
		.amdhsa_forward_progress 0
		.amdhsa_shared_vgpr_count 0
		.amdhsa_exception_fp_ieee_invalid_op 0
		.amdhsa_exception_fp_denorm_src 0
		.amdhsa_exception_fp_ieee_div_zero 0
		.amdhsa_exception_fp_ieee_overflow 0
		.amdhsa_exception_fp_ieee_underflow 0
		.amdhsa_exception_fp_ieee_inexact 0
		.amdhsa_exception_int_div_zero 0
	.end_amdhsa_kernel
	.section	.text._ZN7rocprim17ROCPRIM_400000_NS6detail17trampoline_kernelINS0_14default_configENS1_25partition_config_selectorILNS1_17partition_subalgoE5ElNS0_10empty_typeEbEEZZNS1_14partition_implILS5_5ELb0ES3_mN6hipcub16HIPCUB_304000_NS21CountingInputIteratorIllEEPS6_NSA_22TransformInputIteratorIb7NonZeroIfEPflEENS0_5tupleIJPlS6_EEENSJ_IJSD_SD_EEES6_SK_JS6_EEE10hipError_tPvRmT3_T4_T5_T6_T7_T9_mT8_P12ihipStream_tbDpT10_ENKUlT_T0_E_clISt17integral_constantIbLb1EES15_IbLb0EEEEDaS11_S12_EUlS11_E_NS1_11comp_targetILNS1_3genE9ELNS1_11target_archE1100ELNS1_3gpuE3ELNS1_3repE0EEENS1_30default_config_static_selectorELNS0_4arch9wavefront6targetE0EEEvT1_,"axG",@progbits,_ZN7rocprim17ROCPRIM_400000_NS6detail17trampoline_kernelINS0_14default_configENS1_25partition_config_selectorILNS1_17partition_subalgoE5ElNS0_10empty_typeEbEEZZNS1_14partition_implILS5_5ELb0ES3_mN6hipcub16HIPCUB_304000_NS21CountingInputIteratorIllEEPS6_NSA_22TransformInputIteratorIb7NonZeroIfEPflEENS0_5tupleIJPlS6_EEENSJ_IJSD_SD_EEES6_SK_JS6_EEE10hipError_tPvRmT3_T4_T5_T6_T7_T9_mT8_P12ihipStream_tbDpT10_ENKUlT_T0_E_clISt17integral_constantIbLb1EES15_IbLb0EEEEDaS11_S12_EUlS11_E_NS1_11comp_targetILNS1_3genE9ELNS1_11target_archE1100ELNS1_3gpuE3ELNS1_3repE0EEENS1_30default_config_static_selectorELNS0_4arch9wavefront6targetE0EEEvT1_,comdat
.Lfunc_end275:
	.size	_ZN7rocprim17ROCPRIM_400000_NS6detail17trampoline_kernelINS0_14default_configENS1_25partition_config_selectorILNS1_17partition_subalgoE5ElNS0_10empty_typeEbEEZZNS1_14partition_implILS5_5ELb0ES3_mN6hipcub16HIPCUB_304000_NS21CountingInputIteratorIllEEPS6_NSA_22TransformInputIteratorIb7NonZeroIfEPflEENS0_5tupleIJPlS6_EEENSJ_IJSD_SD_EEES6_SK_JS6_EEE10hipError_tPvRmT3_T4_T5_T6_T7_T9_mT8_P12ihipStream_tbDpT10_ENKUlT_T0_E_clISt17integral_constantIbLb1EES15_IbLb0EEEEDaS11_S12_EUlS11_E_NS1_11comp_targetILNS1_3genE9ELNS1_11target_archE1100ELNS1_3gpuE3ELNS1_3repE0EEENS1_30default_config_static_selectorELNS0_4arch9wavefront6targetE0EEEvT1_, .Lfunc_end275-_ZN7rocprim17ROCPRIM_400000_NS6detail17trampoline_kernelINS0_14default_configENS1_25partition_config_selectorILNS1_17partition_subalgoE5ElNS0_10empty_typeEbEEZZNS1_14partition_implILS5_5ELb0ES3_mN6hipcub16HIPCUB_304000_NS21CountingInputIteratorIllEEPS6_NSA_22TransformInputIteratorIb7NonZeroIfEPflEENS0_5tupleIJPlS6_EEENSJ_IJSD_SD_EEES6_SK_JS6_EEE10hipError_tPvRmT3_T4_T5_T6_T7_T9_mT8_P12ihipStream_tbDpT10_ENKUlT_T0_E_clISt17integral_constantIbLb1EES15_IbLb0EEEEDaS11_S12_EUlS11_E_NS1_11comp_targetILNS1_3genE9ELNS1_11target_archE1100ELNS1_3gpuE3ELNS1_3repE0EEENS1_30default_config_static_selectorELNS0_4arch9wavefront6targetE0EEEvT1_
                                        ; -- End function
	.section	.AMDGPU.csdata,"",@progbits
; Kernel info:
; codeLenInByte = 6476
; NumSgprs: 23
; NumVgprs: 57
; ScratchSize: 0
; MemoryBound: 0
; FloatMode: 240
; IeeeMode: 1
; LDSByteSize: 6160 bytes/workgroup (compile time only)
; SGPRBlocks: 2
; VGPRBlocks: 7
; NumSGPRsForWavesPerEU: 23
; NumVGPRsForWavesPerEU: 57
; Occupancy: 16
; WaveLimiterHint : 1
; COMPUTE_PGM_RSRC2:SCRATCH_EN: 0
; COMPUTE_PGM_RSRC2:USER_SGPR: 15
; COMPUTE_PGM_RSRC2:TRAP_HANDLER: 0
; COMPUTE_PGM_RSRC2:TGID_X_EN: 1
; COMPUTE_PGM_RSRC2:TGID_Y_EN: 0
; COMPUTE_PGM_RSRC2:TGID_Z_EN: 0
; COMPUTE_PGM_RSRC2:TIDIG_COMP_CNT: 0
	.section	.text._ZN7rocprim17ROCPRIM_400000_NS6detail17trampoline_kernelINS0_14default_configENS1_25partition_config_selectorILNS1_17partition_subalgoE5ElNS0_10empty_typeEbEEZZNS1_14partition_implILS5_5ELb0ES3_mN6hipcub16HIPCUB_304000_NS21CountingInputIteratorIllEEPS6_NSA_22TransformInputIteratorIb7NonZeroIfEPflEENS0_5tupleIJPlS6_EEENSJ_IJSD_SD_EEES6_SK_JS6_EEE10hipError_tPvRmT3_T4_T5_T6_T7_T9_mT8_P12ihipStream_tbDpT10_ENKUlT_T0_E_clISt17integral_constantIbLb1EES15_IbLb0EEEEDaS11_S12_EUlS11_E_NS1_11comp_targetILNS1_3genE8ELNS1_11target_archE1030ELNS1_3gpuE2ELNS1_3repE0EEENS1_30default_config_static_selectorELNS0_4arch9wavefront6targetE0EEEvT1_,"axG",@progbits,_ZN7rocprim17ROCPRIM_400000_NS6detail17trampoline_kernelINS0_14default_configENS1_25partition_config_selectorILNS1_17partition_subalgoE5ElNS0_10empty_typeEbEEZZNS1_14partition_implILS5_5ELb0ES3_mN6hipcub16HIPCUB_304000_NS21CountingInputIteratorIllEEPS6_NSA_22TransformInputIteratorIb7NonZeroIfEPflEENS0_5tupleIJPlS6_EEENSJ_IJSD_SD_EEES6_SK_JS6_EEE10hipError_tPvRmT3_T4_T5_T6_T7_T9_mT8_P12ihipStream_tbDpT10_ENKUlT_T0_E_clISt17integral_constantIbLb1EES15_IbLb0EEEEDaS11_S12_EUlS11_E_NS1_11comp_targetILNS1_3genE8ELNS1_11target_archE1030ELNS1_3gpuE2ELNS1_3repE0EEENS1_30default_config_static_selectorELNS0_4arch9wavefront6targetE0EEEvT1_,comdat
	.protected	_ZN7rocprim17ROCPRIM_400000_NS6detail17trampoline_kernelINS0_14default_configENS1_25partition_config_selectorILNS1_17partition_subalgoE5ElNS0_10empty_typeEbEEZZNS1_14partition_implILS5_5ELb0ES3_mN6hipcub16HIPCUB_304000_NS21CountingInputIteratorIllEEPS6_NSA_22TransformInputIteratorIb7NonZeroIfEPflEENS0_5tupleIJPlS6_EEENSJ_IJSD_SD_EEES6_SK_JS6_EEE10hipError_tPvRmT3_T4_T5_T6_T7_T9_mT8_P12ihipStream_tbDpT10_ENKUlT_T0_E_clISt17integral_constantIbLb1EES15_IbLb0EEEEDaS11_S12_EUlS11_E_NS1_11comp_targetILNS1_3genE8ELNS1_11target_archE1030ELNS1_3gpuE2ELNS1_3repE0EEENS1_30default_config_static_selectorELNS0_4arch9wavefront6targetE0EEEvT1_ ; -- Begin function _ZN7rocprim17ROCPRIM_400000_NS6detail17trampoline_kernelINS0_14default_configENS1_25partition_config_selectorILNS1_17partition_subalgoE5ElNS0_10empty_typeEbEEZZNS1_14partition_implILS5_5ELb0ES3_mN6hipcub16HIPCUB_304000_NS21CountingInputIteratorIllEEPS6_NSA_22TransformInputIteratorIb7NonZeroIfEPflEENS0_5tupleIJPlS6_EEENSJ_IJSD_SD_EEES6_SK_JS6_EEE10hipError_tPvRmT3_T4_T5_T6_T7_T9_mT8_P12ihipStream_tbDpT10_ENKUlT_T0_E_clISt17integral_constantIbLb1EES15_IbLb0EEEEDaS11_S12_EUlS11_E_NS1_11comp_targetILNS1_3genE8ELNS1_11target_archE1030ELNS1_3gpuE2ELNS1_3repE0EEENS1_30default_config_static_selectorELNS0_4arch9wavefront6targetE0EEEvT1_
	.globl	_ZN7rocprim17ROCPRIM_400000_NS6detail17trampoline_kernelINS0_14default_configENS1_25partition_config_selectorILNS1_17partition_subalgoE5ElNS0_10empty_typeEbEEZZNS1_14partition_implILS5_5ELb0ES3_mN6hipcub16HIPCUB_304000_NS21CountingInputIteratorIllEEPS6_NSA_22TransformInputIteratorIb7NonZeroIfEPflEENS0_5tupleIJPlS6_EEENSJ_IJSD_SD_EEES6_SK_JS6_EEE10hipError_tPvRmT3_T4_T5_T6_T7_T9_mT8_P12ihipStream_tbDpT10_ENKUlT_T0_E_clISt17integral_constantIbLb1EES15_IbLb0EEEEDaS11_S12_EUlS11_E_NS1_11comp_targetILNS1_3genE8ELNS1_11target_archE1030ELNS1_3gpuE2ELNS1_3repE0EEENS1_30default_config_static_selectorELNS0_4arch9wavefront6targetE0EEEvT1_
	.p2align	8
	.type	_ZN7rocprim17ROCPRIM_400000_NS6detail17trampoline_kernelINS0_14default_configENS1_25partition_config_selectorILNS1_17partition_subalgoE5ElNS0_10empty_typeEbEEZZNS1_14partition_implILS5_5ELb0ES3_mN6hipcub16HIPCUB_304000_NS21CountingInputIteratorIllEEPS6_NSA_22TransformInputIteratorIb7NonZeroIfEPflEENS0_5tupleIJPlS6_EEENSJ_IJSD_SD_EEES6_SK_JS6_EEE10hipError_tPvRmT3_T4_T5_T6_T7_T9_mT8_P12ihipStream_tbDpT10_ENKUlT_T0_E_clISt17integral_constantIbLb1EES15_IbLb0EEEEDaS11_S12_EUlS11_E_NS1_11comp_targetILNS1_3genE8ELNS1_11target_archE1030ELNS1_3gpuE2ELNS1_3repE0EEENS1_30default_config_static_selectorELNS0_4arch9wavefront6targetE0EEEvT1_,@function
_ZN7rocprim17ROCPRIM_400000_NS6detail17trampoline_kernelINS0_14default_configENS1_25partition_config_selectorILNS1_17partition_subalgoE5ElNS0_10empty_typeEbEEZZNS1_14partition_implILS5_5ELb0ES3_mN6hipcub16HIPCUB_304000_NS21CountingInputIteratorIllEEPS6_NSA_22TransformInputIteratorIb7NonZeroIfEPflEENS0_5tupleIJPlS6_EEENSJ_IJSD_SD_EEES6_SK_JS6_EEE10hipError_tPvRmT3_T4_T5_T6_T7_T9_mT8_P12ihipStream_tbDpT10_ENKUlT_T0_E_clISt17integral_constantIbLb1EES15_IbLb0EEEEDaS11_S12_EUlS11_E_NS1_11comp_targetILNS1_3genE8ELNS1_11target_archE1030ELNS1_3gpuE2ELNS1_3repE0EEENS1_30default_config_static_selectorELNS0_4arch9wavefront6targetE0EEEvT1_: ; @_ZN7rocprim17ROCPRIM_400000_NS6detail17trampoline_kernelINS0_14default_configENS1_25partition_config_selectorILNS1_17partition_subalgoE5ElNS0_10empty_typeEbEEZZNS1_14partition_implILS5_5ELb0ES3_mN6hipcub16HIPCUB_304000_NS21CountingInputIteratorIllEEPS6_NSA_22TransformInputIteratorIb7NonZeroIfEPflEENS0_5tupleIJPlS6_EEENSJ_IJSD_SD_EEES6_SK_JS6_EEE10hipError_tPvRmT3_T4_T5_T6_T7_T9_mT8_P12ihipStream_tbDpT10_ENKUlT_T0_E_clISt17integral_constantIbLb1EES15_IbLb0EEEEDaS11_S12_EUlS11_E_NS1_11comp_targetILNS1_3genE8ELNS1_11target_archE1030ELNS1_3gpuE2ELNS1_3repE0EEENS1_30default_config_static_selectorELNS0_4arch9wavefront6targetE0EEEvT1_
; %bb.0:
	.section	.rodata,"a",@progbits
	.p2align	6, 0x0
	.amdhsa_kernel _ZN7rocprim17ROCPRIM_400000_NS6detail17trampoline_kernelINS0_14default_configENS1_25partition_config_selectorILNS1_17partition_subalgoE5ElNS0_10empty_typeEbEEZZNS1_14partition_implILS5_5ELb0ES3_mN6hipcub16HIPCUB_304000_NS21CountingInputIteratorIllEEPS6_NSA_22TransformInputIteratorIb7NonZeroIfEPflEENS0_5tupleIJPlS6_EEENSJ_IJSD_SD_EEES6_SK_JS6_EEE10hipError_tPvRmT3_T4_T5_T6_T7_T9_mT8_P12ihipStream_tbDpT10_ENKUlT_T0_E_clISt17integral_constantIbLb1EES15_IbLb0EEEEDaS11_S12_EUlS11_E_NS1_11comp_targetILNS1_3genE8ELNS1_11target_archE1030ELNS1_3gpuE2ELNS1_3repE0EEENS1_30default_config_static_selectorELNS0_4arch9wavefront6targetE0EEEvT1_
		.amdhsa_group_segment_fixed_size 0
		.amdhsa_private_segment_fixed_size 0
		.amdhsa_kernarg_size 120
		.amdhsa_user_sgpr_count 15
		.amdhsa_user_sgpr_dispatch_ptr 0
		.amdhsa_user_sgpr_queue_ptr 0
		.amdhsa_user_sgpr_kernarg_segment_ptr 1
		.amdhsa_user_sgpr_dispatch_id 0
		.amdhsa_user_sgpr_private_segment_size 0
		.amdhsa_wavefront_size32 1
		.amdhsa_uses_dynamic_stack 0
		.amdhsa_enable_private_segment 0
		.amdhsa_system_sgpr_workgroup_id_x 1
		.amdhsa_system_sgpr_workgroup_id_y 0
		.amdhsa_system_sgpr_workgroup_id_z 0
		.amdhsa_system_sgpr_workgroup_info 0
		.amdhsa_system_vgpr_workitem_id 0
		.amdhsa_next_free_vgpr 1
		.amdhsa_next_free_sgpr 1
		.amdhsa_reserve_vcc 0
		.amdhsa_float_round_mode_32 0
		.amdhsa_float_round_mode_16_64 0
		.amdhsa_float_denorm_mode_32 3
		.amdhsa_float_denorm_mode_16_64 3
		.amdhsa_dx10_clamp 1
		.amdhsa_ieee_mode 1
		.amdhsa_fp16_overflow 0
		.amdhsa_workgroup_processor_mode 1
		.amdhsa_memory_ordered 1
		.amdhsa_forward_progress 0
		.amdhsa_shared_vgpr_count 0
		.amdhsa_exception_fp_ieee_invalid_op 0
		.amdhsa_exception_fp_denorm_src 0
		.amdhsa_exception_fp_ieee_div_zero 0
		.amdhsa_exception_fp_ieee_overflow 0
		.amdhsa_exception_fp_ieee_underflow 0
		.amdhsa_exception_fp_ieee_inexact 0
		.amdhsa_exception_int_div_zero 0
	.end_amdhsa_kernel
	.section	.text._ZN7rocprim17ROCPRIM_400000_NS6detail17trampoline_kernelINS0_14default_configENS1_25partition_config_selectorILNS1_17partition_subalgoE5ElNS0_10empty_typeEbEEZZNS1_14partition_implILS5_5ELb0ES3_mN6hipcub16HIPCUB_304000_NS21CountingInputIteratorIllEEPS6_NSA_22TransformInputIteratorIb7NonZeroIfEPflEENS0_5tupleIJPlS6_EEENSJ_IJSD_SD_EEES6_SK_JS6_EEE10hipError_tPvRmT3_T4_T5_T6_T7_T9_mT8_P12ihipStream_tbDpT10_ENKUlT_T0_E_clISt17integral_constantIbLb1EES15_IbLb0EEEEDaS11_S12_EUlS11_E_NS1_11comp_targetILNS1_3genE8ELNS1_11target_archE1030ELNS1_3gpuE2ELNS1_3repE0EEENS1_30default_config_static_selectorELNS0_4arch9wavefront6targetE0EEEvT1_,"axG",@progbits,_ZN7rocprim17ROCPRIM_400000_NS6detail17trampoline_kernelINS0_14default_configENS1_25partition_config_selectorILNS1_17partition_subalgoE5ElNS0_10empty_typeEbEEZZNS1_14partition_implILS5_5ELb0ES3_mN6hipcub16HIPCUB_304000_NS21CountingInputIteratorIllEEPS6_NSA_22TransformInputIteratorIb7NonZeroIfEPflEENS0_5tupleIJPlS6_EEENSJ_IJSD_SD_EEES6_SK_JS6_EEE10hipError_tPvRmT3_T4_T5_T6_T7_T9_mT8_P12ihipStream_tbDpT10_ENKUlT_T0_E_clISt17integral_constantIbLb1EES15_IbLb0EEEEDaS11_S12_EUlS11_E_NS1_11comp_targetILNS1_3genE8ELNS1_11target_archE1030ELNS1_3gpuE2ELNS1_3repE0EEENS1_30default_config_static_selectorELNS0_4arch9wavefront6targetE0EEEvT1_,comdat
.Lfunc_end276:
	.size	_ZN7rocprim17ROCPRIM_400000_NS6detail17trampoline_kernelINS0_14default_configENS1_25partition_config_selectorILNS1_17partition_subalgoE5ElNS0_10empty_typeEbEEZZNS1_14partition_implILS5_5ELb0ES3_mN6hipcub16HIPCUB_304000_NS21CountingInputIteratorIllEEPS6_NSA_22TransformInputIteratorIb7NonZeroIfEPflEENS0_5tupleIJPlS6_EEENSJ_IJSD_SD_EEES6_SK_JS6_EEE10hipError_tPvRmT3_T4_T5_T6_T7_T9_mT8_P12ihipStream_tbDpT10_ENKUlT_T0_E_clISt17integral_constantIbLb1EES15_IbLb0EEEEDaS11_S12_EUlS11_E_NS1_11comp_targetILNS1_3genE8ELNS1_11target_archE1030ELNS1_3gpuE2ELNS1_3repE0EEENS1_30default_config_static_selectorELNS0_4arch9wavefront6targetE0EEEvT1_, .Lfunc_end276-_ZN7rocprim17ROCPRIM_400000_NS6detail17trampoline_kernelINS0_14default_configENS1_25partition_config_selectorILNS1_17partition_subalgoE5ElNS0_10empty_typeEbEEZZNS1_14partition_implILS5_5ELb0ES3_mN6hipcub16HIPCUB_304000_NS21CountingInputIteratorIllEEPS6_NSA_22TransformInputIteratorIb7NonZeroIfEPflEENS0_5tupleIJPlS6_EEENSJ_IJSD_SD_EEES6_SK_JS6_EEE10hipError_tPvRmT3_T4_T5_T6_T7_T9_mT8_P12ihipStream_tbDpT10_ENKUlT_T0_E_clISt17integral_constantIbLb1EES15_IbLb0EEEEDaS11_S12_EUlS11_E_NS1_11comp_targetILNS1_3genE8ELNS1_11target_archE1030ELNS1_3gpuE2ELNS1_3repE0EEENS1_30default_config_static_selectorELNS0_4arch9wavefront6targetE0EEEvT1_
                                        ; -- End function
	.section	.AMDGPU.csdata,"",@progbits
; Kernel info:
; codeLenInByte = 0
; NumSgprs: 0
; NumVgprs: 0
; ScratchSize: 0
; MemoryBound: 0
; FloatMode: 240
; IeeeMode: 1
; LDSByteSize: 0 bytes/workgroup (compile time only)
; SGPRBlocks: 0
; VGPRBlocks: 0
; NumSGPRsForWavesPerEU: 1
; NumVGPRsForWavesPerEU: 1
; Occupancy: 16
; WaveLimiterHint : 0
; COMPUTE_PGM_RSRC2:SCRATCH_EN: 0
; COMPUTE_PGM_RSRC2:USER_SGPR: 15
; COMPUTE_PGM_RSRC2:TRAP_HANDLER: 0
; COMPUTE_PGM_RSRC2:TGID_X_EN: 1
; COMPUTE_PGM_RSRC2:TGID_Y_EN: 0
; COMPUTE_PGM_RSRC2:TGID_Z_EN: 0
; COMPUTE_PGM_RSRC2:TIDIG_COMP_CNT: 0
	.section	.text._ZN7rocprim17ROCPRIM_400000_NS6detail17trampoline_kernelINS0_14default_configENS1_25partition_config_selectorILNS1_17partition_subalgoE5ElNS0_10empty_typeEbEEZZNS1_14partition_implILS5_5ELb0ES3_mN6hipcub16HIPCUB_304000_NS21CountingInputIteratorIllEEPS6_NSA_22TransformInputIteratorIb7NonZeroIfEPflEENS0_5tupleIJPlS6_EEENSJ_IJSD_SD_EEES6_SK_JS6_EEE10hipError_tPvRmT3_T4_T5_T6_T7_T9_mT8_P12ihipStream_tbDpT10_ENKUlT_T0_E_clISt17integral_constantIbLb0EES15_IbLb1EEEEDaS11_S12_EUlS11_E_NS1_11comp_targetILNS1_3genE0ELNS1_11target_archE4294967295ELNS1_3gpuE0ELNS1_3repE0EEENS1_30default_config_static_selectorELNS0_4arch9wavefront6targetE0EEEvT1_,"axG",@progbits,_ZN7rocprim17ROCPRIM_400000_NS6detail17trampoline_kernelINS0_14default_configENS1_25partition_config_selectorILNS1_17partition_subalgoE5ElNS0_10empty_typeEbEEZZNS1_14partition_implILS5_5ELb0ES3_mN6hipcub16HIPCUB_304000_NS21CountingInputIteratorIllEEPS6_NSA_22TransformInputIteratorIb7NonZeroIfEPflEENS0_5tupleIJPlS6_EEENSJ_IJSD_SD_EEES6_SK_JS6_EEE10hipError_tPvRmT3_T4_T5_T6_T7_T9_mT8_P12ihipStream_tbDpT10_ENKUlT_T0_E_clISt17integral_constantIbLb0EES15_IbLb1EEEEDaS11_S12_EUlS11_E_NS1_11comp_targetILNS1_3genE0ELNS1_11target_archE4294967295ELNS1_3gpuE0ELNS1_3repE0EEENS1_30default_config_static_selectorELNS0_4arch9wavefront6targetE0EEEvT1_,comdat
	.protected	_ZN7rocprim17ROCPRIM_400000_NS6detail17trampoline_kernelINS0_14default_configENS1_25partition_config_selectorILNS1_17partition_subalgoE5ElNS0_10empty_typeEbEEZZNS1_14partition_implILS5_5ELb0ES3_mN6hipcub16HIPCUB_304000_NS21CountingInputIteratorIllEEPS6_NSA_22TransformInputIteratorIb7NonZeroIfEPflEENS0_5tupleIJPlS6_EEENSJ_IJSD_SD_EEES6_SK_JS6_EEE10hipError_tPvRmT3_T4_T5_T6_T7_T9_mT8_P12ihipStream_tbDpT10_ENKUlT_T0_E_clISt17integral_constantIbLb0EES15_IbLb1EEEEDaS11_S12_EUlS11_E_NS1_11comp_targetILNS1_3genE0ELNS1_11target_archE4294967295ELNS1_3gpuE0ELNS1_3repE0EEENS1_30default_config_static_selectorELNS0_4arch9wavefront6targetE0EEEvT1_ ; -- Begin function _ZN7rocprim17ROCPRIM_400000_NS6detail17trampoline_kernelINS0_14default_configENS1_25partition_config_selectorILNS1_17partition_subalgoE5ElNS0_10empty_typeEbEEZZNS1_14partition_implILS5_5ELb0ES3_mN6hipcub16HIPCUB_304000_NS21CountingInputIteratorIllEEPS6_NSA_22TransformInputIteratorIb7NonZeroIfEPflEENS0_5tupleIJPlS6_EEENSJ_IJSD_SD_EEES6_SK_JS6_EEE10hipError_tPvRmT3_T4_T5_T6_T7_T9_mT8_P12ihipStream_tbDpT10_ENKUlT_T0_E_clISt17integral_constantIbLb0EES15_IbLb1EEEEDaS11_S12_EUlS11_E_NS1_11comp_targetILNS1_3genE0ELNS1_11target_archE4294967295ELNS1_3gpuE0ELNS1_3repE0EEENS1_30default_config_static_selectorELNS0_4arch9wavefront6targetE0EEEvT1_
	.globl	_ZN7rocprim17ROCPRIM_400000_NS6detail17trampoline_kernelINS0_14default_configENS1_25partition_config_selectorILNS1_17partition_subalgoE5ElNS0_10empty_typeEbEEZZNS1_14partition_implILS5_5ELb0ES3_mN6hipcub16HIPCUB_304000_NS21CountingInputIteratorIllEEPS6_NSA_22TransformInputIteratorIb7NonZeroIfEPflEENS0_5tupleIJPlS6_EEENSJ_IJSD_SD_EEES6_SK_JS6_EEE10hipError_tPvRmT3_T4_T5_T6_T7_T9_mT8_P12ihipStream_tbDpT10_ENKUlT_T0_E_clISt17integral_constantIbLb0EES15_IbLb1EEEEDaS11_S12_EUlS11_E_NS1_11comp_targetILNS1_3genE0ELNS1_11target_archE4294967295ELNS1_3gpuE0ELNS1_3repE0EEENS1_30default_config_static_selectorELNS0_4arch9wavefront6targetE0EEEvT1_
	.p2align	8
	.type	_ZN7rocprim17ROCPRIM_400000_NS6detail17trampoline_kernelINS0_14default_configENS1_25partition_config_selectorILNS1_17partition_subalgoE5ElNS0_10empty_typeEbEEZZNS1_14partition_implILS5_5ELb0ES3_mN6hipcub16HIPCUB_304000_NS21CountingInputIteratorIllEEPS6_NSA_22TransformInputIteratorIb7NonZeroIfEPflEENS0_5tupleIJPlS6_EEENSJ_IJSD_SD_EEES6_SK_JS6_EEE10hipError_tPvRmT3_T4_T5_T6_T7_T9_mT8_P12ihipStream_tbDpT10_ENKUlT_T0_E_clISt17integral_constantIbLb0EES15_IbLb1EEEEDaS11_S12_EUlS11_E_NS1_11comp_targetILNS1_3genE0ELNS1_11target_archE4294967295ELNS1_3gpuE0ELNS1_3repE0EEENS1_30default_config_static_selectorELNS0_4arch9wavefront6targetE0EEEvT1_,@function
_ZN7rocprim17ROCPRIM_400000_NS6detail17trampoline_kernelINS0_14default_configENS1_25partition_config_selectorILNS1_17partition_subalgoE5ElNS0_10empty_typeEbEEZZNS1_14partition_implILS5_5ELb0ES3_mN6hipcub16HIPCUB_304000_NS21CountingInputIteratorIllEEPS6_NSA_22TransformInputIteratorIb7NonZeroIfEPflEENS0_5tupleIJPlS6_EEENSJ_IJSD_SD_EEES6_SK_JS6_EEE10hipError_tPvRmT3_T4_T5_T6_T7_T9_mT8_P12ihipStream_tbDpT10_ENKUlT_T0_E_clISt17integral_constantIbLb0EES15_IbLb1EEEEDaS11_S12_EUlS11_E_NS1_11comp_targetILNS1_3genE0ELNS1_11target_archE4294967295ELNS1_3gpuE0ELNS1_3repE0EEENS1_30default_config_static_selectorELNS0_4arch9wavefront6targetE0EEEvT1_: ; @_ZN7rocprim17ROCPRIM_400000_NS6detail17trampoline_kernelINS0_14default_configENS1_25partition_config_selectorILNS1_17partition_subalgoE5ElNS0_10empty_typeEbEEZZNS1_14partition_implILS5_5ELb0ES3_mN6hipcub16HIPCUB_304000_NS21CountingInputIteratorIllEEPS6_NSA_22TransformInputIteratorIb7NonZeroIfEPflEENS0_5tupleIJPlS6_EEENSJ_IJSD_SD_EEES6_SK_JS6_EEE10hipError_tPvRmT3_T4_T5_T6_T7_T9_mT8_P12ihipStream_tbDpT10_ENKUlT_T0_E_clISt17integral_constantIbLb0EES15_IbLb1EEEEDaS11_S12_EUlS11_E_NS1_11comp_targetILNS1_3genE0ELNS1_11target_archE4294967295ELNS1_3gpuE0ELNS1_3repE0EEENS1_30default_config_static_selectorELNS0_4arch9wavefront6targetE0EEEvT1_
; %bb.0:
	.section	.rodata,"a",@progbits
	.p2align	6, 0x0
	.amdhsa_kernel _ZN7rocprim17ROCPRIM_400000_NS6detail17trampoline_kernelINS0_14default_configENS1_25partition_config_selectorILNS1_17partition_subalgoE5ElNS0_10empty_typeEbEEZZNS1_14partition_implILS5_5ELb0ES3_mN6hipcub16HIPCUB_304000_NS21CountingInputIteratorIllEEPS6_NSA_22TransformInputIteratorIb7NonZeroIfEPflEENS0_5tupleIJPlS6_EEENSJ_IJSD_SD_EEES6_SK_JS6_EEE10hipError_tPvRmT3_T4_T5_T6_T7_T9_mT8_P12ihipStream_tbDpT10_ENKUlT_T0_E_clISt17integral_constantIbLb0EES15_IbLb1EEEEDaS11_S12_EUlS11_E_NS1_11comp_targetILNS1_3genE0ELNS1_11target_archE4294967295ELNS1_3gpuE0ELNS1_3repE0EEENS1_30default_config_static_selectorELNS0_4arch9wavefront6targetE0EEEvT1_
		.amdhsa_group_segment_fixed_size 0
		.amdhsa_private_segment_fixed_size 0
		.amdhsa_kernarg_size 136
		.amdhsa_user_sgpr_count 15
		.amdhsa_user_sgpr_dispatch_ptr 0
		.amdhsa_user_sgpr_queue_ptr 0
		.amdhsa_user_sgpr_kernarg_segment_ptr 1
		.amdhsa_user_sgpr_dispatch_id 0
		.amdhsa_user_sgpr_private_segment_size 0
		.amdhsa_wavefront_size32 1
		.amdhsa_uses_dynamic_stack 0
		.amdhsa_enable_private_segment 0
		.amdhsa_system_sgpr_workgroup_id_x 1
		.amdhsa_system_sgpr_workgroup_id_y 0
		.amdhsa_system_sgpr_workgroup_id_z 0
		.amdhsa_system_sgpr_workgroup_info 0
		.amdhsa_system_vgpr_workitem_id 0
		.amdhsa_next_free_vgpr 1
		.amdhsa_next_free_sgpr 1
		.amdhsa_reserve_vcc 0
		.amdhsa_float_round_mode_32 0
		.amdhsa_float_round_mode_16_64 0
		.amdhsa_float_denorm_mode_32 3
		.amdhsa_float_denorm_mode_16_64 3
		.amdhsa_dx10_clamp 1
		.amdhsa_ieee_mode 1
		.amdhsa_fp16_overflow 0
		.amdhsa_workgroup_processor_mode 1
		.amdhsa_memory_ordered 1
		.amdhsa_forward_progress 0
		.amdhsa_shared_vgpr_count 0
		.amdhsa_exception_fp_ieee_invalid_op 0
		.amdhsa_exception_fp_denorm_src 0
		.amdhsa_exception_fp_ieee_div_zero 0
		.amdhsa_exception_fp_ieee_overflow 0
		.amdhsa_exception_fp_ieee_underflow 0
		.amdhsa_exception_fp_ieee_inexact 0
		.amdhsa_exception_int_div_zero 0
	.end_amdhsa_kernel
	.section	.text._ZN7rocprim17ROCPRIM_400000_NS6detail17trampoline_kernelINS0_14default_configENS1_25partition_config_selectorILNS1_17partition_subalgoE5ElNS0_10empty_typeEbEEZZNS1_14partition_implILS5_5ELb0ES3_mN6hipcub16HIPCUB_304000_NS21CountingInputIteratorIllEEPS6_NSA_22TransformInputIteratorIb7NonZeroIfEPflEENS0_5tupleIJPlS6_EEENSJ_IJSD_SD_EEES6_SK_JS6_EEE10hipError_tPvRmT3_T4_T5_T6_T7_T9_mT8_P12ihipStream_tbDpT10_ENKUlT_T0_E_clISt17integral_constantIbLb0EES15_IbLb1EEEEDaS11_S12_EUlS11_E_NS1_11comp_targetILNS1_3genE0ELNS1_11target_archE4294967295ELNS1_3gpuE0ELNS1_3repE0EEENS1_30default_config_static_selectorELNS0_4arch9wavefront6targetE0EEEvT1_,"axG",@progbits,_ZN7rocprim17ROCPRIM_400000_NS6detail17trampoline_kernelINS0_14default_configENS1_25partition_config_selectorILNS1_17partition_subalgoE5ElNS0_10empty_typeEbEEZZNS1_14partition_implILS5_5ELb0ES3_mN6hipcub16HIPCUB_304000_NS21CountingInputIteratorIllEEPS6_NSA_22TransformInputIteratorIb7NonZeroIfEPflEENS0_5tupleIJPlS6_EEENSJ_IJSD_SD_EEES6_SK_JS6_EEE10hipError_tPvRmT3_T4_T5_T6_T7_T9_mT8_P12ihipStream_tbDpT10_ENKUlT_T0_E_clISt17integral_constantIbLb0EES15_IbLb1EEEEDaS11_S12_EUlS11_E_NS1_11comp_targetILNS1_3genE0ELNS1_11target_archE4294967295ELNS1_3gpuE0ELNS1_3repE0EEENS1_30default_config_static_selectorELNS0_4arch9wavefront6targetE0EEEvT1_,comdat
.Lfunc_end277:
	.size	_ZN7rocprim17ROCPRIM_400000_NS6detail17trampoline_kernelINS0_14default_configENS1_25partition_config_selectorILNS1_17partition_subalgoE5ElNS0_10empty_typeEbEEZZNS1_14partition_implILS5_5ELb0ES3_mN6hipcub16HIPCUB_304000_NS21CountingInputIteratorIllEEPS6_NSA_22TransformInputIteratorIb7NonZeroIfEPflEENS0_5tupleIJPlS6_EEENSJ_IJSD_SD_EEES6_SK_JS6_EEE10hipError_tPvRmT3_T4_T5_T6_T7_T9_mT8_P12ihipStream_tbDpT10_ENKUlT_T0_E_clISt17integral_constantIbLb0EES15_IbLb1EEEEDaS11_S12_EUlS11_E_NS1_11comp_targetILNS1_3genE0ELNS1_11target_archE4294967295ELNS1_3gpuE0ELNS1_3repE0EEENS1_30default_config_static_selectorELNS0_4arch9wavefront6targetE0EEEvT1_, .Lfunc_end277-_ZN7rocprim17ROCPRIM_400000_NS6detail17trampoline_kernelINS0_14default_configENS1_25partition_config_selectorILNS1_17partition_subalgoE5ElNS0_10empty_typeEbEEZZNS1_14partition_implILS5_5ELb0ES3_mN6hipcub16HIPCUB_304000_NS21CountingInputIteratorIllEEPS6_NSA_22TransformInputIteratorIb7NonZeroIfEPflEENS0_5tupleIJPlS6_EEENSJ_IJSD_SD_EEES6_SK_JS6_EEE10hipError_tPvRmT3_T4_T5_T6_T7_T9_mT8_P12ihipStream_tbDpT10_ENKUlT_T0_E_clISt17integral_constantIbLb0EES15_IbLb1EEEEDaS11_S12_EUlS11_E_NS1_11comp_targetILNS1_3genE0ELNS1_11target_archE4294967295ELNS1_3gpuE0ELNS1_3repE0EEENS1_30default_config_static_selectorELNS0_4arch9wavefront6targetE0EEEvT1_
                                        ; -- End function
	.section	.AMDGPU.csdata,"",@progbits
; Kernel info:
; codeLenInByte = 0
; NumSgprs: 0
; NumVgprs: 0
; ScratchSize: 0
; MemoryBound: 0
; FloatMode: 240
; IeeeMode: 1
; LDSByteSize: 0 bytes/workgroup (compile time only)
; SGPRBlocks: 0
; VGPRBlocks: 0
; NumSGPRsForWavesPerEU: 1
; NumVGPRsForWavesPerEU: 1
; Occupancy: 16
; WaveLimiterHint : 0
; COMPUTE_PGM_RSRC2:SCRATCH_EN: 0
; COMPUTE_PGM_RSRC2:USER_SGPR: 15
; COMPUTE_PGM_RSRC2:TRAP_HANDLER: 0
; COMPUTE_PGM_RSRC2:TGID_X_EN: 1
; COMPUTE_PGM_RSRC2:TGID_Y_EN: 0
; COMPUTE_PGM_RSRC2:TGID_Z_EN: 0
; COMPUTE_PGM_RSRC2:TIDIG_COMP_CNT: 0
	.section	.text._ZN7rocprim17ROCPRIM_400000_NS6detail17trampoline_kernelINS0_14default_configENS1_25partition_config_selectorILNS1_17partition_subalgoE5ElNS0_10empty_typeEbEEZZNS1_14partition_implILS5_5ELb0ES3_mN6hipcub16HIPCUB_304000_NS21CountingInputIteratorIllEEPS6_NSA_22TransformInputIteratorIb7NonZeroIfEPflEENS0_5tupleIJPlS6_EEENSJ_IJSD_SD_EEES6_SK_JS6_EEE10hipError_tPvRmT3_T4_T5_T6_T7_T9_mT8_P12ihipStream_tbDpT10_ENKUlT_T0_E_clISt17integral_constantIbLb0EES15_IbLb1EEEEDaS11_S12_EUlS11_E_NS1_11comp_targetILNS1_3genE5ELNS1_11target_archE942ELNS1_3gpuE9ELNS1_3repE0EEENS1_30default_config_static_selectorELNS0_4arch9wavefront6targetE0EEEvT1_,"axG",@progbits,_ZN7rocprim17ROCPRIM_400000_NS6detail17trampoline_kernelINS0_14default_configENS1_25partition_config_selectorILNS1_17partition_subalgoE5ElNS0_10empty_typeEbEEZZNS1_14partition_implILS5_5ELb0ES3_mN6hipcub16HIPCUB_304000_NS21CountingInputIteratorIllEEPS6_NSA_22TransformInputIteratorIb7NonZeroIfEPflEENS0_5tupleIJPlS6_EEENSJ_IJSD_SD_EEES6_SK_JS6_EEE10hipError_tPvRmT3_T4_T5_T6_T7_T9_mT8_P12ihipStream_tbDpT10_ENKUlT_T0_E_clISt17integral_constantIbLb0EES15_IbLb1EEEEDaS11_S12_EUlS11_E_NS1_11comp_targetILNS1_3genE5ELNS1_11target_archE942ELNS1_3gpuE9ELNS1_3repE0EEENS1_30default_config_static_selectorELNS0_4arch9wavefront6targetE0EEEvT1_,comdat
	.protected	_ZN7rocprim17ROCPRIM_400000_NS6detail17trampoline_kernelINS0_14default_configENS1_25partition_config_selectorILNS1_17partition_subalgoE5ElNS0_10empty_typeEbEEZZNS1_14partition_implILS5_5ELb0ES3_mN6hipcub16HIPCUB_304000_NS21CountingInputIteratorIllEEPS6_NSA_22TransformInputIteratorIb7NonZeroIfEPflEENS0_5tupleIJPlS6_EEENSJ_IJSD_SD_EEES6_SK_JS6_EEE10hipError_tPvRmT3_T4_T5_T6_T7_T9_mT8_P12ihipStream_tbDpT10_ENKUlT_T0_E_clISt17integral_constantIbLb0EES15_IbLb1EEEEDaS11_S12_EUlS11_E_NS1_11comp_targetILNS1_3genE5ELNS1_11target_archE942ELNS1_3gpuE9ELNS1_3repE0EEENS1_30default_config_static_selectorELNS0_4arch9wavefront6targetE0EEEvT1_ ; -- Begin function _ZN7rocprim17ROCPRIM_400000_NS6detail17trampoline_kernelINS0_14default_configENS1_25partition_config_selectorILNS1_17partition_subalgoE5ElNS0_10empty_typeEbEEZZNS1_14partition_implILS5_5ELb0ES3_mN6hipcub16HIPCUB_304000_NS21CountingInputIteratorIllEEPS6_NSA_22TransformInputIteratorIb7NonZeroIfEPflEENS0_5tupleIJPlS6_EEENSJ_IJSD_SD_EEES6_SK_JS6_EEE10hipError_tPvRmT3_T4_T5_T6_T7_T9_mT8_P12ihipStream_tbDpT10_ENKUlT_T0_E_clISt17integral_constantIbLb0EES15_IbLb1EEEEDaS11_S12_EUlS11_E_NS1_11comp_targetILNS1_3genE5ELNS1_11target_archE942ELNS1_3gpuE9ELNS1_3repE0EEENS1_30default_config_static_selectorELNS0_4arch9wavefront6targetE0EEEvT1_
	.globl	_ZN7rocprim17ROCPRIM_400000_NS6detail17trampoline_kernelINS0_14default_configENS1_25partition_config_selectorILNS1_17partition_subalgoE5ElNS0_10empty_typeEbEEZZNS1_14partition_implILS5_5ELb0ES3_mN6hipcub16HIPCUB_304000_NS21CountingInputIteratorIllEEPS6_NSA_22TransformInputIteratorIb7NonZeroIfEPflEENS0_5tupleIJPlS6_EEENSJ_IJSD_SD_EEES6_SK_JS6_EEE10hipError_tPvRmT3_T4_T5_T6_T7_T9_mT8_P12ihipStream_tbDpT10_ENKUlT_T0_E_clISt17integral_constantIbLb0EES15_IbLb1EEEEDaS11_S12_EUlS11_E_NS1_11comp_targetILNS1_3genE5ELNS1_11target_archE942ELNS1_3gpuE9ELNS1_3repE0EEENS1_30default_config_static_selectorELNS0_4arch9wavefront6targetE0EEEvT1_
	.p2align	8
	.type	_ZN7rocprim17ROCPRIM_400000_NS6detail17trampoline_kernelINS0_14default_configENS1_25partition_config_selectorILNS1_17partition_subalgoE5ElNS0_10empty_typeEbEEZZNS1_14partition_implILS5_5ELb0ES3_mN6hipcub16HIPCUB_304000_NS21CountingInputIteratorIllEEPS6_NSA_22TransformInputIteratorIb7NonZeroIfEPflEENS0_5tupleIJPlS6_EEENSJ_IJSD_SD_EEES6_SK_JS6_EEE10hipError_tPvRmT3_T4_T5_T6_T7_T9_mT8_P12ihipStream_tbDpT10_ENKUlT_T0_E_clISt17integral_constantIbLb0EES15_IbLb1EEEEDaS11_S12_EUlS11_E_NS1_11comp_targetILNS1_3genE5ELNS1_11target_archE942ELNS1_3gpuE9ELNS1_3repE0EEENS1_30default_config_static_selectorELNS0_4arch9wavefront6targetE0EEEvT1_,@function
_ZN7rocprim17ROCPRIM_400000_NS6detail17trampoline_kernelINS0_14default_configENS1_25partition_config_selectorILNS1_17partition_subalgoE5ElNS0_10empty_typeEbEEZZNS1_14partition_implILS5_5ELb0ES3_mN6hipcub16HIPCUB_304000_NS21CountingInputIteratorIllEEPS6_NSA_22TransformInputIteratorIb7NonZeroIfEPflEENS0_5tupleIJPlS6_EEENSJ_IJSD_SD_EEES6_SK_JS6_EEE10hipError_tPvRmT3_T4_T5_T6_T7_T9_mT8_P12ihipStream_tbDpT10_ENKUlT_T0_E_clISt17integral_constantIbLb0EES15_IbLb1EEEEDaS11_S12_EUlS11_E_NS1_11comp_targetILNS1_3genE5ELNS1_11target_archE942ELNS1_3gpuE9ELNS1_3repE0EEENS1_30default_config_static_selectorELNS0_4arch9wavefront6targetE0EEEvT1_: ; @_ZN7rocprim17ROCPRIM_400000_NS6detail17trampoline_kernelINS0_14default_configENS1_25partition_config_selectorILNS1_17partition_subalgoE5ElNS0_10empty_typeEbEEZZNS1_14partition_implILS5_5ELb0ES3_mN6hipcub16HIPCUB_304000_NS21CountingInputIteratorIllEEPS6_NSA_22TransformInputIteratorIb7NonZeroIfEPflEENS0_5tupleIJPlS6_EEENSJ_IJSD_SD_EEES6_SK_JS6_EEE10hipError_tPvRmT3_T4_T5_T6_T7_T9_mT8_P12ihipStream_tbDpT10_ENKUlT_T0_E_clISt17integral_constantIbLb0EES15_IbLb1EEEEDaS11_S12_EUlS11_E_NS1_11comp_targetILNS1_3genE5ELNS1_11target_archE942ELNS1_3gpuE9ELNS1_3repE0EEENS1_30default_config_static_selectorELNS0_4arch9wavefront6targetE0EEEvT1_
; %bb.0:
	.section	.rodata,"a",@progbits
	.p2align	6, 0x0
	.amdhsa_kernel _ZN7rocprim17ROCPRIM_400000_NS6detail17trampoline_kernelINS0_14default_configENS1_25partition_config_selectorILNS1_17partition_subalgoE5ElNS0_10empty_typeEbEEZZNS1_14partition_implILS5_5ELb0ES3_mN6hipcub16HIPCUB_304000_NS21CountingInputIteratorIllEEPS6_NSA_22TransformInputIteratorIb7NonZeroIfEPflEENS0_5tupleIJPlS6_EEENSJ_IJSD_SD_EEES6_SK_JS6_EEE10hipError_tPvRmT3_T4_T5_T6_T7_T9_mT8_P12ihipStream_tbDpT10_ENKUlT_T0_E_clISt17integral_constantIbLb0EES15_IbLb1EEEEDaS11_S12_EUlS11_E_NS1_11comp_targetILNS1_3genE5ELNS1_11target_archE942ELNS1_3gpuE9ELNS1_3repE0EEENS1_30default_config_static_selectorELNS0_4arch9wavefront6targetE0EEEvT1_
		.amdhsa_group_segment_fixed_size 0
		.amdhsa_private_segment_fixed_size 0
		.amdhsa_kernarg_size 136
		.amdhsa_user_sgpr_count 15
		.amdhsa_user_sgpr_dispatch_ptr 0
		.amdhsa_user_sgpr_queue_ptr 0
		.amdhsa_user_sgpr_kernarg_segment_ptr 1
		.amdhsa_user_sgpr_dispatch_id 0
		.amdhsa_user_sgpr_private_segment_size 0
		.amdhsa_wavefront_size32 1
		.amdhsa_uses_dynamic_stack 0
		.amdhsa_enable_private_segment 0
		.amdhsa_system_sgpr_workgroup_id_x 1
		.amdhsa_system_sgpr_workgroup_id_y 0
		.amdhsa_system_sgpr_workgroup_id_z 0
		.amdhsa_system_sgpr_workgroup_info 0
		.amdhsa_system_vgpr_workitem_id 0
		.amdhsa_next_free_vgpr 1
		.amdhsa_next_free_sgpr 1
		.amdhsa_reserve_vcc 0
		.amdhsa_float_round_mode_32 0
		.amdhsa_float_round_mode_16_64 0
		.amdhsa_float_denorm_mode_32 3
		.amdhsa_float_denorm_mode_16_64 3
		.amdhsa_dx10_clamp 1
		.amdhsa_ieee_mode 1
		.amdhsa_fp16_overflow 0
		.amdhsa_workgroup_processor_mode 1
		.amdhsa_memory_ordered 1
		.amdhsa_forward_progress 0
		.amdhsa_shared_vgpr_count 0
		.amdhsa_exception_fp_ieee_invalid_op 0
		.amdhsa_exception_fp_denorm_src 0
		.amdhsa_exception_fp_ieee_div_zero 0
		.amdhsa_exception_fp_ieee_overflow 0
		.amdhsa_exception_fp_ieee_underflow 0
		.amdhsa_exception_fp_ieee_inexact 0
		.amdhsa_exception_int_div_zero 0
	.end_amdhsa_kernel
	.section	.text._ZN7rocprim17ROCPRIM_400000_NS6detail17trampoline_kernelINS0_14default_configENS1_25partition_config_selectorILNS1_17partition_subalgoE5ElNS0_10empty_typeEbEEZZNS1_14partition_implILS5_5ELb0ES3_mN6hipcub16HIPCUB_304000_NS21CountingInputIteratorIllEEPS6_NSA_22TransformInputIteratorIb7NonZeroIfEPflEENS0_5tupleIJPlS6_EEENSJ_IJSD_SD_EEES6_SK_JS6_EEE10hipError_tPvRmT3_T4_T5_T6_T7_T9_mT8_P12ihipStream_tbDpT10_ENKUlT_T0_E_clISt17integral_constantIbLb0EES15_IbLb1EEEEDaS11_S12_EUlS11_E_NS1_11comp_targetILNS1_3genE5ELNS1_11target_archE942ELNS1_3gpuE9ELNS1_3repE0EEENS1_30default_config_static_selectorELNS0_4arch9wavefront6targetE0EEEvT1_,"axG",@progbits,_ZN7rocprim17ROCPRIM_400000_NS6detail17trampoline_kernelINS0_14default_configENS1_25partition_config_selectorILNS1_17partition_subalgoE5ElNS0_10empty_typeEbEEZZNS1_14partition_implILS5_5ELb0ES3_mN6hipcub16HIPCUB_304000_NS21CountingInputIteratorIllEEPS6_NSA_22TransformInputIteratorIb7NonZeroIfEPflEENS0_5tupleIJPlS6_EEENSJ_IJSD_SD_EEES6_SK_JS6_EEE10hipError_tPvRmT3_T4_T5_T6_T7_T9_mT8_P12ihipStream_tbDpT10_ENKUlT_T0_E_clISt17integral_constantIbLb0EES15_IbLb1EEEEDaS11_S12_EUlS11_E_NS1_11comp_targetILNS1_3genE5ELNS1_11target_archE942ELNS1_3gpuE9ELNS1_3repE0EEENS1_30default_config_static_selectorELNS0_4arch9wavefront6targetE0EEEvT1_,comdat
.Lfunc_end278:
	.size	_ZN7rocprim17ROCPRIM_400000_NS6detail17trampoline_kernelINS0_14default_configENS1_25partition_config_selectorILNS1_17partition_subalgoE5ElNS0_10empty_typeEbEEZZNS1_14partition_implILS5_5ELb0ES3_mN6hipcub16HIPCUB_304000_NS21CountingInputIteratorIllEEPS6_NSA_22TransformInputIteratorIb7NonZeroIfEPflEENS0_5tupleIJPlS6_EEENSJ_IJSD_SD_EEES6_SK_JS6_EEE10hipError_tPvRmT3_T4_T5_T6_T7_T9_mT8_P12ihipStream_tbDpT10_ENKUlT_T0_E_clISt17integral_constantIbLb0EES15_IbLb1EEEEDaS11_S12_EUlS11_E_NS1_11comp_targetILNS1_3genE5ELNS1_11target_archE942ELNS1_3gpuE9ELNS1_3repE0EEENS1_30default_config_static_selectorELNS0_4arch9wavefront6targetE0EEEvT1_, .Lfunc_end278-_ZN7rocprim17ROCPRIM_400000_NS6detail17trampoline_kernelINS0_14default_configENS1_25partition_config_selectorILNS1_17partition_subalgoE5ElNS0_10empty_typeEbEEZZNS1_14partition_implILS5_5ELb0ES3_mN6hipcub16HIPCUB_304000_NS21CountingInputIteratorIllEEPS6_NSA_22TransformInputIteratorIb7NonZeroIfEPflEENS0_5tupleIJPlS6_EEENSJ_IJSD_SD_EEES6_SK_JS6_EEE10hipError_tPvRmT3_T4_T5_T6_T7_T9_mT8_P12ihipStream_tbDpT10_ENKUlT_T0_E_clISt17integral_constantIbLb0EES15_IbLb1EEEEDaS11_S12_EUlS11_E_NS1_11comp_targetILNS1_3genE5ELNS1_11target_archE942ELNS1_3gpuE9ELNS1_3repE0EEENS1_30default_config_static_selectorELNS0_4arch9wavefront6targetE0EEEvT1_
                                        ; -- End function
	.section	.AMDGPU.csdata,"",@progbits
; Kernel info:
; codeLenInByte = 0
; NumSgprs: 0
; NumVgprs: 0
; ScratchSize: 0
; MemoryBound: 0
; FloatMode: 240
; IeeeMode: 1
; LDSByteSize: 0 bytes/workgroup (compile time only)
; SGPRBlocks: 0
; VGPRBlocks: 0
; NumSGPRsForWavesPerEU: 1
; NumVGPRsForWavesPerEU: 1
; Occupancy: 16
; WaveLimiterHint : 0
; COMPUTE_PGM_RSRC2:SCRATCH_EN: 0
; COMPUTE_PGM_RSRC2:USER_SGPR: 15
; COMPUTE_PGM_RSRC2:TRAP_HANDLER: 0
; COMPUTE_PGM_RSRC2:TGID_X_EN: 1
; COMPUTE_PGM_RSRC2:TGID_Y_EN: 0
; COMPUTE_PGM_RSRC2:TGID_Z_EN: 0
; COMPUTE_PGM_RSRC2:TIDIG_COMP_CNT: 0
	.section	.text._ZN7rocprim17ROCPRIM_400000_NS6detail17trampoline_kernelINS0_14default_configENS1_25partition_config_selectorILNS1_17partition_subalgoE5ElNS0_10empty_typeEbEEZZNS1_14partition_implILS5_5ELb0ES3_mN6hipcub16HIPCUB_304000_NS21CountingInputIteratorIllEEPS6_NSA_22TransformInputIteratorIb7NonZeroIfEPflEENS0_5tupleIJPlS6_EEENSJ_IJSD_SD_EEES6_SK_JS6_EEE10hipError_tPvRmT3_T4_T5_T6_T7_T9_mT8_P12ihipStream_tbDpT10_ENKUlT_T0_E_clISt17integral_constantIbLb0EES15_IbLb1EEEEDaS11_S12_EUlS11_E_NS1_11comp_targetILNS1_3genE4ELNS1_11target_archE910ELNS1_3gpuE8ELNS1_3repE0EEENS1_30default_config_static_selectorELNS0_4arch9wavefront6targetE0EEEvT1_,"axG",@progbits,_ZN7rocprim17ROCPRIM_400000_NS6detail17trampoline_kernelINS0_14default_configENS1_25partition_config_selectorILNS1_17partition_subalgoE5ElNS0_10empty_typeEbEEZZNS1_14partition_implILS5_5ELb0ES3_mN6hipcub16HIPCUB_304000_NS21CountingInputIteratorIllEEPS6_NSA_22TransformInputIteratorIb7NonZeroIfEPflEENS0_5tupleIJPlS6_EEENSJ_IJSD_SD_EEES6_SK_JS6_EEE10hipError_tPvRmT3_T4_T5_T6_T7_T9_mT8_P12ihipStream_tbDpT10_ENKUlT_T0_E_clISt17integral_constantIbLb0EES15_IbLb1EEEEDaS11_S12_EUlS11_E_NS1_11comp_targetILNS1_3genE4ELNS1_11target_archE910ELNS1_3gpuE8ELNS1_3repE0EEENS1_30default_config_static_selectorELNS0_4arch9wavefront6targetE0EEEvT1_,comdat
	.protected	_ZN7rocprim17ROCPRIM_400000_NS6detail17trampoline_kernelINS0_14default_configENS1_25partition_config_selectorILNS1_17partition_subalgoE5ElNS0_10empty_typeEbEEZZNS1_14partition_implILS5_5ELb0ES3_mN6hipcub16HIPCUB_304000_NS21CountingInputIteratorIllEEPS6_NSA_22TransformInputIteratorIb7NonZeroIfEPflEENS0_5tupleIJPlS6_EEENSJ_IJSD_SD_EEES6_SK_JS6_EEE10hipError_tPvRmT3_T4_T5_T6_T7_T9_mT8_P12ihipStream_tbDpT10_ENKUlT_T0_E_clISt17integral_constantIbLb0EES15_IbLb1EEEEDaS11_S12_EUlS11_E_NS1_11comp_targetILNS1_3genE4ELNS1_11target_archE910ELNS1_3gpuE8ELNS1_3repE0EEENS1_30default_config_static_selectorELNS0_4arch9wavefront6targetE0EEEvT1_ ; -- Begin function _ZN7rocprim17ROCPRIM_400000_NS6detail17trampoline_kernelINS0_14default_configENS1_25partition_config_selectorILNS1_17partition_subalgoE5ElNS0_10empty_typeEbEEZZNS1_14partition_implILS5_5ELb0ES3_mN6hipcub16HIPCUB_304000_NS21CountingInputIteratorIllEEPS6_NSA_22TransformInputIteratorIb7NonZeroIfEPflEENS0_5tupleIJPlS6_EEENSJ_IJSD_SD_EEES6_SK_JS6_EEE10hipError_tPvRmT3_T4_T5_T6_T7_T9_mT8_P12ihipStream_tbDpT10_ENKUlT_T0_E_clISt17integral_constantIbLb0EES15_IbLb1EEEEDaS11_S12_EUlS11_E_NS1_11comp_targetILNS1_3genE4ELNS1_11target_archE910ELNS1_3gpuE8ELNS1_3repE0EEENS1_30default_config_static_selectorELNS0_4arch9wavefront6targetE0EEEvT1_
	.globl	_ZN7rocprim17ROCPRIM_400000_NS6detail17trampoline_kernelINS0_14default_configENS1_25partition_config_selectorILNS1_17partition_subalgoE5ElNS0_10empty_typeEbEEZZNS1_14partition_implILS5_5ELb0ES3_mN6hipcub16HIPCUB_304000_NS21CountingInputIteratorIllEEPS6_NSA_22TransformInputIteratorIb7NonZeroIfEPflEENS0_5tupleIJPlS6_EEENSJ_IJSD_SD_EEES6_SK_JS6_EEE10hipError_tPvRmT3_T4_T5_T6_T7_T9_mT8_P12ihipStream_tbDpT10_ENKUlT_T0_E_clISt17integral_constantIbLb0EES15_IbLb1EEEEDaS11_S12_EUlS11_E_NS1_11comp_targetILNS1_3genE4ELNS1_11target_archE910ELNS1_3gpuE8ELNS1_3repE0EEENS1_30default_config_static_selectorELNS0_4arch9wavefront6targetE0EEEvT1_
	.p2align	8
	.type	_ZN7rocprim17ROCPRIM_400000_NS6detail17trampoline_kernelINS0_14default_configENS1_25partition_config_selectorILNS1_17partition_subalgoE5ElNS0_10empty_typeEbEEZZNS1_14partition_implILS5_5ELb0ES3_mN6hipcub16HIPCUB_304000_NS21CountingInputIteratorIllEEPS6_NSA_22TransformInputIteratorIb7NonZeroIfEPflEENS0_5tupleIJPlS6_EEENSJ_IJSD_SD_EEES6_SK_JS6_EEE10hipError_tPvRmT3_T4_T5_T6_T7_T9_mT8_P12ihipStream_tbDpT10_ENKUlT_T0_E_clISt17integral_constantIbLb0EES15_IbLb1EEEEDaS11_S12_EUlS11_E_NS1_11comp_targetILNS1_3genE4ELNS1_11target_archE910ELNS1_3gpuE8ELNS1_3repE0EEENS1_30default_config_static_selectorELNS0_4arch9wavefront6targetE0EEEvT1_,@function
_ZN7rocprim17ROCPRIM_400000_NS6detail17trampoline_kernelINS0_14default_configENS1_25partition_config_selectorILNS1_17partition_subalgoE5ElNS0_10empty_typeEbEEZZNS1_14partition_implILS5_5ELb0ES3_mN6hipcub16HIPCUB_304000_NS21CountingInputIteratorIllEEPS6_NSA_22TransformInputIteratorIb7NonZeroIfEPflEENS0_5tupleIJPlS6_EEENSJ_IJSD_SD_EEES6_SK_JS6_EEE10hipError_tPvRmT3_T4_T5_T6_T7_T9_mT8_P12ihipStream_tbDpT10_ENKUlT_T0_E_clISt17integral_constantIbLb0EES15_IbLb1EEEEDaS11_S12_EUlS11_E_NS1_11comp_targetILNS1_3genE4ELNS1_11target_archE910ELNS1_3gpuE8ELNS1_3repE0EEENS1_30default_config_static_selectorELNS0_4arch9wavefront6targetE0EEEvT1_: ; @_ZN7rocprim17ROCPRIM_400000_NS6detail17trampoline_kernelINS0_14default_configENS1_25partition_config_selectorILNS1_17partition_subalgoE5ElNS0_10empty_typeEbEEZZNS1_14partition_implILS5_5ELb0ES3_mN6hipcub16HIPCUB_304000_NS21CountingInputIteratorIllEEPS6_NSA_22TransformInputIteratorIb7NonZeroIfEPflEENS0_5tupleIJPlS6_EEENSJ_IJSD_SD_EEES6_SK_JS6_EEE10hipError_tPvRmT3_T4_T5_T6_T7_T9_mT8_P12ihipStream_tbDpT10_ENKUlT_T0_E_clISt17integral_constantIbLb0EES15_IbLb1EEEEDaS11_S12_EUlS11_E_NS1_11comp_targetILNS1_3genE4ELNS1_11target_archE910ELNS1_3gpuE8ELNS1_3repE0EEENS1_30default_config_static_selectorELNS0_4arch9wavefront6targetE0EEEvT1_
; %bb.0:
	.section	.rodata,"a",@progbits
	.p2align	6, 0x0
	.amdhsa_kernel _ZN7rocprim17ROCPRIM_400000_NS6detail17trampoline_kernelINS0_14default_configENS1_25partition_config_selectorILNS1_17partition_subalgoE5ElNS0_10empty_typeEbEEZZNS1_14partition_implILS5_5ELb0ES3_mN6hipcub16HIPCUB_304000_NS21CountingInputIteratorIllEEPS6_NSA_22TransformInputIteratorIb7NonZeroIfEPflEENS0_5tupleIJPlS6_EEENSJ_IJSD_SD_EEES6_SK_JS6_EEE10hipError_tPvRmT3_T4_T5_T6_T7_T9_mT8_P12ihipStream_tbDpT10_ENKUlT_T0_E_clISt17integral_constantIbLb0EES15_IbLb1EEEEDaS11_S12_EUlS11_E_NS1_11comp_targetILNS1_3genE4ELNS1_11target_archE910ELNS1_3gpuE8ELNS1_3repE0EEENS1_30default_config_static_selectorELNS0_4arch9wavefront6targetE0EEEvT1_
		.amdhsa_group_segment_fixed_size 0
		.amdhsa_private_segment_fixed_size 0
		.amdhsa_kernarg_size 136
		.amdhsa_user_sgpr_count 15
		.amdhsa_user_sgpr_dispatch_ptr 0
		.amdhsa_user_sgpr_queue_ptr 0
		.amdhsa_user_sgpr_kernarg_segment_ptr 1
		.amdhsa_user_sgpr_dispatch_id 0
		.amdhsa_user_sgpr_private_segment_size 0
		.amdhsa_wavefront_size32 1
		.amdhsa_uses_dynamic_stack 0
		.amdhsa_enable_private_segment 0
		.amdhsa_system_sgpr_workgroup_id_x 1
		.amdhsa_system_sgpr_workgroup_id_y 0
		.amdhsa_system_sgpr_workgroup_id_z 0
		.amdhsa_system_sgpr_workgroup_info 0
		.amdhsa_system_vgpr_workitem_id 0
		.amdhsa_next_free_vgpr 1
		.amdhsa_next_free_sgpr 1
		.amdhsa_reserve_vcc 0
		.amdhsa_float_round_mode_32 0
		.amdhsa_float_round_mode_16_64 0
		.amdhsa_float_denorm_mode_32 3
		.amdhsa_float_denorm_mode_16_64 3
		.amdhsa_dx10_clamp 1
		.amdhsa_ieee_mode 1
		.amdhsa_fp16_overflow 0
		.amdhsa_workgroup_processor_mode 1
		.amdhsa_memory_ordered 1
		.amdhsa_forward_progress 0
		.amdhsa_shared_vgpr_count 0
		.amdhsa_exception_fp_ieee_invalid_op 0
		.amdhsa_exception_fp_denorm_src 0
		.amdhsa_exception_fp_ieee_div_zero 0
		.amdhsa_exception_fp_ieee_overflow 0
		.amdhsa_exception_fp_ieee_underflow 0
		.amdhsa_exception_fp_ieee_inexact 0
		.amdhsa_exception_int_div_zero 0
	.end_amdhsa_kernel
	.section	.text._ZN7rocprim17ROCPRIM_400000_NS6detail17trampoline_kernelINS0_14default_configENS1_25partition_config_selectorILNS1_17partition_subalgoE5ElNS0_10empty_typeEbEEZZNS1_14partition_implILS5_5ELb0ES3_mN6hipcub16HIPCUB_304000_NS21CountingInputIteratorIllEEPS6_NSA_22TransformInputIteratorIb7NonZeroIfEPflEENS0_5tupleIJPlS6_EEENSJ_IJSD_SD_EEES6_SK_JS6_EEE10hipError_tPvRmT3_T4_T5_T6_T7_T9_mT8_P12ihipStream_tbDpT10_ENKUlT_T0_E_clISt17integral_constantIbLb0EES15_IbLb1EEEEDaS11_S12_EUlS11_E_NS1_11comp_targetILNS1_3genE4ELNS1_11target_archE910ELNS1_3gpuE8ELNS1_3repE0EEENS1_30default_config_static_selectorELNS0_4arch9wavefront6targetE0EEEvT1_,"axG",@progbits,_ZN7rocprim17ROCPRIM_400000_NS6detail17trampoline_kernelINS0_14default_configENS1_25partition_config_selectorILNS1_17partition_subalgoE5ElNS0_10empty_typeEbEEZZNS1_14partition_implILS5_5ELb0ES3_mN6hipcub16HIPCUB_304000_NS21CountingInputIteratorIllEEPS6_NSA_22TransformInputIteratorIb7NonZeroIfEPflEENS0_5tupleIJPlS6_EEENSJ_IJSD_SD_EEES6_SK_JS6_EEE10hipError_tPvRmT3_T4_T5_T6_T7_T9_mT8_P12ihipStream_tbDpT10_ENKUlT_T0_E_clISt17integral_constantIbLb0EES15_IbLb1EEEEDaS11_S12_EUlS11_E_NS1_11comp_targetILNS1_3genE4ELNS1_11target_archE910ELNS1_3gpuE8ELNS1_3repE0EEENS1_30default_config_static_selectorELNS0_4arch9wavefront6targetE0EEEvT1_,comdat
.Lfunc_end279:
	.size	_ZN7rocprim17ROCPRIM_400000_NS6detail17trampoline_kernelINS0_14default_configENS1_25partition_config_selectorILNS1_17partition_subalgoE5ElNS0_10empty_typeEbEEZZNS1_14partition_implILS5_5ELb0ES3_mN6hipcub16HIPCUB_304000_NS21CountingInputIteratorIllEEPS6_NSA_22TransformInputIteratorIb7NonZeroIfEPflEENS0_5tupleIJPlS6_EEENSJ_IJSD_SD_EEES6_SK_JS6_EEE10hipError_tPvRmT3_T4_T5_T6_T7_T9_mT8_P12ihipStream_tbDpT10_ENKUlT_T0_E_clISt17integral_constantIbLb0EES15_IbLb1EEEEDaS11_S12_EUlS11_E_NS1_11comp_targetILNS1_3genE4ELNS1_11target_archE910ELNS1_3gpuE8ELNS1_3repE0EEENS1_30default_config_static_selectorELNS0_4arch9wavefront6targetE0EEEvT1_, .Lfunc_end279-_ZN7rocprim17ROCPRIM_400000_NS6detail17trampoline_kernelINS0_14default_configENS1_25partition_config_selectorILNS1_17partition_subalgoE5ElNS0_10empty_typeEbEEZZNS1_14partition_implILS5_5ELb0ES3_mN6hipcub16HIPCUB_304000_NS21CountingInputIteratorIllEEPS6_NSA_22TransformInputIteratorIb7NonZeroIfEPflEENS0_5tupleIJPlS6_EEENSJ_IJSD_SD_EEES6_SK_JS6_EEE10hipError_tPvRmT3_T4_T5_T6_T7_T9_mT8_P12ihipStream_tbDpT10_ENKUlT_T0_E_clISt17integral_constantIbLb0EES15_IbLb1EEEEDaS11_S12_EUlS11_E_NS1_11comp_targetILNS1_3genE4ELNS1_11target_archE910ELNS1_3gpuE8ELNS1_3repE0EEENS1_30default_config_static_selectorELNS0_4arch9wavefront6targetE0EEEvT1_
                                        ; -- End function
	.section	.AMDGPU.csdata,"",@progbits
; Kernel info:
; codeLenInByte = 0
; NumSgprs: 0
; NumVgprs: 0
; ScratchSize: 0
; MemoryBound: 0
; FloatMode: 240
; IeeeMode: 1
; LDSByteSize: 0 bytes/workgroup (compile time only)
; SGPRBlocks: 0
; VGPRBlocks: 0
; NumSGPRsForWavesPerEU: 1
; NumVGPRsForWavesPerEU: 1
; Occupancy: 15
; WaveLimiterHint : 0
; COMPUTE_PGM_RSRC2:SCRATCH_EN: 0
; COMPUTE_PGM_RSRC2:USER_SGPR: 15
; COMPUTE_PGM_RSRC2:TRAP_HANDLER: 0
; COMPUTE_PGM_RSRC2:TGID_X_EN: 1
; COMPUTE_PGM_RSRC2:TGID_Y_EN: 0
; COMPUTE_PGM_RSRC2:TGID_Z_EN: 0
; COMPUTE_PGM_RSRC2:TIDIG_COMP_CNT: 0
	.section	.text._ZN7rocprim17ROCPRIM_400000_NS6detail17trampoline_kernelINS0_14default_configENS1_25partition_config_selectorILNS1_17partition_subalgoE5ElNS0_10empty_typeEbEEZZNS1_14partition_implILS5_5ELb0ES3_mN6hipcub16HIPCUB_304000_NS21CountingInputIteratorIllEEPS6_NSA_22TransformInputIteratorIb7NonZeroIfEPflEENS0_5tupleIJPlS6_EEENSJ_IJSD_SD_EEES6_SK_JS6_EEE10hipError_tPvRmT3_T4_T5_T6_T7_T9_mT8_P12ihipStream_tbDpT10_ENKUlT_T0_E_clISt17integral_constantIbLb0EES15_IbLb1EEEEDaS11_S12_EUlS11_E_NS1_11comp_targetILNS1_3genE3ELNS1_11target_archE908ELNS1_3gpuE7ELNS1_3repE0EEENS1_30default_config_static_selectorELNS0_4arch9wavefront6targetE0EEEvT1_,"axG",@progbits,_ZN7rocprim17ROCPRIM_400000_NS6detail17trampoline_kernelINS0_14default_configENS1_25partition_config_selectorILNS1_17partition_subalgoE5ElNS0_10empty_typeEbEEZZNS1_14partition_implILS5_5ELb0ES3_mN6hipcub16HIPCUB_304000_NS21CountingInputIteratorIllEEPS6_NSA_22TransformInputIteratorIb7NonZeroIfEPflEENS0_5tupleIJPlS6_EEENSJ_IJSD_SD_EEES6_SK_JS6_EEE10hipError_tPvRmT3_T4_T5_T6_T7_T9_mT8_P12ihipStream_tbDpT10_ENKUlT_T0_E_clISt17integral_constantIbLb0EES15_IbLb1EEEEDaS11_S12_EUlS11_E_NS1_11comp_targetILNS1_3genE3ELNS1_11target_archE908ELNS1_3gpuE7ELNS1_3repE0EEENS1_30default_config_static_selectorELNS0_4arch9wavefront6targetE0EEEvT1_,comdat
	.protected	_ZN7rocprim17ROCPRIM_400000_NS6detail17trampoline_kernelINS0_14default_configENS1_25partition_config_selectorILNS1_17partition_subalgoE5ElNS0_10empty_typeEbEEZZNS1_14partition_implILS5_5ELb0ES3_mN6hipcub16HIPCUB_304000_NS21CountingInputIteratorIllEEPS6_NSA_22TransformInputIteratorIb7NonZeroIfEPflEENS0_5tupleIJPlS6_EEENSJ_IJSD_SD_EEES6_SK_JS6_EEE10hipError_tPvRmT3_T4_T5_T6_T7_T9_mT8_P12ihipStream_tbDpT10_ENKUlT_T0_E_clISt17integral_constantIbLb0EES15_IbLb1EEEEDaS11_S12_EUlS11_E_NS1_11comp_targetILNS1_3genE3ELNS1_11target_archE908ELNS1_3gpuE7ELNS1_3repE0EEENS1_30default_config_static_selectorELNS0_4arch9wavefront6targetE0EEEvT1_ ; -- Begin function _ZN7rocprim17ROCPRIM_400000_NS6detail17trampoline_kernelINS0_14default_configENS1_25partition_config_selectorILNS1_17partition_subalgoE5ElNS0_10empty_typeEbEEZZNS1_14partition_implILS5_5ELb0ES3_mN6hipcub16HIPCUB_304000_NS21CountingInputIteratorIllEEPS6_NSA_22TransformInputIteratorIb7NonZeroIfEPflEENS0_5tupleIJPlS6_EEENSJ_IJSD_SD_EEES6_SK_JS6_EEE10hipError_tPvRmT3_T4_T5_T6_T7_T9_mT8_P12ihipStream_tbDpT10_ENKUlT_T0_E_clISt17integral_constantIbLb0EES15_IbLb1EEEEDaS11_S12_EUlS11_E_NS1_11comp_targetILNS1_3genE3ELNS1_11target_archE908ELNS1_3gpuE7ELNS1_3repE0EEENS1_30default_config_static_selectorELNS0_4arch9wavefront6targetE0EEEvT1_
	.globl	_ZN7rocprim17ROCPRIM_400000_NS6detail17trampoline_kernelINS0_14default_configENS1_25partition_config_selectorILNS1_17partition_subalgoE5ElNS0_10empty_typeEbEEZZNS1_14partition_implILS5_5ELb0ES3_mN6hipcub16HIPCUB_304000_NS21CountingInputIteratorIllEEPS6_NSA_22TransformInputIteratorIb7NonZeroIfEPflEENS0_5tupleIJPlS6_EEENSJ_IJSD_SD_EEES6_SK_JS6_EEE10hipError_tPvRmT3_T4_T5_T6_T7_T9_mT8_P12ihipStream_tbDpT10_ENKUlT_T0_E_clISt17integral_constantIbLb0EES15_IbLb1EEEEDaS11_S12_EUlS11_E_NS1_11comp_targetILNS1_3genE3ELNS1_11target_archE908ELNS1_3gpuE7ELNS1_3repE0EEENS1_30default_config_static_selectorELNS0_4arch9wavefront6targetE0EEEvT1_
	.p2align	8
	.type	_ZN7rocprim17ROCPRIM_400000_NS6detail17trampoline_kernelINS0_14default_configENS1_25partition_config_selectorILNS1_17partition_subalgoE5ElNS0_10empty_typeEbEEZZNS1_14partition_implILS5_5ELb0ES3_mN6hipcub16HIPCUB_304000_NS21CountingInputIteratorIllEEPS6_NSA_22TransformInputIteratorIb7NonZeroIfEPflEENS0_5tupleIJPlS6_EEENSJ_IJSD_SD_EEES6_SK_JS6_EEE10hipError_tPvRmT3_T4_T5_T6_T7_T9_mT8_P12ihipStream_tbDpT10_ENKUlT_T0_E_clISt17integral_constantIbLb0EES15_IbLb1EEEEDaS11_S12_EUlS11_E_NS1_11comp_targetILNS1_3genE3ELNS1_11target_archE908ELNS1_3gpuE7ELNS1_3repE0EEENS1_30default_config_static_selectorELNS0_4arch9wavefront6targetE0EEEvT1_,@function
_ZN7rocprim17ROCPRIM_400000_NS6detail17trampoline_kernelINS0_14default_configENS1_25partition_config_selectorILNS1_17partition_subalgoE5ElNS0_10empty_typeEbEEZZNS1_14partition_implILS5_5ELb0ES3_mN6hipcub16HIPCUB_304000_NS21CountingInputIteratorIllEEPS6_NSA_22TransformInputIteratorIb7NonZeroIfEPflEENS0_5tupleIJPlS6_EEENSJ_IJSD_SD_EEES6_SK_JS6_EEE10hipError_tPvRmT3_T4_T5_T6_T7_T9_mT8_P12ihipStream_tbDpT10_ENKUlT_T0_E_clISt17integral_constantIbLb0EES15_IbLb1EEEEDaS11_S12_EUlS11_E_NS1_11comp_targetILNS1_3genE3ELNS1_11target_archE908ELNS1_3gpuE7ELNS1_3repE0EEENS1_30default_config_static_selectorELNS0_4arch9wavefront6targetE0EEEvT1_: ; @_ZN7rocprim17ROCPRIM_400000_NS6detail17trampoline_kernelINS0_14default_configENS1_25partition_config_selectorILNS1_17partition_subalgoE5ElNS0_10empty_typeEbEEZZNS1_14partition_implILS5_5ELb0ES3_mN6hipcub16HIPCUB_304000_NS21CountingInputIteratorIllEEPS6_NSA_22TransformInputIteratorIb7NonZeroIfEPflEENS0_5tupleIJPlS6_EEENSJ_IJSD_SD_EEES6_SK_JS6_EEE10hipError_tPvRmT3_T4_T5_T6_T7_T9_mT8_P12ihipStream_tbDpT10_ENKUlT_T0_E_clISt17integral_constantIbLb0EES15_IbLb1EEEEDaS11_S12_EUlS11_E_NS1_11comp_targetILNS1_3genE3ELNS1_11target_archE908ELNS1_3gpuE7ELNS1_3repE0EEENS1_30default_config_static_selectorELNS0_4arch9wavefront6targetE0EEEvT1_
; %bb.0:
	.section	.rodata,"a",@progbits
	.p2align	6, 0x0
	.amdhsa_kernel _ZN7rocprim17ROCPRIM_400000_NS6detail17trampoline_kernelINS0_14default_configENS1_25partition_config_selectorILNS1_17partition_subalgoE5ElNS0_10empty_typeEbEEZZNS1_14partition_implILS5_5ELb0ES3_mN6hipcub16HIPCUB_304000_NS21CountingInputIteratorIllEEPS6_NSA_22TransformInputIteratorIb7NonZeroIfEPflEENS0_5tupleIJPlS6_EEENSJ_IJSD_SD_EEES6_SK_JS6_EEE10hipError_tPvRmT3_T4_T5_T6_T7_T9_mT8_P12ihipStream_tbDpT10_ENKUlT_T0_E_clISt17integral_constantIbLb0EES15_IbLb1EEEEDaS11_S12_EUlS11_E_NS1_11comp_targetILNS1_3genE3ELNS1_11target_archE908ELNS1_3gpuE7ELNS1_3repE0EEENS1_30default_config_static_selectorELNS0_4arch9wavefront6targetE0EEEvT1_
		.amdhsa_group_segment_fixed_size 0
		.amdhsa_private_segment_fixed_size 0
		.amdhsa_kernarg_size 136
		.amdhsa_user_sgpr_count 15
		.amdhsa_user_sgpr_dispatch_ptr 0
		.amdhsa_user_sgpr_queue_ptr 0
		.amdhsa_user_sgpr_kernarg_segment_ptr 1
		.amdhsa_user_sgpr_dispatch_id 0
		.amdhsa_user_sgpr_private_segment_size 0
		.amdhsa_wavefront_size32 1
		.amdhsa_uses_dynamic_stack 0
		.amdhsa_enable_private_segment 0
		.amdhsa_system_sgpr_workgroup_id_x 1
		.amdhsa_system_sgpr_workgroup_id_y 0
		.amdhsa_system_sgpr_workgroup_id_z 0
		.amdhsa_system_sgpr_workgroup_info 0
		.amdhsa_system_vgpr_workitem_id 0
		.amdhsa_next_free_vgpr 1
		.amdhsa_next_free_sgpr 1
		.amdhsa_reserve_vcc 0
		.amdhsa_float_round_mode_32 0
		.amdhsa_float_round_mode_16_64 0
		.amdhsa_float_denorm_mode_32 3
		.amdhsa_float_denorm_mode_16_64 3
		.amdhsa_dx10_clamp 1
		.amdhsa_ieee_mode 1
		.amdhsa_fp16_overflow 0
		.amdhsa_workgroup_processor_mode 1
		.amdhsa_memory_ordered 1
		.amdhsa_forward_progress 0
		.amdhsa_shared_vgpr_count 0
		.amdhsa_exception_fp_ieee_invalid_op 0
		.amdhsa_exception_fp_denorm_src 0
		.amdhsa_exception_fp_ieee_div_zero 0
		.amdhsa_exception_fp_ieee_overflow 0
		.amdhsa_exception_fp_ieee_underflow 0
		.amdhsa_exception_fp_ieee_inexact 0
		.amdhsa_exception_int_div_zero 0
	.end_amdhsa_kernel
	.section	.text._ZN7rocprim17ROCPRIM_400000_NS6detail17trampoline_kernelINS0_14default_configENS1_25partition_config_selectorILNS1_17partition_subalgoE5ElNS0_10empty_typeEbEEZZNS1_14partition_implILS5_5ELb0ES3_mN6hipcub16HIPCUB_304000_NS21CountingInputIteratorIllEEPS6_NSA_22TransformInputIteratorIb7NonZeroIfEPflEENS0_5tupleIJPlS6_EEENSJ_IJSD_SD_EEES6_SK_JS6_EEE10hipError_tPvRmT3_T4_T5_T6_T7_T9_mT8_P12ihipStream_tbDpT10_ENKUlT_T0_E_clISt17integral_constantIbLb0EES15_IbLb1EEEEDaS11_S12_EUlS11_E_NS1_11comp_targetILNS1_3genE3ELNS1_11target_archE908ELNS1_3gpuE7ELNS1_3repE0EEENS1_30default_config_static_selectorELNS0_4arch9wavefront6targetE0EEEvT1_,"axG",@progbits,_ZN7rocprim17ROCPRIM_400000_NS6detail17trampoline_kernelINS0_14default_configENS1_25partition_config_selectorILNS1_17partition_subalgoE5ElNS0_10empty_typeEbEEZZNS1_14partition_implILS5_5ELb0ES3_mN6hipcub16HIPCUB_304000_NS21CountingInputIteratorIllEEPS6_NSA_22TransformInputIteratorIb7NonZeroIfEPflEENS0_5tupleIJPlS6_EEENSJ_IJSD_SD_EEES6_SK_JS6_EEE10hipError_tPvRmT3_T4_T5_T6_T7_T9_mT8_P12ihipStream_tbDpT10_ENKUlT_T0_E_clISt17integral_constantIbLb0EES15_IbLb1EEEEDaS11_S12_EUlS11_E_NS1_11comp_targetILNS1_3genE3ELNS1_11target_archE908ELNS1_3gpuE7ELNS1_3repE0EEENS1_30default_config_static_selectorELNS0_4arch9wavefront6targetE0EEEvT1_,comdat
.Lfunc_end280:
	.size	_ZN7rocprim17ROCPRIM_400000_NS6detail17trampoline_kernelINS0_14default_configENS1_25partition_config_selectorILNS1_17partition_subalgoE5ElNS0_10empty_typeEbEEZZNS1_14partition_implILS5_5ELb0ES3_mN6hipcub16HIPCUB_304000_NS21CountingInputIteratorIllEEPS6_NSA_22TransformInputIteratorIb7NonZeroIfEPflEENS0_5tupleIJPlS6_EEENSJ_IJSD_SD_EEES6_SK_JS6_EEE10hipError_tPvRmT3_T4_T5_T6_T7_T9_mT8_P12ihipStream_tbDpT10_ENKUlT_T0_E_clISt17integral_constantIbLb0EES15_IbLb1EEEEDaS11_S12_EUlS11_E_NS1_11comp_targetILNS1_3genE3ELNS1_11target_archE908ELNS1_3gpuE7ELNS1_3repE0EEENS1_30default_config_static_selectorELNS0_4arch9wavefront6targetE0EEEvT1_, .Lfunc_end280-_ZN7rocprim17ROCPRIM_400000_NS6detail17trampoline_kernelINS0_14default_configENS1_25partition_config_selectorILNS1_17partition_subalgoE5ElNS0_10empty_typeEbEEZZNS1_14partition_implILS5_5ELb0ES3_mN6hipcub16HIPCUB_304000_NS21CountingInputIteratorIllEEPS6_NSA_22TransformInputIteratorIb7NonZeroIfEPflEENS0_5tupleIJPlS6_EEENSJ_IJSD_SD_EEES6_SK_JS6_EEE10hipError_tPvRmT3_T4_T5_T6_T7_T9_mT8_P12ihipStream_tbDpT10_ENKUlT_T0_E_clISt17integral_constantIbLb0EES15_IbLb1EEEEDaS11_S12_EUlS11_E_NS1_11comp_targetILNS1_3genE3ELNS1_11target_archE908ELNS1_3gpuE7ELNS1_3repE0EEENS1_30default_config_static_selectorELNS0_4arch9wavefront6targetE0EEEvT1_
                                        ; -- End function
	.section	.AMDGPU.csdata,"",@progbits
; Kernel info:
; codeLenInByte = 0
; NumSgprs: 0
; NumVgprs: 0
; ScratchSize: 0
; MemoryBound: 0
; FloatMode: 240
; IeeeMode: 1
; LDSByteSize: 0 bytes/workgroup (compile time only)
; SGPRBlocks: 0
; VGPRBlocks: 0
; NumSGPRsForWavesPerEU: 1
; NumVGPRsForWavesPerEU: 1
; Occupancy: 16
; WaveLimiterHint : 0
; COMPUTE_PGM_RSRC2:SCRATCH_EN: 0
; COMPUTE_PGM_RSRC2:USER_SGPR: 15
; COMPUTE_PGM_RSRC2:TRAP_HANDLER: 0
; COMPUTE_PGM_RSRC2:TGID_X_EN: 1
; COMPUTE_PGM_RSRC2:TGID_Y_EN: 0
; COMPUTE_PGM_RSRC2:TGID_Z_EN: 0
; COMPUTE_PGM_RSRC2:TIDIG_COMP_CNT: 0
	.section	.text._ZN7rocprim17ROCPRIM_400000_NS6detail17trampoline_kernelINS0_14default_configENS1_25partition_config_selectorILNS1_17partition_subalgoE5ElNS0_10empty_typeEbEEZZNS1_14partition_implILS5_5ELb0ES3_mN6hipcub16HIPCUB_304000_NS21CountingInputIteratorIllEEPS6_NSA_22TransformInputIteratorIb7NonZeroIfEPflEENS0_5tupleIJPlS6_EEENSJ_IJSD_SD_EEES6_SK_JS6_EEE10hipError_tPvRmT3_T4_T5_T6_T7_T9_mT8_P12ihipStream_tbDpT10_ENKUlT_T0_E_clISt17integral_constantIbLb0EES15_IbLb1EEEEDaS11_S12_EUlS11_E_NS1_11comp_targetILNS1_3genE2ELNS1_11target_archE906ELNS1_3gpuE6ELNS1_3repE0EEENS1_30default_config_static_selectorELNS0_4arch9wavefront6targetE0EEEvT1_,"axG",@progbits,_ZN7rocprim17ROCPRIM_400000_NS6detail17trampoline_kernelINS0_14default_configENS1_25partition_config_selectorILNS1_17partition_subalgoE5ElNS0_10empty_typeEbEEZZNS1_14partition_implILS5_5ELb0ES3_mN6hipcub16HIPCUB_304000_NS21CountingInputIteratorIllEEPS6_NSA_22TransformInputIteratorIb7NonZeroIfEPflEENS0_5tupleIJPlS6_EEENSJ_IJSD_SD_EEES6_SK_JS6_EEE10hipError_tPvRmT3_T4_T5_T6_T7_T9_mT8_P12ihipStream_tbDpT10_ENKUlT_T0_E_clISt17integral_constantIbLb0EES15_IbLb1EEEEDaS11_S12_EUlS11_E_NS1_11comp_targetILNS1_3genE2ELNS1_11target_archE906ELNS1_3gpuE6ELNS1_3repE0EEENS1_30default_config_static_selectorELNS0_4arch9wavefront6targetE0EEEvT1_,comdat
	.protected	_ZN7rocprim17ROCPRIM_400000_NS6detail17trampoline_kernelINS0_14default_configENS1_25partition_config_selectorILNS1_17partition_subalgoE5ElNS0_10empty_typeEbEEZZNS1_14partition_implILS5_5ELb0ES3_mN6hipcub16HIPCUB_304000_NS21CountingInputIteratorIllEEPS6_NSA_22TransformInputIteratorIb7NonZeroIfEPflEENS0_5tupleIJPlS6_EEENSJ_IJSD_SD_EEES6_SK_JS6_EEE10hipError_tPvRmT3_T4_T5_T6_T7_T9_mT8_P12ihipStream_tbDpT10_ENKUlT_T0_E_clISt17integral_constantIbLb0EES15_IbLb1EEEEDaS11_S12_EUlS11_E_NS1_11comp_targetILNS1_3genE2ELNS1_11target_archE906ELNS1_3gpuE6ELNS1_3repE0EEENS1_30default_config_static_selectorELNS0_4arch9wavefront6targetE0EEEvT1_ ; -- Begin function _ZN7rocprim17ROCPRIM_400000_NS6detail17trampoline_kernelINS0_14default_configENS1_25partition_config_selectorILNS1_17partition_subalgoE5ElNS0_10empty_typeEbEEZZNS1_14partition_implILS5_5ELb0ES3_mN6hipcub16HIPCUB_304000_NS21CountingInputIteratorIllEEPS6_NSA_22TransformInputIteratorIb7NonZeroIfEPflEENS0_5tupleIJPlS6_EEENSJ_IJSD_SD_EEES6_SK_JS6_EEE10hipError_tPvRmT3_T4_T5_T6_T7_T9_mT8_P12ihipStream_tbDpT10_ENKUlT_T0_E_clISt17integral_constantIbLb0EES15_IbLb1EEEEDaS11_S12_EUlS11_E_NS1_11comp_targetILNS1_3genE2ELNS1_11target_archE906ELNS1_3gpuE6ELNS1_3repE0EEENS1_30default_config_static_selectorELNS0_4arch9wavefront6targetE0EEEvT1_
	.globl	_ZN7rocprim17ROCPRIM_400000_NS6detail17trampoline_kernelINS0_14default_configENS1_25partition_config_selectorILNS1_17partition_subalgoE5ElNS0_10empty_typeEbEEZZNS1_14partition_implILS5_5ELb0ES3_mN6hipcub16HIPCUB_304000_NS21CountingInputIteratorIllEEPS6_NSA_22TransformInputIteratorIb7NonZeroIfEPflEENS0_5tupleIJPlS6_EEENSJ_IJSD_SD_EEES6_SK_JS6_EEE10hipError_tPvRmT3_T4_T5_T6_T7_T9_mT8_P12ihipStream_tbDpT10_ENKUlT_T0_E_clISt17integral_constantIbLb0EES15_IbLb1EEEEDaS11_S12_EUlS11_E_NS1_11comp_targetILNS1_3genE2ELNS1_11target_archE906ELNS1_3gpuE6ELNS1_3repE0EEENS1_30default_config_static_selectorELNS0_4arch9wavefront6targetE0EEEvT1_
	.p2align	8
	.type	_ZN7rocprim17ROCPRIM_400000_NS6detail17trampoline_kernelINS0_14default_configENS1_25partition_config_selectorILNS1_17partition_subalgoE5ElNS0_10empty_typeEbEEZZNS1_14partition_implILS5_5ELb0ES3_mN6hipcub16HIPCUB_304000_NS21CountingInputIteratorIllEEPS6_NSA_22TransformInputIteratorIb7NonZeroIfEPflEENS0_5tupleIJPlS6_EEENSJ_IJSD_SD_EEES6_SK_JS6_EEE10hipError_tPvRmT3_T4_T5_T6_T7_T9_mT8_P12ihipStream_tbDpT10_ENKUlT_T0_E_clISt17integral_constantIbLb0EES15_IbLb1EEEEDaS11_S12_EUlS11_E_NS1_11comp_targetILNS1_3genE2ELNS1_11target_archE906ELNS1_3gpuE6ELNS1_3repE0EEENS1_30default_config_static_selectorELNS0_4arch9wavefront6targetE0EEEvT1_,@function
_ZN7rocprim17ROCPRIM_400000_NS6detail17trampoline_kernelINS0_14default_configENS1_25partition_config_selectorILNS1_17partition_subalgoE5ElNS0_10empty_typeEbEEZZNS1_14partition_implILS5_5ELb0ES3_mN6hipcub16HIPCUB_304000_NS21CountingInputIteratorIllEEPS6_NSA_22TransformInputIteratorIb7NonZeroIfEPflEENS0_5tupleIJPlS6_EEENSJ_IJSD_SD_EEES6_SK_JS6_EEE10hipError_tPvRmT3_T4_T5_T6_T7_T9_mT8_P12ihipStream_tbDpT10_ENKUlT_T0_E_clISt17integral_constantIbLb0EES15_IbLb1EEEEDaS11_S12_EUlS11_E_NS1_11comp_targetILNS1_3genE2ELNS1_11target_archE906ELNS1_3gpuE6ELNS1_3repE0EEENS1_30default_config_static_selectorELNS0_4arch9wavefront6targetE0EEEvT1_: ; @_ZN7rocprim17ROCPRIM_400000_NS6detail17trampoline_kernelINS0_14default_configENS1_25partition_config_selectorILNS1_17partition_subalgoE5ElNS0_10empty_typeEbEEZZNS1_14partition_implILS5_5ELb0ES3_mN6hipcub16HIPCUB_304000_NS21CountingInputIteratorIllEEPS6_NSA_22TransformInputIteratorIb7NonZeroIfEPflEENS0_5tupleIJPlS6_EEENSJ_IJSD_SD_EEES6_SK_JS6_EEE10hipError_tPvRmT3_T4_T5_T6_T7_T9_mT8_P12ihipStream_tbDpT10_ENKUlT_T0_E_clISt17integral_constantIbLb0EES15_IbLb1EEEEDaS11_S12_EUlS11_E_NS1_11comp_targetILNS1_3genE2ELNS1_11target_archE906ELNS1_3gpuE6ELNS1_3repE0EEENS1_30default_config_static_selectorELNS0_4arch9wavefront6targetE0EEEvT1_
; %bb.0:
	.section	.rodata,"a",@progbits
	.p2align	6, 0x0
	.amdhsa_kernel _ZN7rocprim17ROCPRIM_400000_NS6detail17trampoline_kernelINS0_14default_configENS1_25partition_config_selectorILNS1_17partition_subalgoE5ElNS0_10empty_typeEbEEZZNS1_14partition_implILS5_5ELb0ES3_mN6hipcub16HIPCUB_304000_NS21CountingInputIteratorIllEEPS6_NSA_22TransformInputIteratorIb7NonZeroIfEPflEENS0_5tupleIJPlS6_EEENSJ_IJSD_SD_EEES6_SK_JS6_EEE10hipError_tPvRmT3_T4_T5_T6_T7_T9_mT8_P12ihipStream_tbDpT10_ENKUlT_T0_E_clISt17integral_constantIbLb0EES15_IbLb1EEEEDaS11_S12_EUlS11_E_NS1_11comp_targetILNS1_3genE2ELNS1_11target_archE906ELNS1_3gpuE6ELNS1_3repE0EEENS1_30default_config_static_selectorELNS0_4arch9wavefront6targetE0EEEvT1_
		.amdhsa_group_segment_fixed_size 0
		.amdhsa_private_segment_fixed_size 0
		.amdhsa_kernarg_size 136
		.amdhsa_user_sgpr_count 15
		.amdhsa_user_sgpr_dispatch_ptr 0
		.amdhsa_user_sgpr_queue_ptr 0
		.amdhsa_user_sgpr_kernarg_segment_ptr 1
		.amdhsa_user_sgpr_dispatch_id 0
		.amdhsa_user_sgpr_private_segment_size 0
		.amdhsa_wavefront_size32 1
		.amdhsa_uses_dynamic_stack 0
		.amdhsa_enable_private_segment 0
		.amdhsa_system_sgpr_workgroup_id_x 1
		.amdhsa_system_sgpr_workgroup_id_y 0
		.amdhsa_system_sgpr_workgroup_id_z 0
		.amdhsa_system_sgpr_workgroup_info 0
		.amdhsa_system_vgpr_workitem_id 0
		.amdhsa_next_free_vgpr 1
		.amdhsa_next_free_sgpr 1
		.amdhsa_reserve_vcc 0
		.amdhsa_float_round_mode_32 0
		.amdhsa_float_round_mode_16_64 0
		.amdhsa_float_denorm_mode_32 3
		.amdhsa_float_denorm_mode_16_64 3
		.amdhsa_dx10_clamp 1
		.amdhsa_ieee_mode 1
		.amdhsa_fp16_overflow 0
		.amdhsa_workgroup_processor_mode 1
		.amdhsa_memory_ordered 1
		.amdhsa_forward_progress 0
		.amdhsa_shared_vgpr_count 0
		.amdhsa_exception_fp_ieee_invalid_op 0
		.amdhsa_exception_fp_denorm_src 0
		.amdhsa_exception_fp_ieee_div_zero 0
		.amdhsa_exception_fp_ieee_overflow 0
		.amdhsa_exception_fp_ieee_underflow 0
		.amdhsa_exception_fp_ieee_inexact 0
		.amdhsa_exception_int_div_zero 0
	.end_amdhsa_kernel
	.section	.text._ZN7rocprim17ROCPRIM_400000_NS6detail17trampoline_kernelINS0_14default_configENS1_25partition_config_selectorILNS1_17partition_subalgoE5ElNS0_10empty_typeEbEEZZNS1_14partition_implILS5_5ELb0ES3_mN6hipcub16HIPCUB_304000_NS21CountingInputIteratorIllEEPS6_NSA_22TransformInputIteratorIb7NonZeroIfEPflEENS0_5tupleIJPlS6_EEENSJ_IJSD_SD_EEES6_SK_JS6_EEE10hipError_tPvRmT3_T4_T5_T6_T7_T9_mT8_P12ihipStream_tbDpT10_ENKUlT_T0_E_clISt17integral_constantIbLb0EES15_IbLb1EEEEDaS11_S12_EUlS11_E_NS1_11comp_targetILNS1_3genE2ELNS1_11target_archE906ELNS1_3gpuE6ELNS1_3repE0EEENS1_30default_config_static_selectorELNS0_4arch9wavefront6targetE0EEEvT1_,"axG",@progbits,_ZN7rocprim17ROCPRIM_400000_NS6detail17trampoline_kernelINS0_14default_configENS1_25partition_config_selectorILNS1_17partition_subalgoE5ElNS0_10empty_typeEbEEZZNS1_14partition_implILS5_5ELb0ES3_mN6hipcub16HIPCUB_304000_NS21CountingInputIteratorIllEEPS6_NSA_22TransformInputIteratorIb7NonZeroIfEPflEENS0_5tupleIJPlS6_EEENSJ_IJSD_SD_EEES6_SK_JS6_EEE10hipError_tPvRmT3_T4_T5_T6_T7_T9_mT8_P12ihipStream_tbDpT10_ENKUlT_T0_E_clISt17integral_constantIbLb0EES15_IbLb1EEEEDaS11_S12_EUlS11_E_NS1_11comp_targetILNS1_3genE2ELNS1_11target_archE906ELNS1_3gpuE6ELNS1_3repE0EEENS1_30default_config_static_selectorELNS0_4arch9wavefront6targetE0EEEvT1_,comdat
.Lfunc_end281:
	.size	_ZN7rocprim17ROCPRIM_400000_NS6detail17trampoline_kernelINS0_14default_configENS1_25partition_config_selectorILNS1_17partition_subalgoE5ElNS0_10empty_typeEbEEZZNS1_14partition_implILS5_5ELb0ES3_mN6hipcub16HIPCUB_304000_NS21CountingInputIteratorIllEEPS6_NSA_22TransformInputIteratorIb7NonZeroIfEPflEENS0_5tupleIJPlS6_EEENSJ_IJSD_SD_EEES6_SK_JS6_EEE10hipError_tPvRmT3_T4_T5_T6_T7_T9_mT8_P12ihipStream_tbDpT10_ENKUlT_T0_E_clISt17integral_constantIbLb0EES15_IbLb1EEEEDaS11_S12_EUlS11_E_NS1_11comp_targetILNS1_3genE2ELNS1_11target_archE906ELNS1_3gpuE6ELNS1_3repE0EEENS1_30default_config_static_selectorELNS0_4arch9wavefront6targetE0EEEvT1_, .Lfunc_end281-_ZN7rocprim17ROCPRIM_400000_NS6detail17trampoline_kernelINS0_14default_configENS1_25partition_config_selectorILNS1_17partition_subalgoE5ElNS0_10empty_typeEbEEZZNS1_14partition_implILS5_5ELb0ES3_mN6hipcub16HIPCUB_304000_NS21CountingInputIteratorIllEEPS6_NSA_22TransformInputIteratorIb7NonZeroIfEPflEENS0_5tupleIJPlS6_EEENSJ_IJSD_SD_EEES6_SK_JS6_EEE10hipError_tPvRmT3_T4_T5_T6_T7_T9_mT8_P12ihipStream_tbDpT10_ENKUlT_T0_E_clISt17integral_constantIbLb0EES15_IbLb1EEEEDaS11_S12_EUlS11_E_NS1_11comp_targetILNS1_3genE2ELNS1_11target_archE906ELNS1_3gpuE6ELNS1_3repE0EEENS1_30default_config_static_selectorELNS0_4arch9wavefront6targetE0EEEvT1_
                                        ; -- End function
	.section	.AMDGPU.csdata,"",@progbits
; Kernel info:
; codeLenInByte = 0
; NumSgprs: 0
; NumVgprs: 0
; ScratchSize: 0
; MemoryBound: 0
; FloatMode: 240
; IeeeMode: 1
; LDSByteSize: 0 bytes/workgroup (compile time only)
; SGPRBlocks: 0
; VGPRBlocks: 0
; NumSGPRsForWavesPerEU: 1
; NumVGPRsForWavesPerEU: 1
; Occupancy: 16
; WaveLimiterHint : 0
; COMPUTE_PGM_RSRC2:SCRATCH_EN: 0
; COMPUTE_PGM_RSRC2:USER_SGPR: 15
; COMPUTE_PGM_RSRC2:TRAP_HANDLER: 0
; COMPUTE_PGM_RSRC2:TGID_X_EN: 1
; COMPUTE_PGM_RSRC2:TGID_Y_EN: 0
; COMPUTE_PGM_RSRC2:TGID_Z_EN: 0
; COMPUTE_PGM_RSRC2:TIDIG_COMP_CNT: 0
	.section	.text._ZN7rocprim17ROCPRIM_400000_NS6detail17trampoline_kernelINS0_14default_configENS1_25partition_config_selectorILNS1_17partition_subalgoE5ElNS0_10empty_typeEbEEZZNS1_14partition_implILS5_5ELb0ES3_mN6hipcub16HIPCUB_304000_NS21CountingInputIteratorIllEEPS6_NSA_22TransformInputIteratorIb7NonZeroIfEPflEENS0_5tupleIJPlS6_EEENSJ_IJSD_SD_EEES6_SK_JS6_EEE10hipError_tPvRmT3_T4_T5_T6_T7_T9_mT8_P12ihipStream_tbDpT10_ENKUlT_T0_E_clISt17integral_constantIbLb0EES15_IbLb1EEEEDaS11_S12_EUlS11_E_NS1_11comp_targetILNS1_3genE10ELNS1_11target_archE1200ELNS1_3gpuE4ELNS1_3repE0EEENS1_30default_config_static_selectorELNS0_4arch9wavefront6targetE0EEEvT1_,"axG",@progbits,_ZN7rocprim17ROCPRIM_400000_NS6detail17trampoline_kernelINS0_14default_configENS1_25partition_config_selectorILNS1_17partition_subalgoE5ElNS0_10empty_typeEbEEZZNS1_14partition_implILS5_5ELb0ES3_mN6hipcub16HIPCUB_304000_NS21CountingInputIteratorIllEEPS6_NSA_22TransformInputIteratorIb7NonZeroIfEPflEENS0_5tupleIJPlS6_EEENSJ_IJSD_SD_EEES6_SK_JS6_EEE10hipError_tPvRmT3_T4_T5_T6_T7_T9_mT8_P12ihipStream_tbDpT10_ENKUlT_T0_E_clISt17integral_constantIbLb0EES15_IbLb1EEEEDaS11_S12_EUlS11_E_NS1_11comp_targetILNS1_3genE10ELNS1_11target_archE1200ELNS1_3gpuE4ELNS1_3repE0EEENS1_30default_config_static_selectorELNS0_4arch9wavefront6targetE0EEEvT1_,comdat
	.protected	_ZN7rocprim17ROCPRIM_400000_NS6detail17trampoline_kernelINS0_14default_configENS1_25partition_config_selectorILNS1_17partition_subalgoE5ElNS0_10empty_typeEbEEZZNS1_14partition_implILS5_5ELb0ES3_mN6hipcub16HIPCUB_304000_NS21CountingInputIteratorIllEEPS6_NSA_22TransformInputIteratorIb7NonZeroIfEPflEENS0_5tupleIJPlS6_EEENSJ_IJSD_SD_EEES6_SK_JS6_EEE10hipError_tPvRmT3_T4_T5_T6_T7_T9_mT8_P12ihipStream_tbDpT10_ENKUlT_T0_E_clISt17integral_constantIbLb0EES15_IbLb1EEEEDaS11_S12_EUlS11_E_NS1_11comp_targetILNS1_3genE10ELNS1_11target_archE1200ELNS1_3gpuE4ELNS1_3repE0EEENS1_30default_config_static_selectorELNS0_4arch9wavefront6targetE0EEEvT1_ ; -- Begin function _ZN7rocprim17ROCPRIM_400000_NS6detail17trampoline_kernelINS0_14default_configENS1_25partition_config_selectorILNS1_17partition_subalgoE5ElNS0_10empty_typeEbEEZZNS1_14partition_implILS5_5ELb0ES3_mN6hipcub16HIPCUB_304000_NS21CountingInputIteratorIllEEPS6_NSA_22TransformInputIteratorIb7NonZeroIfEPflEENS0_5tupleIJPlS6_EEENSJ_IJSD_SD_EEES6_SK_JS6_EEE10hipError_tPvRmT3_T4_T5_T6_T7_T9_mT8_P12ihipStream_tbDpT10_ENKUlT_T0_E_clISt17integral_constantIbLb0EES15_IbLb1EEEEDaS11_S12_EUlS11_E_NS1_11comp_targetILNS1_3genE10ELNS1_11target_archE1200ELNS1_3gpuE4ELNS1_3repE0EEENS1_30default_config_static_selectorELNS0_4arch9wavefront6targetE0EEEvT1_
	.globl	_ZN7rocprim17ROCPRIM_400000_NS6detail17trampoline_kernelINS0_14default_configENS1_25partition_config_selectorILNS1_17partition_subalgoE5ElNS0_10empty_typeEbEEZZNS1_14partition_implILS5_5ELb0ES3_mN6hipcub16HIPCUB_304000_NS21CountingInputIteratorIllEEPS6_NSA_22TransformInputIteratorIb7NonZeroIfEPflEENS0_5tupleIJPlS6_EEENSJ_IJSD_SD_EEES6_SK_JS6_EEE10hipError_tPvRmT3_T4_T5_T6_T7_T9_mT8_P12ihipStream_tbDpT10_ENKUlT_T0_E_clISt17integral_constantIbLb0EES15_IbLb1EEEEDaS11_S12_EUlS11_E_NS1_11comp_targetILNS1_3genE10ELNS1_11target_archE1200ELNS1_3gpuE4ELNS1_3repE0EEENS1_30default_config_static_selectorELNS0_4arch9wavefront6targetE0EEEvT1_
	.p2align	8
	.type	_ZN7rocprim17ROCPRIM_400000_NS6detail17trampoline_kernelINS0_14default_configENS1_25partition_config_selectorILNS1_17partition_subalgoE5ElNS0_10empty_typeEbEEZZNS1_14partition_implILS5_5ELb0ES3_mN6hipcub16HIPCUB_304000_NS21CountingInputIteratorIllEEPS6_NSA_22TransformInputIteratorIb7NonZeroIfEPflEENS0_5tupleIJPlS6_EEENSJ_IJSD_SD_EEES6_SK_JS6_EEE10hipError_tPvRmT3_T4_T5_T6_T7_T9_mT8_P12ihipStream_tbDpT10_ENKUlT_T0_E_clISt17integral_constantIbLb0EES15_IbLb1EEEEDaS11_S12_EUlS11_E_NS1_11comp_targetILNS1_3genE10ELNS1_11target_archE1200ELNS1_3gpuE4ELNS1_3repE0EEENS1_30default_config_static_selectorELNS0_4arch9wavefront6targetE0EEEvT1_,@function
_ZN7rocprim17ROCPRIM_400000_NS6detail17trampoline_kernelINS0_14default_configENS1_25partition_config_selectorILNS1_17partition_subalgoE5ElNS0_10empty_typeEbEEZZNS1_14partition_implILS5_5ELb0ES3_mN6hipcub16HIPCUB_304000_NS21CountingInputIteratorIllEEPS6_NSA_22TransformInputIteratorIb7NonZeroIfEPflEENS0_5tupleIJPlS6_EEENSJ_IJSD_SD_EEES6_SK_JS6_EEE10hipError_tPvRmT3_T4_T5_T6_T7_T9_mT8_P12ihipStream_tbDpT10_ENKUlT_T0_E_clISt17integral_constantIbLb0EES15_IbLb1EEEEDaS11_S12_EUlS11_E_NS1_11comp_targetILNS1_3genE10ELNS1_11target_archE1200ELNS1_3gpuE4ELNS1_3repE0EEENS1_30default_config_static_selectorELNS0_4arch9wavefront6targetE0EEEvT1_: ; @_ZN7rocprim17ROCPRIM_400000_NS6detail17trampoline_kernelINS0_14default_configENS1_25partition_config_selectorILNS1_17partition_subalgoE5ElNS0_10empty_typeEbEEZZNS1_14partition_implILS5_5ELb0ES3_mN6hipcub16HIPCUB_304000_NS21CountingInputIteratorIllEEPS6_NSA_22TransformInputIteratorIb7NonZeroIfEPflEENS0_5tupleIJPlS6_EEENSJ_IJSD_SD_EEES6_SK_JS6_EEE10hipError_tPvRmT3_T4_T5_T6_T7_T9_mT8_P12ihipStream_tbDpT10_ENKUlT_T0_E_clISt17integral_constantIbLb0EES15_IbLb1EEEEDaS11_S12_EUlS11_E_NS1_11comp_targetILNS1_3genE10ELNS1_11target_archE1200ELNS1_3gpuE4ELNS1_3repE0EEENS1_30default_config_static_selectorELNS0_4arch9wavefront6targetE0EEEvT1_
; %bb.0:
	.section	.rodata,"a",@progbits
	.p2align	6, 0x0
	.amdhsa_kernel _ZN7rocprim17ROCPRIM_400000_NS6detail17trampoline_kernelINS0_14default_configENS1_25partition_config_selectorILNS1_17partition_subalgoE5ElNS0_10empty_typeEbEEZZNS1_14partition_implILS5_5ELb0ES3_mN6hipcub16HIPCUB_304000_NS21CountingInputIteratorIllEEPS6_NSA_22TransformInputIteratorIb7NonZeroIfEPflEENS0_5tupleIJPlS6_EEENSJ_IJSD_SD_EEES6_SK_JS6_EEE10hipError_tPvRmT3_T4_T5_T6_T7_T9_mT8_P12ihipStream_tbDpT10_ENKUlT_T0_E_clISt17integral_constantIbLb0EES15_IbLb1EEEEDaS11_S12_EUlS11_E_NS1_11comp_targetILNS1_3genE10ELNS1_11target_archE1200ELNS1_3gpuE4ELNS1_3repE0EEENS1_30default_config_static_selectorELNS0_4arch9wavefront6targetE0EEEvT1_
		.amdhsa_group_segment_fixed_size 0
		.amdhsa_private_segment_fixed_size 0
		.amdhsa_kernarg_size 136
		.amdhsa_user_sgpr_count 15
		.amdhsa_user_sgpr_dispatch_ptr 0
		.amdhsa_user_sgpr_queue_ptr 0
		.amdhsa_user_sgpr_kernarg_segment_ptr 1
		.amdhsa_user_sgpr_dispatch_id 0
		.amdhsa_user_sgpr_private_segment_size 0
		.amdhsa_wavefront_size32 1
		.amdhsa_uses_dynamic_stack 0
		.amdhsa_enable_private_segment 0
		.amdhsa_system_sgpr_workgroup_id_x 1
		.amdhsa_system_sgpr_workgroup_id_y 0
		.amdhsa_system_sgpr_workgroup_id_z 0
		.amdhsa_system_sgpr_workgroup_info 0
		.amdhsa_system_vgpr_workitem_id 0
		.amdhsa_next_free_vgpr 1
		.amdhsa_next_free_sgpr 1
		.amdhsa_reserve_vcc 0
		.amdhsa_float_round_mode_32 0
		.amdhsa_float_round_mode_16_64 0
		.amdhsa_float_denorm_mode_32 3
		.amdhsa_float_denorm_mode_16_64 3
		.amdhsa_dx10_clamp 1
		.amdhsa_ieee_mode 1
		.amdhsa_fp16_overflow 0
		.amdhsa_workgroup_processor_mode 1
		.amdhsa_memory_ordered 1
		.amdhsa_forward_progress 0
		.amdhsa_shared_vgpr_count 0
		.amdhsa_exception_fp_ieee_invalid_op 0
		.amdhsa_exception_fp_denorm_src 0
		.amdhsa_exception_fp_ieee_div_zero 0
		.amdhsa_exception_fp_ieee_overflow 0
		.amdhsa_exception_fp_ieee_underflow 0
		.amdhsa_exception_fp_ieee_inexact 0
		.amdhsa_exception_int_div_zero 0
	.end_amdhsa_kernel
	.section	.text._ZN7rocprim17ROCPRIM_400000_NS6detail17trampoline_kernelINS0_14default_configENS1_25partition_config_selectorILNS1_17partition_subalgoE5ElNS0_10empty_typeEbEEZZNS1_14partition_implILS5_5ELb0ES3_mN6hipcub16HIPCUB_304000_NS21CountingInputIteratorIllEEPS6_NSA_22TransformInputIteratorIb7NonZeroIfEPflEENS0_5tupleIJPlS6_EEENSJ_IJSD_SD_EEES6_SK_JS6_EEE10hipError_tPvRmT3_T4_T5_T6_T7_T9_mT8_P12ihipStream_tbDpT10_ENKUlT_T0_E_clISt17integral_constantIbLb0EES15_IbLb1EEEEDaS11_S12_EUlS11_E_NS1_11comp_targetILNS1_3genE10ELNS1_11target_archE1200ELNS1_3gpuE4ELNS1_3repE0EEENS1_30default_config_static_selectorELNS0_4arch9wavefront6targetE0EEEvT1_,"axG",@progbits,_ZN7rocprim17ROCPRIM_400000_NS6detail17trampoline_kernelINS0_14default_configENS1_25partition_config_selectorILNS1_17partition_subalgoE5ElNS0_10empty_typeEbEEZZNS1_14partition_implILS5_5ELb0ES3_mN6hipcub16HIPCUB_304000_NS21CountingInputIteratorIllEEPS6_NSA_22TransformInputIteratorIb7NonZeroIfEPflEENS0_5tupleIJPlS6_EEENSJ_IJSD_SD_EEES6_SK_JS6_EEE10hipError_tPvRmT3_T4_T5_T6_T7_T9_mT8_P12ihipStream_tbDpT10_ENKUlT_T0_E_clISt17integral_constantIbLb0EES15_IbLb1EEEEDaS11_S12_EUlS11_E_NS1_11comp_targetILNS1_3genE10ELNS1_11target_archE1200ELNS1_3gpuE4ELNS1_3repE0EEENS1_30default_config_static_selectorELNS0_4arch9wavefront6targetE0EEEvT1_,comdat
.Lfunc_end282:
	.size	_ZN7rocprim17ROCPRIM_400000_NS6detail17trampoline_kernelINS0_14default_configENS1_25partition_config_selectorILNS1_17partition_subalgoE5ElNS0_10empty_typeEbEEZZNS1_14partition_implILS5_5ELb0ES3_mN6hipcub16HIPCUB_304000_NS21CountingInputIteratorIllEEPS6_NSA_22TransformInputIteratorIb7NonZeroIfEPflEENS0_5tupleIJPlS6_EEENSJ_IJSD_SD_EEES6_SK_JS6_EEE10hipError_tPvRmT3_T4_T5_T6_T7_T9_mT8_P12ihipStream_tbDpT10_ENKUlT_T0_E_clISt17integral_constantIbLb0EES15_IbLb1EEEEDaS11_S12_EUlS11_E_NS1_11comp_targetILNS1_3genE10ELNS1_11target_archE1200ELNS1_3gpuE4ELNS1_3repE0EEENS1_30default_config_static_selectorELNS0_4arch9wavefront6targetE0EEEvT1_, .Lfunc_end282-_ZN7rocprim17ROCPRIM_400000_NS6detail17trampoline_kernelINS0_14default_configENS1_25partition_config_selectorILNS1_17partition_subalgoE5ElNS0_10empty_typeEbEEZZNS1_14partition_implILS5_5ELb0ES3_mN6hipcub16HIPCUB_304000_NS21CountingInputIteratorIllEEPS6_NSA_22TransformInputIteratorIb7NonZeroIfEPflEENS0_5tupleIJPlS6_EEENSJ_IJSD_SD_EEES6_SK_JS6_EEE10hipError_tPvRmT3_T4_T5_T6_T7_T9_mT8_P12ihipStream_tbDpT10_ENKUlT_T0_E_clISt17integral_constantIbLb0EES15_IbLb1EEEEDaS11_S12_EUlS11_E_NS1_11comp_targetILNS1_3genE10ELNS1_11target_archE1200ELNS1_3gpuE4ELNS1_3repE0EEENS1_30default_config_static_selectorELNS0_4arch9wavefront6targetE0EEEvT1_
                                        ; -- End function
	.section	.AMDGPU.csdata,"",@progbits
; Kernel info:
; codeLenInByte = 0
; NumSgprs: 0
; NumVgprs: 0
; ScratchSize: 0
; MemoryBound: 0
; FloatMode: 240
; IeeeMode: 1
; LDSByteSize: 0 bytes/workgroup (compile time only)
; SGPRBlocks: 0
; VGPRBlocks: 0
; NumSGPRsForWavesPerEU: 1
; NumVGPRsForWavesPerEU: 1
; Occupancy: 16
; WaveLimiterHint : 0
; COMPUTE_PGM_RSRC2:SCRATCH_EN: 0
; COMPUTE_PGM_RSRC2:USER_SGPR: 15
; COMPUTE_PGM_RSRC2:TRAP_HANDLER: 0
; COMPUTE_PGM_RSRC2:TGID_X_EN: 1
; COMPUTE_PGM_RSRC2:TGID_Y_EN: 0
; COMPUTE_PGM_RSRC2:TGID_Z_EN: 0
; COMPUTE_PGM_RSRC2:TIDIG_COMP_CNT: 0
	.section	.text._ZN7rocprim17ROCPRIM_400000_NS6detail17trampoline_kernelINS0_14default_configENS1_25partition_config_selectorILNS1_17partition_subalgoE5ElNS0_10empty_typeEbEEZZNS1_14partition_implILS5_5ELb0ES3_mN6hipcub16HIPCUB_304000_NS21CountingInputIteratorIllEEPS6_NSA_22TransformInputIteratorIb7NonZeroIfEPflEENS0_5tupleIJPlS6_EEENSJ_IJSD_SD_EEES6_SK_JS6_EEE10hipError_tPvRmT3_T4_T5_T6_T7_T9_mT8_P12ihipStream_tbDpT10_ENKUlT_T0_E_clISt17integral_constantIbLb0EES15_IbLb1EEEEDaS11_S12_EUlS11_E_NS1_11comp_targetILNS1_3genE9ELNS1_11target_archE1100ELNS1_3gpuE3ELNS1_3repE0EEENS1_30default_config_static_selectorELNS0_4arch9wavefront6targetE0EEEvT1_,"axG",@progbits,_ZN7rocprim17ROCPRIM_400000_NS6detail17trampoline_kernelINS0_14default_configENS1_25partition_config_selectorILNS1_17partition_subalgoE5ElNS0_10empty_typeEbEEZZNS1_14partition_implILS5_5ELb0ES3_mN6hipcub16HIPCUB_304000_NS21CountingInputIteratorIllEEPS6_NSA_22TransformInputIteratorIb7NonZeroIfEPflEENS0_5tupleIJPlS6_EEENSJ_IJSD_SD_EEES6_SK_JS6_EEE10hipError_tPvRmT3_T4_T5_T6_T7_T9_mT8_P12ihipStream_tbDpT10_ENKUlT_T0_E_clISt17integral_constantIbLb0EES15_IbLb1EEEEDaS11_S12_EUlS11_E_NS1_11comp_targetILNS1_3genE9ELNS1_11target_archE1100ELNS1_3gpuE3ELNS1_3repE0EEENS1_30default_config_static_selectorELNS0_4arch9wavefront6targetE0EEEvT1_,comdat
	.protected	_ZN7rocprim17ROCPRIM_400000_NS6detail17trampoline_kernelINS0_14default_configENS1_25partition_config_selectorILNS1_17partition_subalgoE5ElNS0_10empty_typeEbEEZZNS1_14partition_implILS5_5ELb0ES3_mN6hipcub16HIPCUB_304000_NS21CountingInputIteratorIllEEPS6_NSA_22TransformInputIteratorIb7NonZeroIfEPflEENS0_5tupleIJPlS6_EEENSJ_IJSD_SD_EEES6_SK_JS6_EEE10hipError_tPvRmT3_T4_T5_T6_T7_T9_mT8_P12ihipStream_tbDpT10_ENKUlT_T0_E_clISt17integral_constantIbLb0EES15_IbLb1EEEEDaS11_S12_EUlS11_E_NS1_11comp_targetILNS1_3genE9ELNS1_11target_archE1100ELNS1_3gpuE3ELNS1_3repE0EEENS1_30default_config_static_selectorELNS0_4arch9wavefront6targetE0EEEvT1_ ; -- Begin function _ZN7rocprim17ROCPRIM_400000_NS6detail17trampoline_kernelINS0_14default_configENS1_25partition_config_selectorILNS1_17partition_subalgoE5ElNS0_10empty_typeEbEEZZNS1_14partition_implILS5_5ELb0ES3_mN6hipcub16HIPCUB_304000_NS21CountingInputIteratorIllEEPS6_NSA_22TransformInputIteratorIb7NonZeroIfEPflEENS0_5tupleIJPlS6_EEENSJ_IJSD_SD_EEES6_SK_JS6_EEE10hipError_tPvRmT3_T4_T5_T6_T7_T9_mT8_P12ihipStream_tbDpT10_ENKUlT_T0_E_clISt17integral_constantIbLb0EES15_IbLb1EEEEDaS11_S12_EUlS11_E_NS1_11comp_targetILNS1_3genE9ELNS1_11target_archE1100ELNS1_3gpuE3ELNS1_3repE0EEENS1_30default_config_static_selectorELNS0_4arch9wavefront6targetE0EEEvT1_
	.globl	_ZN7rocprim17ROCPRIM_400000_NS6detail17trampoline_kernelINS0_14default_configENS1_25partition_config_selectorILNS1_17partition_subalgoE5ElNS0_10empty_typeEbEEZZNS1_14partition_implILS5_5ELb0ES3_mN6hipcub16HIPCUB_304000_NS21CountingInputIteratorIllEEPS6_NSA_22TransformInputIteratorIb7NonZeroIfEPflEENS0_5tupleIJPlS6_EEENSJ_IJSD_SD_EEES6_SK_JS6_EEE10hipError_tPvRmT3_T4_T5_T6_T7_T9_mT8_P12ihipStream_tbDpT10_ENKUlT_T0_E_clISt17integral_constantIbLb0EES15_IbLb1EEEEDaS11_S12_EUlS11_E_NS1_11comp_targetILNS1_3genE9ELNS1_11target_archE1100ELNS1_3gpuE3ELNS1_3repE0EEENS1_30default_config_static_selectorELNS0_4arch9wavefront6targetE0EEEvT1_
	.p2align	8
	.type	_ZN7rocprim17ROCPRIM_400000_NS6detail17trampoline_kernelINS0_14default_configENS1_25partition_config_selectorILNS1_17partition_subalgoE5ElNS0_10empty_typeEbEEZZNS1_14partition_implILS5_5ELb0ES3_mN6hipcub16HIPCUB_304000_NS21CountingInputIteratorIllEEPS6_NSA_22TransformInputIteratorIb7NonZeroIfEPflEENS0_5tupleIJPlS6_EEENSJ_IJSD_SD_EEES6_SK_JS6_EEE10hipError_tPvRmT3_T4_T5_T6_T7_T9_mT8_P12ihipStream_tbDpT10_ENKUlT_T0_E_clISt17integral_constantIbLb0EES15_IbLb1EEEEDaS11_S12_EUlS11_E_NS1_11comp_targetILNS1_3genE9ELNS1_11target_archE1100ELNS1_3gpuE3ELNS1_3repE0EEENS1_30default_config_static_selectorELNS0_4arch9wavefront6targetE0EEEvT1_,@function
_ZN7rocprim17ROCPRIM_400000_NS6detail17trampoline_kernelINS0_14default_configENS1_25partition_config_selectorILNS1_17partition_subalgoE5ElNS0_10empty_typeEbEEZZNS1_14partition_implILS5_5ELb0ES3_mN6hipcub16HIPCUB_304000_NS21CountingInputIteratorIllEEPS6_NSA_22TransformInputIteratorIb7NonZeroIfEPflEENS0_5tupleIJPlS6_EEENSJ_IJSD_SD_EEES6_SK_JS6_EEE10hipError_tPvRmT3_T4_T5_T6_T7_T9_mT8_P12ihipStream_tbDpT10_ENKUlT_T0_E_clISt17integral_constantIbLb0EES15_IbLb1EEEEDaS11_S12_EUlS11_E_NS1_11comp_targetILNS1_3genE9ELNS1_11target_archE1100ELNS1_3gpuE3ELNS1_3repE0EEENS1_30default_config_static_selectorELNS0_4arch9wavefront6targetE0EEEvT1_: ; @_ZN7rocprim17ROCPRIM_400000_NS6detail17trampoline_kernelINS0_14default_configENS1_25partition_config_selectorILNS1_17partition_subalgoE5ElNS0_10empty_typeEbEEZZNS1_14partition_implILS5_5ELb0ES3_mN6hipcub16HIPCUB_304000_NS21CountingInputIteratorIllEEPS6_NSA_22TransformInputIteratorIb7NonZeroIfEPflEENS0_5tupleIJPlS6_EEENSJ_IJSD_SD_EEES6_SK_JS6_EEE10hipError_tPvRmT3_T4_T5_T6_T7_T9_mT8_P12ihipStream_tbDpT10_ENKUlT_T0_E_clISt17integral_constantIbLb0EES15_IbLb1EEEEDaS11_S12_EUlS11_E_NS1_11comp_targetILNS1_3genE9ELNS1_11target_archE1100ELNS1_3gpuE3ELNS1_3repE0EEENS1_30default_config_static_selectorELNS0_4arch9wavefront6targetE0EEEvT1_
; %bb.0:
	s_clause 0x4
	s_load_b64 s[18:19], s[0:1], 0x20
	s_load_b64 s[12:13], s[0:1], 0x30
	;; [unrolled: 1-line block ×3, first 2 shown]
	s_load_b128 s[4:7], s[0:1], 0x48
	s_load_b64 s[14:15], s[0:1], 0x68
	v_cmp_eq_u32_e64 s2, 0, v0
	s_delay_alu instid0(VALU_DEP_1)
	s_and_saveexec_b32 s3, s2
	s_cbranch_execz .LBB283_4
; %bb.1:
	s_mov_b32 s9, exec_lo
	s_mov_b32 s8, exec_lo
	v_mbcnt_lo_u32_b32 v1, s9, 0
                                        ; implicit-def: $vgpr2
	s_delay_alu instid0(VALU_DEP_1)
	v_cmpx_eq_u32_e32 0, v1
	s_cbranch_execz .LBB283_3
; %bb.2:
	s_load_b64 s[10:11], s[0:1], 0x78
	s_bcnt1_i32_b32 s9, s9
	s_delay_alu instid0(SALU_CYCLE_1)
	v_dual_mov_b32 v2, 0 :: v_dual_mov_b32 v3, s9
	s_waitcnt lgkmcnt(0)
	global_atomic_add_u32 v2, v2, v3, s[10:11] glc
.LBB283_3:
	s_or_b32 exec_lo, exec_lo, s8
	s_waitcnt vmcnt(0)
	v_readfirstlane_b32 s8, v2
	s_delay_alu instid0(VALU_DEP_1)
	v_dual_mov_b32 v2, 0 :: v_dual_add_nc_u32 v1, s8, v1
	ds_store_b32 v2, v1
.LBB283_4:
	s_or_b32 exec_lo, exec_lo, s3
	v_mov_b32_e32 v1, 0
	s_clause 0x1
	s_load_b128 s[8:11], s[0:1], 0x8
	s_load_b32 s0, s[0:1], 0x70
	s_waitcnt lgkmcnt(0)
	s_barrier
	buffer_gl0_inv
	ds_load_b32 v3, v1
	s_waitcnt lgkmcnt(0)
	s_barrier
	buffer_gl0_inv
	global_load_b64 v[1:2], v1, s[6:7]
	s_add_u32 s21, s10, s8
	s_mul_i32 s20, s0, 0x300
	s_addc_u32 s22, s11, s9
	s_add_i32 s3, s0, -1
	s_add_u32 s0, s10, s20
	v_readfirstlane_b32 s9, v3
	s_addc_u32 s1, s11, 0
	s_delay_alu instid0(SALU_CYCLE_1) | instskip(SKIP_1) | instid1(VALU_DEP_2)
	v_cmp_ge_u64_e64 s0, s[0:1], s[16:17]
	s_mov_b32 s17, -1
	s_cmp_eq_u32 s9, s3
	s_cselect_b32 s3, -1, 0
	s_delay_alu instid0(VALU_DEP_1) | instid1(SALU_CYCLE_1)
	s_and_b32 s1, s0, s3
	s_mul_i32 s0, s9, 0x300
	s_xor_b32 s8, s1, -1
	s_mov_b32 s1, 0
	s_and_b32 vcc_lo, exec_lo, s8
	s_waitcnt vmcnt(0)
	v_readfirstlane_b32 s6, v1
	v_readfirstlane_b32 s7, v2
	s_cbranch_vccz .LBB283_6
; %bb.5:
	s_add_u32 s17, s0, s21
	s_addc_u32 s23, 0, s22
	v_add_co_u32 v1, s17, s17, v0
	s_delay_alu instid0(VALU_DEP_1) | instskip(SKIP_1) | instid1(VALU_DEP_3)
	v_add_co_ci_u32_e64 v2, null, s23, 0, s17
	v_lshlrev_b32_e32 v13, 3, v0
	v_add_co_u32 v3, vcc_lo, 0x80, v1
	s_delay_alu instid0(VALU_DEP_3)
	v_add_co_ci_u32_e32 v4, vcc_lo, 0, v2, vcc_lo
	v_add_co_u32 v5, vcc_lo, 0x100, v1
	v_add_co_ci_u32_e32 v6, vcc_lo, 0, v2, vcc_lo
	v_add_co_u32 v7, vcc_lo, 0x180, v1
	;; [unrolled: 2-line block ×4, first 2 shown]
	v_add_co_ci_u32_e32 v12, vcc_lo, 0, v2, vcc_lo
	ds_store_2addr_stride64_b64 v13, v[1:2], v[3:4] offset1:2
	ds_store_2addr_stride64_b64 v13, v[5:6], v[7:8] offset0:4 offset1:6
	ds_store_2addr_stride64_b64 v13, v[9:10], v[11:12] offset0:8 offset1:10
	s_waitcnt lgkmcnt(0)
	s_mov_b32 s17, s1
	s_barrier
.LBB283_6:
	v_or_b32_e32 v17, 0x100, v0
	v_or_b32_e32 v16, 0x180, v0
	;; [unrolled: 1-line block ×4, first 2 shown]
	s_and_not1_b32 vcc_lo, exec_lo, s17
	s_cbranch_vccnz .LBB283_8
; %bb.7:
	v_or_b32_e32 v3, 0x80, v0
	s_add_u32 s17, s21, s0
	s_addc_u32 s21, s22, 0
	v_add_co_u32 v1, s22, s17, v0
	s_delay_alu instid0(VALU_DEP_1) | instskip(SKIP_1) | instid1(VALU_DEP_1)
	v_add_co_ci_u32_e64 v2, null, s21, 0, s22
	v_add_co_u32 v3, s22, s17, v3
	v_add_co_ci_u32_e64 v4, null, s21, 0, s22
	v_add_co_u32 v5, s22, s17, v17
	s_delay_alu instid0(VALU_DEP_1) | instskip(SKIP_1) | instid1(VALU_DEP_1)
	v_add_co_ci_u32_e64 v6, null, s21, 0, s22
	v_add_co_u32 v7, s22, s17, v16
	v_add_co_ci_u32_e64 v8, null, s21, 0, s22
	v_add_co_u32 v9, s22, s17, v14
	v_lshlrev_b32_e32 v15, 3, v0
	v_add_co_u32 v11, s17, s17, v13
	v_add_co_ci_u32_e64 v10, null, s21, 0, s22
	v_add_co_ci_u32_e64 v12, null, s21, 0, s17
	ds_store_2addr_stride64_b64 v15, v[1:2], v[3:4] offset1:2
	ds_store_2addr_stride64_b64 v15, v[5:6], v[7:8] offset0:4 offset1:6
	ds_store_2addr_stride64_b64 v15, v[9:10], v[11:12] offset0:8 offset1:10
	s_waitcnt lgkmcnt(0)
	s_barrier
.LBB283_8:
	v_mul_u32_u24_e32 v1, 6, v0
	buffer_gl0_inv
	s_lshl_b64 s[22:23], s[10:11], 2
	v_lshlrev_b32_e32 v18, 2, v0
	s_add_u32 s11, s18, s22
	v_lshlrev_b32_e32 v15, 3, v1
	s_addc_u32 s17, s19, s23
	s_lshl_b64 s[0:1], s[0:1], 2
	ds_load_b128 v[9:12], v15
	ds_load_b128 v[5:8], v15 offset:16
	ds_load_b128 v[1:4], v15 offset:32
	s_add_u32 s0, s11, s0
	s_addc_u32 s1, s17, s1
	s_and_b32 vcc_lo, exec_lo, s8
	s_mov_b32 s11, -1
	s_waitcnt lgkmcnt(0)
	s_barrier
	buffer_gl0_inv
	s_cbranch_vccz .LBB283_10
; %bb.9:
	s_clause 0x5
	global_load_b32 v19, v18, s[0:1]
	global_load_b32 v20, v18, s[0:1] offset:512
	global_load_b32 v21, v18, s[0:1] offset:1024
	global_load_b32 v22, v18, s[0:1] offset:1536
	global_load_b32 v23, v18, s[0:1] offset:2048
	global_load_b32 v24, v18, s[0:1] offset:2560
	s_mov_b32 s11, 0
	s_waitcnt vmcnt(5)
	v_cmp_neq_f32_e32 vcc_lo, 0, v19
	v_cndmask_b32_e64 v19, 0, 1, vcc_lo
	s_waitcnt vmcnt(4)
	v_cmp_neq_f32_e32 vcc_lo, 0, v20
	v_cndmask_b32_e64 v20, 0, 1, vcc_lo
	;; [unrolled: 3-line block ×6, first 2 shown]
	ds_store_b8 v0, v19
	ds_store_b8 v0, v20 offset:128
	ds_store_b8 v0, v21 offset:256
	;; [unrolled: 1-line block ×5, first 2 shown]
	s_waitcnt lgkmcnt(0)
	s_barrier
.LBB283_10:
	s_and_not1_b32 vcc_lo, exec_lo, s11
	s_cbranch_vccnz .LBB283_24
; %bb.11:
	s_add_i32 s20, s20, s10
	v_dual_mov_b32 v19, 0 :: v_dual_mov_b32 v20, 0
	s_sub_i32 s10, s16, s20
	s_mov_b32 s11, exec_lo
	s_addk_i32 s10, 0x300
	s_delay_alu instid0(SALU_CYCLE_1)
	v_cmpx_gt_u32_e64 s10, v0
	s_cbranch_execz .LBB283_13
; %bb.12:
	global_load_b32 v20, v18, s[0:1]
	s_waitcnt vmcnt(0)
	v_cmp_neq_f32_e32 vcc_lo, 0, v20
	v_cndmask_b32_e64 v20, 0, 1, vcc_lo
.LBB283_13:
	s_or_b32 exec_lo, exec_lo, s11
	v_or_b32_e32 v21, 0x80, v0
	s_mov_b32 s11, exec_lo
	s_delay_alu instid0(VALU_DEP_1)
	v_cmpx_gt_u32_e64 s10, v21
	s_cbranch_execz .LBB283_15
; %bb.14:
	global_load_b32 v19, v18, s[0:1] offset:512
	s_waitcnt vmcnt(0)
	v_cmp_neq_f32_e32 vcc_lo, 0, v19
	v_cndmask_b32_e64 v19, 0, 1, vcc_lo
.LBB283_15:
	s_or_b32 exec_lo, exec_lo, s11
	v_cmp_gt_u32_e32 vcc_lo, s10, v17
	v_mov_b32_e32 v17, 0
	v_mov_b32_e32 v21, 0
	s_and_saveexec_b32 s11, vcc_lo
	s_cbranch_execz .LBB283_17
; %bb.16:
	global_load_b32 v21, v18, s[0:1] offset:1024
	s_waitcnt vmcnt(0)
	v_cmp_neq_f32_e32 vcc_lo, 0, v21
	v_cndmask_b32_e64 v21, 0, 1, vcc_lo
.LBB283_17:
	s_or_b32 exec_lo, exec_lo, s11
	s_delay_alu instid0(SALU_CYCLE_1)
	s_mov_b32 s11, exec_lo
	v_cmpx_gt_u32_e64 s10, v16
	s_cbranch_execz .LBB283_19
; %bb.18:
	global_load_b32 v16, v18, s[0:1] offset:1536
	s_waitcnt vmcnt(0)
	v_cmp_neq_f32_e32 vcc_lo, 0, v16
	v_cndmask_b32_e64 v17, 0, 1, vcc_lo
.LBB283_19:
	s_or_b32 exec_lo, exec_lo, s11
	v_cmp_gt_u32_e32 vcc_lo, s10, v14
	v_mov_b32_e32 v14, 0
	v_mov_b32_e32 v16, 0
	s_and_saveexec_b32 s11, vcc_lo
	s_cbranch_execz .LBB283_21
; %bb.20:
	global_load_b32 v16, v18, s[0:1] offset:2048
	s_waitcnt vmcnt(0)
	v_cmp_neq_f32_e32 vcc_lo, 0, v16
	v_cndmask_b32_e64 v16, 0, 1, vcc_lo
.LBB283_21:
	s_or_b32 exec_lo, exec_lo, s11
	v_cmp_gt_u32_e32 vcc_lo, s10, v13
	s_and_saveexec_b32 s10, vcc_lo
	s_cbranch_execz .LBB283_23
; %bb.22:
	global_load_b32 v13, v18, s[0:1] offset:2560
	s_waitcnt vmcnt(0)
	v_cmp_neq_f32_e32 vcc_lo, 0, v13
	v_cndmask_b32_e64 v14, 0, 1, vcc_lo
.LBB283_23:
	s_or_b32 exec_lo, exec_lo, s10
	ds_store_b8 v0, v20
	ds_store_b8 v0, v19 offset:128
	ds_store_b8 v0, v21 offset:256
	;; [unrolled: 1-line block ×5, first 2 shown]
	s_waitcnt lgkmcnt(0)
	s_barrier
.LBB283_24:
	v_mad_i32_i24 v43, 0xffffffd6, v0, v15
	buffer_gl0_inv
	v_mbcnt_lo_u32_b32 v42, -1, 0
	s_cmp_lg_u32 s9, 0
	s_mov_b32 s1, -1
	ds_load_u16 v36, v43
	ds_load_u16 v33, v43 offset:2
	ds_load_u16 v31, v43 offset:4
	v_mov_b32_e32 v14, 0
	v_and_b32_e32 v44, 15, v42
	s_waitcnt lgkmcnt(0)
	s_barrier
	buffer_gl0_inv
	v_and_b32_e32 v41, 0xff, v36
	v_lshrrev_b16 v34, 8, v36
	v_lshrrev_b16 v35, 8, v33
	v_and_b32_e32 v39, 0xff, v33
	v_lshrrev_b16 v32, 8, v31
	v_and_b32_e32 v37, 0xff, v31
	v_and_b32_e32 v40, 0xffff, v34
	;; [unrolled: 1-line block ×3, first 2 shown]
	s_delay_alu instid0(VALU_DEP_4) | instskip(NEXT) | instid1(VALU_DEP_3)
	v_and_b32_e32 v16, 0xffff, v32
	v_add_co_u32 v13, s0, v40, v41
	s_delay_alu instid0(VALU_DEP_1) | instskip(SKIP_1) | instid1(VALU_DEP_3)
	v_add_co_ci_u32_e64 v15, null, 0, 0, s0
	v_cmp_ne_u32_e64 s0, 0, v44
	v_add_co_u32 v13, vcc_lo, v13, v39
	s_delay_alu instid0(VALU_DEP_3) | instskip(NEXT) | instid1(VALU_DEP_2)
	v_add_co_ci_u32_e32 v15, vcc_lo, 0, v15, vcc_lo
	v_add_co_u32 v13, vcc_lo, v13, v38
	s_delay_alu instid0(VALU_DEP_2) | instskip(NEXT) | instid1(VALU_DEP_2)
	v_add_co_ci_u32_e32 v15, vcc_lo, 0, v15, vcc_lo
	v_add_co_u32 v13, vcc_lo, v13, v37
	s_delay_alu instid0(VALU_DEP_2) | instskip(NEXT) | instid1(VALU_DEP_2)
	v_add_co_ci_u32_e32 v15, vcc_lo, 0, v15, vcc_lo
	v_add_co_u32 v21, vcc_lo, v13, v16
	s_delay_alu instid0(VALU_DEP_2)
	v_add_co_ci_u32_e32 v22, vcc_lo, 0, v15, vcc_lo
	s_cbranch_scc0 .LBB283_88
; %bb.25:
	s_delay_alu instid0(VALU_DEP_2)
	v_mov_b32_e32 v15, v21
	v_mov_b32_dpp v13, v21 row_shr:1 row_mask:0xf bank_mask:0xf
	v_mov_b32_dpp v18, v14 row_shr:1 row_mask:0xf bank_mask:0xf
	v_dual_mov_b32 v17, v21 :: v_dual_mov_b32 v16, v22
	s_and_saveexec_b32 s1, s0
; %bb.26:
	s_delay_alu instid0(VALU_DEP_3) | instskip(SKIP_1) | instid1(VALU_DEP_2)
	v_add_co_u32 v17, vcc_lo, v21, v13
	v_add_co_ci_u32_e32 v14, vcc_lo, 0, v22, vcc_lo
	v_add_co_u32 v13, vcc_lo, 0, v17
	s_delay_alu instid0(VALU_DEP_2) | instskip(NEXT) | instid1(VALU_DEP_1)
	v_add_co_ci_u32_e32 v14, vcc_lo, v18, v14, vcc_lo
	v_dual_mov_b32 v16, v14 :: v_dual_mov_b32 v15, v13
; %bb.27:
	s_or_b32 exec_lo, exec_lo, s1
	v_mov_b32_dpp v13, v17 row_shr:2 row_mask:0xf bank_mask:0xf
	v_mov_b32_dpp v18, v14 row_shr:2 row_mask:0xf bank_mask:0xf
	s_mov_b32 s1, exec_lo
	v_cmpx_lt_u32_e32 1, v44
; %bb.28:
	s_delay_alu instid0(VALU_DEP_3) | instskip(SKIP_1) | instid1(VALU_DEP_2)
	v_add_co_u32 v17, vcc_lo, v15, v13
	v_add_co_ci_u32_e32 v14, vcc_lo, 0, v16, vcc_lo
	v_add_co_u32 v13, vcc_lo, 0, v17
	s_delay_alu instid0(VALU_DEP_2) | instskip(NEXT) | instid1(VALU_DEP_1)
	v_add_co_ci_u32_e32 v14, vcc_lo, v18, v14, vcc_lo
	v_dual_mov_b32 v16, v14 :: v_dual_mov_b32 v15, v13
; %bb.29:
	s_or_b32 exec_lo, exec_lo, s1
	v_mov_b32_dpp v13, v17 row_shr:4 row_mask:0xf bank_mask:0xf
	v_mov_b32_dpp v18, v14 row_shr:4 row_mask:0xf bank_mask:0xf
	s_mov_b32 s1, exec_lo
	v_cmpx_lt_u32_e32 3, v44
	;; [unrolled: 14-line block ×3, first 2 shown]
; %bb.32:
	s_delay_alu instid0(VALU_DEP_3) | instskip(SKIP_1) | instid1(VALU_DEP_2)
	v_add_co_u32 v17, vcc_lo, v15, v18
	v_add_co_ci_u32_e32 v14, vcc_lo, 0, v16, vcc_lo
	v_add_co_u32 v15, vcc_lo, 0, v17
	s_delay_alu instid0(VALU_DEP_2) | instskip(NEXT) | instid1(VALU_DEP_1)
	v_add_co_ci_u32_e32 v16, vcc_lo, v13, v14, vcc_lo
	v_mov_b32_e32 v14, v16
; %bb.33:
	s_or_b32 exec_lo, exec_lo, s1
	ds_swizzle_b32 v13, v17 offset:swizzle(BROADCAST,32,15)
	ds_swizzle_b32 v18, v14 offset:swizzle(BROADCAST,32,15)
	v_and_b32_e32 v19, 16, v42
	s_mov_b32 s1, exec_lo
	s_delay_alu instid0(VALU_DEP_1)
	v_cmpx_ne_u32_e32 0, v19
	s_cbranch_execz .LBB283_35
; %bb.34:
	s_waitcnt lgkmcnt(1)
	v_add_co_u32 v17, vcc_lo, v15, v13
	v_add_co_ci_u32_e32 v14, vcc_lo, 0, v16, vcc_lo
	s_delay_alu instid0(VALU_DEP_2) | instskip(SKIP_1) | instid1(VALU_DEP_2)
	v_add_co_u32 v13, vcc_lo, 0, v17
	s_waitcnt lgkmcnt(0)
	v_add_co_ci_u32_e32 v14, vcc_lo, v18, v14, vcc_lo
	s_delay_alu instid0(VALU_DEP_1)
	v_dual_mov_b32 v16, v14 :: v_dual_mov_b32 v15, v13
.LBB283_35:
	s_or_b32 exec_lo, exec_lo, s1
	s_waitcnt lgkmcnt(0)
	v_or_b32_e32 v18, 31, v0
	v_lshrrev_b32_e32 v13, 5, v0
	s_mov_b32 s1, exec_lo
	s_delay_alu instid0(VALU_DEP_2)
	v_cmpx_eq_u32_e64 v18, v0
	s_cbranch_execz .LBB283_37
; %bb.36:
	s_delay_alu instid0(VALU_DEP_2)
	v_lshlrev_b32_e32 v18, 3, v13
	ds_store_b64 v18, v[15:16]
.LBB283_37:
	s_or_b32 exec_lo, exec_lo, s1
	s_delay_alu instid0(SALU_CYCLE_1)
	s_mov_b32 s1, exec_lo
	s_waitcnt lgkmcnt(0)
	s_barrier
	buffer_gl0_inv
	v_cmpx_gt_u32_e32 4, v0
	s_cbranch_execz .LBB283_43
; %bb.38:
	v_lshlrev_b32_e32 v18, 3, v0
	s_mov_b32 s10, exec_lo
	ds_load_b64 v[15:16], v18
	s_waitcnt lgkmcnt(0)
	v_dual_mov_b32 v20, v15 :: v_dual_and_b32 v19, 3, v42
	v_mov_b32_dpp v24, v15 row_shr:1 row_mask:0xf bank_mask:0xf
	v_mov_b32_dpp v23, v16 row_shr:1 row_mask:0xf bank_mask:0xf
	s_delay_alu instid0(VALU_DEP_3)
	v_cmpx_ne_u32_e32 0, v19
; %bb.39:
	s_delay_alu instid0(VALU_DEP_3) | instskip(SKIP_1) | instid1(VALU_DEP_2)
	v_add_co_u32 v20, vcc_lo, v15, v24
	v_add_co_ci_u32_e32 v16, vcc_lo, 0, v16, vcc_lo
	v_add_co_u32 v15, vcc_lo, 0, v20
	s_delay_alu instid0(VALU_DEP_2)
	v_add_co_ci_u32_e32 v16, vcc_lo, v23, v16, vcc_lo
; %bb.40:
	s_or_b32 exec_lo, exec_lo, s10
	v_mov_b32_dpp v23, v20 row_shr:2 row_mask:0xf bank_mask:0xf
	s_delay_alu instid0(VALU_DEP_2)
	v_mov_b32_dpp v20, v16 row_shr:2 row_mask:0xf bank_mask:0xf
	s_mov_b32 s10, exec_lo
	v_cmpx_lt_u32_e32 1, v19
; %bb.41:
	s_delay_alu instid0(VALU_DEP_3) | instskip(SKIP_1) | instid1(VALU_DEP_2)
	v_add_co_u32 v15, vcc_lo, v15, v23
	v_add_co_ci_u32_e32 v16, vcc_lo, 0, v16, vcc_lo
	v_add_co_u32 v15, vcc_lo, v15, 0
	s_delay_alu instid0(VALU_DEP_2)
	v_add_co_ci_u32_e32 v16, vcc_lo, v16, v20, vcc_lo
; %bb.42:
	s_or_b32 exec_lo, exec_lo, s10
	ds_store_b64 v18, v[15:16]
.LBB283_43:
	s_or_b32 exec_lo, exec_lo, s1
	v_cmp_gt_u32_e32 vcc_lo, 32, v0
	s_mov_b32 s10, exec_lo
	s_waitcnt lgkmcnt(0)
	s_barrier
	buffer_gl0_inv
                                        ; implicit-def: $vgpr23_vgpr24
	v_cmpx_lt_u32_e32 31, v0
	s_cbranch_execz .LBB283_45
; %bb.44:
	v_lshl_add_u32 v13, v13, 3, -8
	ds_load_b64 v[23:24], v13
	s_waitcnt lgkmcnt(0)
	v_add_co_u32 v17, s1, v17, v23
	s_delay_alu instid0(VALU_DEP_1)
	v_add_co_ci_u32_e64 v14, s1, v14, v24, s1
.LBB283_45:
	s_or_b32 exec_lo, exec_lo, s10
	v_add_nc_u32_e32 v13, -1, v42
	s_delay_alu instid0(VALU_DEP_1) | instskip(NEXT) | instid1(VALU_DEP_1)
	v_cmp_gt_i32_e64 s1, 0, v13
	v_cndmask_b32_e64 v13, v13, v42, s1
	v_cmp_eq_u32_e64 s1, 0, v42
	s_delay_alu instid0(VALU_DEP_2)
	v_lshlrev_b32_e32 v13, 2, v13
	ds_bpermute_b32 v29, v13, v17
	ds_bpermute_b32 v30, v13, v14
	s_and_saveexec_b32 s10, vcc_lo
	s_cbranch_execz .LBB283_83
; %bb.46:
	v_mov_b32_e32 v16, 0
	ds_load_b64 v[13:14], v16 offset:24
	s_and_saveexec_b32 s11, s1
	s_cbranch_execz .LBB283_48
; %bb.47:
	s_add_i32 s16, s9, 32
	s_mov_b32 s17, 0
	s_delay_alu instid0(SALU_CYCLE_1) | instskip(NEXT) | instid1(SALU_CYCLE_1)
	s_lshl_b64 s[16:17], s[16:17], 4
	s_add_u32 s16, s14, s16
	s_addc_u32 s17, s15, s17
	s_delay_alu instid0(SALU_CYCLE_1)
	v_dual_mov_b32 v15, 1 :: v_dual_mov_b32 v18, s17
	v_mov_b32_e32 v17, s16
	s_waitcnt lgkmcnt(0)
	;;#ASMSTART
	global_store_dwordx4 v[17:18], v[13:16] off	
s_waitcnt vmcnt(0)
	;;#ASMEND
.LBB283_48:
	s_or_b32 exec_lo, exec_lo, s11
	v_xad_u32 v25, v42, -1, s9
	s_mov_b32 s16, 0
	s_mov_b32 s11, exec_lo
	s_delay_alu instid0(VALU_DEP_1) | instskip(NEXT) | instid1(VALU_DEP_1)
	v_add_nc_u32_e32 v15, 32, v25
	v_lshlrev_b64 v[15:16], 4, v[15:16]
	s_delay_alu instid0(VALU_DEP_1) | instskip(NEXT) | instid1(VALU_DEP_2)
	v_add_co_u32 v15, vcc_lo, s14, v15
	v_add_co_ci_u32_e32 v16, vcc_lo, s15, v16, vcc_lo
	;;#ASMSTART
	global_load_dwordx4 v[17:20], v[15:16] off glc	
s_waitcnt vmcnt(0)
	;;#ASMEND
	v_and_b32_e32 v20, 0xff, v18
	v_and_b32_e32 v26, 0xff00, v18
	;; [unrolled: 1-line block ×3, first 2 shown]
	v_or3_b32 v17, v17, 0, 0
	v_and_b32_e32 v18, 0xff000000, v18
	s_delay_alu instid0(VALU_DEP_4) | instskip(SKIP_1) | instid1(VALU_DEP_4)
	v_or3_b32 v20, 0, v20, v26
	v_and_b32_e32 v26, 0xff, v19
	v_or3_b32 v17, v17, 0, 0
	s_delay_alu instid0(VALU_DEP_3) | instskip(NEXT) | instid1(VALU_DEP_3)
	v_or3_b32 v18, v20, v27, v18
	v_cmpx_eq_u16_e32 0, v26
	s_cbranch_execz .LBB283_51
.LBB283_49:                             ; =>This Inner Loop Header: Depth=1
	;;#ASMSTART
	global_load_dwordx4 v[17:20], v[15:16] off glc	
s_waitcnt vmcnt(0)
	;;#ASMEND
	v_and_b32_e32 v20, 0xff, v19
	s_delay_alu instid0(VALU_DEP_1) | instskip(SKIP_1) | instid1(SALU_CYCLE_1)
	v_cmp_ne_u16_e32 vcc_lo, 0, v20
	s_or_b32 s16, vcc_lo, s16
	s_and_not1_b32 exec_lo, exec_lo, s16
	s_cbranch_execnz .LBB283_49
; %bb.50:
	s_or_b32 exec_lo, exec_lo, s16
.LBB283_51:
	s_delay_alu instid0(SALU_CYCLE_1)
	s_or_b32 exec_lo, exec_lo, s11
	v_cmp_ne_u32_e32 vcc_lo, 31, v42
	v_and_b32_e32 v16, 0xff, v19
	v_lshlrev_b32_e64 v46, v42, -1
	s_mov_b32 s11, exec_lo
	v_add_co_ci_u32_e32 v15, vcc_lo, 0, v42, vcc_lo
	s_delay_alu instid0(VALU_DEP_3) | instskip(NEXT) | instid1(VALU_DEP_2)
	v_cmp_eq_u16_e32 vcc_lo, 2, v16
	v_dual_mov_b32 v16, v17 :: v_dual_lshlrev_b32 v45, 2, v15
	v_and_or_b32 v15, vcc_lo, v46, 0x80000000
	ds_bpermute_b32 v26, v45, v17
	ds_bpermute_b32 v20, v45, v18
	v_ctz_i32_b32_e32 v15, v15
	s_delay_alu instid0(VALU_DEP_1)
	v_cmpx_lt_u32_e64 v42, v15
	s_cbranch_execz .LBB283_53
; %bb.52:
	s_waitcnt lgkmcnt(1)
	v_add_co_u32 v16, vcc_lo, v17, v26
	v_add_co_ci_u32_e32 v18, vcc_lo, 0, v18, vcc_lo
	s_delay_alu instid0(VALU_DEP_2) | instskip(SKIP_1) | instid1(VALU_DEP_2)
	v_add_co_u32 v17, vcc_lo, 0, v16
	s_waitcnt lgkmcnt(0)
	v_add_co_ci_u32_e32 v18, vcc_lo, v20, v18, vcc_lo
.LBB283_53:
	s_or_b32 exec_lo, exec_lo, s11
	v_cmp_gt_u32_e32 vcc_lo, 30, v42
	v_add_nc_u32_e32 v48, 2, v42
	s_mov_b32 s11, exec_lo
	s_waitcnt lgkmcnt(0)
	v_cndmask_b32_e64 v20, 0, 1, vcc_lo
	s_delay_alu instid0(VALU_DEP_1) | instskip(NEXT) | instid1(VALU_DEP_1)
	v_lshlrev_b32_e32 v20, 1, v20
	v_add_lshl_u32 v47, v20, v42, 2
	ds_bpermute_b32 v26, v47, v16
	ds_bpermute_b32 v20, v47, v18
	v_cmpx_le_u32_e64 v48, v15
	s_cbranch_execz .LBB283_55
; %bb.54:
	s_waitcnt lgkmcnt(1)
	v_add_co_u32 v16, vcc_lo, v17, v26
	v_add_co_ci_u32_e32 v18, vcc_lo, 0, v18, vcc_lo
	s_delay_alu instid0(VALU_DEP_2) | instskip(SKIP_1) | instid1(VALU_DEP_2)
	v_add_co_u32 v17, vcc_lo, 0, v16
	s_waitcnt lgkmcnt(0)
	v_add_co_ci_u32_e32 v18, vcc_lo, v20, v18, vcc_lo
.LBB283_55:
	s_or_b32 exec_lo, exec_lo, s11
	v_cmp_gt_u32_e32 vcc_lo, 28, v42
	v_add_nc_u32_e32 v50, 4, v42
	s_mov_b32 s11, exec_lo
	s_waitcnt lgkmcnt(0)
	v_cndmask_b32_e64 v20, 0, 1, vcc_lo
	s_delay_alu instid0(VALU_DEP_1) | instskip(NEXT) | instid1(VALU_DEP_1)
	v_lshlrev_b32_e32 v20, 2, v20
	v_add_lshl_u32 v49, v20, v42, 2
	ds_bpermute_b32 v26, v49, v16
	ds_bpermute_b32 v20, v49, v18
	v_cmpx_le_u32_e64 v50, v15
	;; [unrolled: 22-line block ×4, first 2 shown]
	s_cbranch_execz .LBB283_61
; %bb.60:
	s_waitcnt lgkmcnt(1)
	v_add_co_u32 v15, vcc_lo, v17, v20
	v_add_co_ci_u32_e32 v18, vcc_lo, 0, v18, vcc_lo
	s_delay_alu instid0(VALU_DEP_2) | instskip(SKIP_1) | instid1(VALU_DEP_2)
	v_add_co_u32 v17, vcc_lo, v15, 0
	s_waitcnt lgkmcnt(0)
	v_add_co_ci_u32_e32 v18, vcc_lo, v18, v16, vcc_lo
.LBB283_61:
	s_or_b32 exec_lo, exec_lo, s11
	v_mov_b32_e32 v26, 0
	s_branch .LBB283_63
.LBB283_62:                             ;   in Loop: Header=BB283_63 Depth=1
	s_or_b32 exec_lo, exec_lo, s11
	v_add_co_u32 v17, vcc_lo, v17, v15
	v_subrev_nc_u32_e32 v25, 32, v25
	v_add_co_ci_u32_e32 v18, vcc_lo, v18, v16, vcc_lo
.LBB283_63:                             ; =>This Loop Header: Depth=1
                                        ;     Child Loop BB283_66 Depth 2
	v_and_b32_e32 v15, 0xff, v19
	s_delay_alu instid0(VALU_DEP_1) | instskip(SKIP_2) | instid1(VALU_DEP_1)
	v_cmp_ne_u16_e32 vcc_lo, 2, v15
	v_cndmask_b32_e64 v15, 0, 1, vcc_lo
	;;#ASMSTART
	;;#ASMEND
	v_cmp_ne_u32_e32 vcc_lo, 0, v15
	s_waitcnt lgkmcnt(0)
	v_dual_mov_b32 v15, v17 :: v_dual_mov_b32 v16, v18
	s_cmp_lg_u32 vcc_lo, exec_lo
	s_cbranch_scc1 .LBB283_78
; %bb.64:                               ;   in Loop: Header=BB283_63 Depth=1
	v_lshlrev_b64 v[17:18], 4, v[25:26]
	s_mov_b32 s11, exec_lo
	s_delay_alu instid0(VALU_DEP_1) | instskip(NEXT) | instid1(VALU_DEP_2)
	v_add_co_u32 v27, vcc_lo, s14, v17
	v_add_co_ci_u32_e32 v28, vcc_lo, s15, v18, vcc_lo
	;;#ASMSTART
	global_load_dwordx4 v[17:20], v[27:28] off glc	
s_waitcnt vmcnt(0)
	;;#ASMEND
	v_and_b32_e32 v20, 0xff, v18
	v_and_b32_e32 v55, 0xff00, v18
	v_and_b32_e32 v56, 0xff0000, v18
	v_or3_b32 v17, v17, 0, 0
	v_and_b32_e32 v18, 0xff000000, v18
	s_delay_alu instid0(VALU_DEP_4) | instskip(SKIP_1) | instid1(VALU_DEP_4)
	v_or3_b32 v20, 0, v20, v55
	v_and_b32_e32 v55, 0xff, v19
	v_or3_b32 v17, v17, 0, 0
	s_delay_alu instid0(VALU_DEP_3) | instskip(NEXT) | instid1(VALU_DEP_3)
	v_or3_b32 v18, v20, v56, v18
	v_cmpx_eq_u16_e32 0, v55
	s_cbranch_execz .LBB283_68
; %bb.65:                               ;   in Loop: Header=BB283_63 Depth=1
	s_mov_b32 s16, 0
.LBB283_66:                             ;   Parent Loop BB283_63 Depth=1
                                        ; =>  This Inner Loop Header: Depth=2
	;;#ASMSTART
	global_load_dwordx4 v[17:20], v[27:28] off glc	
s_waitcnt vmcnt(0)
	;;#ASMEND
	v_and_b32_e32 v20, 0xff, v19
	s_delay_alu instid0(VALU_DEP_1) | instskip(SKIP_1) | instid1(SALU_CYCLE_1)
	v_cmp_ne_u16_e32 vcc_lo, 0, v20
	s_or_b32 s16, vcc_lo, s16
	s_and_not1_b32 exec_lo, exec_lo, s16
	s_cbranch_execnz .LBB283_66
; %bb.67:                               ;   in Loop: Header=BB283_63 Depth=1
	s_or_b32 exec_lo, exec_lo, s16
.LBB283_68:                             ;   in Loop: Header=BB283_63 Depth=1
	s_delay_alu instid0(SALU_CYCLE_1)
	s_or_b32 exec_lo, exec_lo, s11
	v_dual_mov_b32 v27, v17 :: v_dual_and_b32 v20, 0xff, v19
	ds_bpermute_b32 v55, v45, v17
	ds_bpermute_b32 v28, v45, v18
	s_mov_b32 s11, exec_lo
	v_cmp_eq_u16_e32 vcc_lo, 2, v20
	v_and_or_b32 v20, vcc_lo, v46, 0x80000000
	s_delay_alu instid0(VALU_DEP_1) | instskip(NEXT) | instid1(VALU_DEP_1)
	v_ctz_i32_b32_e32 v20, v20
	v_cmpx_lt_u32_e64 v42, v20
	s_cbranch_execz .LBB283_70
; %bb.69:                               ;   in Loop: Header=BB283_63 Depth=1
	s_waitcnt lgkmcnt(1)
	v_add_co_u32 v27, vcc_lo, v17, v55
	v_add_co_ci_u32_e32 v18, vcc_lo, 0, v18, vcc_lo
	s_delay_alu instid0(VALU_DEP_2) | instskip(SKIP_1) | instid1(VALU_DEP_2)
	v_add_co_u32 v17, vcc_lo, 0, v27
	s_waitcnt lgkmcnt(0)
	v_add_co_ci_u32_e32 v18, vcc_lo, v28, v18, vcc_lo
.LBB283_70:                             ;   in Loop: Header=BB283_63 Depth=1
	s_or_b32 exec_lo, exec_lo, s11
	s_waitcnt lgkmcnt(1)
	ds_bpermute_b32 v55, v47, v27
	s_waitcnt lgkmcnt(1)
	ds_bpermute_b32 v28, v47, v18
	s_mov_b32 s11, exec_lo
	v_cmpx_le_u32_e64 v48, v20
	s_cbranch_execz .LBB283_72
; %bb.71:                               ;   in Loop: Header=BB283_63 Depth=1
	s_waitcnt lgkmcnt(1)
	v_add_co_u32 v27, vcc_lo, v17, v55
	v_add_co_ci_u32_e32 v18, vcc_lo, 0, v18, vcc_lo
	s_delay_alu instid0(VALU_DEP_2) | instskip(SKIP_1) | instid1(VALU_DEP_2)
	v_add_co_u32 v17, vcc_lo, 0, v27
	s_waitcnt lgkmcnt(0)
	v_add_co_ci_u32_e32 v18, vcc_lo, v28, v18, vcc_lo
.LBB283_72:                             ;   in Loop: Header=BB283_63 Depth=1
	s_or_b32 exec_lo, exec_lo, s11
	s_waitcnt lgkmcnt(1)
	ds_bpermute_b32 v55, v49, v27
	s_waitcnt lgkmcnt(1)
	ds_bpermute_b32 v28, v49, v18
	s_mov_b32 s11, exec_lo
	v_cmpx_le_u32_e64 v50, v20
	;; [unrolled: 17-line block ×3, first 2 shown]
	s_cbranch_execz .LBB283_76
; %bb.75:                               ;   in Loop: Header=BB283_63 Depth=1
	s_waitcnt lgkmcnt(1)
	v_add_co_u32 v27, vcc_lo, v17, v55
	v_add_co_ci_u32_e32 v18, vcc_lo, 0, v18, vcc_lo
	s_delay_alu instid0(VALU_DEP_2) | instskip(SKIP_1) | instid1(VALU_DEP_2)
	v_add_co_u32 v17, vcc_lo, 0, v27
	s_waitcnt lgkmcnt(0)
	v_add_co_ci_u32_e32 v18, vcc_lo, v28, v18, vcc_lo
.LBB283_76:                             ;   in Loop: Header=BB283_63 Depth=1
	s_or_b32 exec_lo, exec_lo, s11
	s_waitcnt lgkmcnt(0)
	ds_bpermute_b32 v28, v53, v27
	ds_bpermute_b32 v27, v53, v18
	s_mov_b32 s11, exec_lo
	v_cmpx_le_u32_e64 v54, v20
	s_cbranch_execz .LBB283_62
; %bb.77:                               ;   in Loop: Header=BB283_63 Depth=1
	s_waitcnt lgkmcnt(1)
	v_add_co_u32 v17, vcc_lo, v17, v28
	v_add_co_ci_u32_e32 v18, vcc_lo, 0, v18, vcc_lo
	s_delay_alu instid0(VALU_DEP_2) | instskip(SKIP_1) | instid1(VALU_DEP_2)
	v_add_co_u32 v17, vcc_lo, v17, 0
	s_waitcnt lgkmcnt(0)
	v_add_co_ci_u32_e32 v18, vcc_lo, v18, v27, vcc_lo
	s_branch .LBB283_62
.LBB283_78:                             ;   in Loop: Header=BB283_63 Depth=1
                                        ; implicit-def: $vgpr17_vgpr18
	s_cbranch_execz .LBB283_63
; %bb.79:
	s_and_saveexec_b32 s11, s1
	s_cbranch_execz .LBB283_81
; %bb.80:
	s_add_i32 s16, s9, 32
	s_mov_b32 s17, 0
	v_add_co_u32 v17, vcc_lo, v15, v13
	s_lshl_b64 s[16:17], s[16:17], 4
	v_dual_mov_b32 v19, 2 :: v_dual_mov_b32 v20, 0
	s_add_u32 s16, s14, s16
	s_addc_u32 s17, s15, s17
	v_add_co_ci_u32_e32 v18, vcc_lo, v16, v14, vcc_lo
	v_dual_mov_b32 v26, s17 :: v_dual_mov_b32 v25, s16
	;;#ASMSTART
	global_store_dwordx4 v[25:26], v[17:20] off	
s_waitcnt vmcnt(0)
	;;#ASMEND
	ds_store_b128 v20, v[13:16] offset:6144
.LBB283_81:
	s_or_b32 exec_lo, exec_lo, s11
	s_delay_alu instid0(SALU_CYCLE_1)
	s_and_b32 exec_lo, exec_lo, s2
	s_cbranch_execz .LBB283_83
; %bb.82:
	v_mov_b32_e32 v13, 0
	ds_store_b64 v13, v[15:16] offset:24
.LBB283_83:
	s_or_b32 exec_lo, exec_lo, s10
	v_mov_b32_e32 v15, 0
	s_waitcnt lgkmcnt(0)
	s_barrier
	buffer_gl0_inv
	v_cndmask_b32_e64 v16, v29, v23, s1
	ds_load_b64 v[13:14], v15 offset:24
	v_cndmask_b32_e64 v17, v30, v24, s1
	s_waitcnt lgkmcnt(0)
	s_barrier
	v_cndmask_b32_e64 v16, v16, 0, s2
	buffer_gl0_inv
	v_cndmask_b32_e64 v17, v17, 0, s2
	v_add_co_u32 v29, vcc_lo, v13, v16
	s_delay_alu instid0(VALU_DEP_2) | instskip(SKIP_3) | instid1(VALU_DEP_2)
	v_add_co_ci_u32_e32 v30, vcc_lo, v14, v17, vcc_lo
	ds_load_b128 v[13:16], v15 offset:6144
	v_add_co_u32 v27, vcc_lo, v29, v41
	v_add_co_ci_u32_e32 v28, vcc_lo, 0, v30, vcc_lo
	v_add_co_u32 v25, vcc_lo, v27, v40
	s_delay_alu instid0(VALU_DEP_2) | instskip(NEXT) | instid1(VALU_DEP_2)
	v_add_co_ci_u32_e32 v26, vcc_lo, 0, v28, vcc_lo
	v_add_co_u32 v23, vcc_lo, v25, v39
	s_delay_alu instid0(VALU_DEP_2) | instskip(NEXT) | instid1(VALU_DEP_2)
	;; [unrolled: 3-line block ×3, first 2 shown]
	v_add_co_ci_u32_e32 v20, vcc_lo, 0, v24, vcc_lo
	v_add_co_u32 v17, vcc_lo, v19, v37
	s_delay_alu instid0(VALU_DEP_2)
	v_add_co_ci_u32_e32 v18, vcc_lo, 0, v20, vcc_lo
.LBB283_84:
	s_waitcnt lgkmcnt(0)
	v_cmp_gt_u64_e32 vcc_lo, 0x81, v[13:14]
	s_mov_b32 s0, -1
	s_cbranch_vccnz .LBB283_112
.LBB283_85:
	s_and_b32 vcc_lo, exec_lo, s0
	s_cbranch_vccnz .LBB283_131
.LBB283_86:
	s_and_b32 s0, s2, s3
	s_delay_alu instid0(SALU_CYCLE_1)
	s_and_saveexec_b32 s1, s0
	s_cbranch_execnz .LBB283_147
.LBB283_87:
	s_nop 0
	s_sendmsg sendmsg(MSG_DEALLOC_VGPRS)
	s_endpgm
.LBB283_88:
                                        ; kill: def $vgpr13_vgpr14 killed $sgpr0_sgpr1 killed $exec
                                        ; implicit-def: $vgpr17_vgpr18
                                        ; implicit-def: $vgpr19_vgpr20
                                        ; implicit-def: $vgpr23_vgpr24
                                        ; implicit-def: $vgpr25_vgpr26
                                        ; implicit-def: $vgpr27_vgpr28
                                        ; implicit-def: $vgpr29_vgpr30
                                        ; implicit-def: $vgpr15_vgpr16
	s_and_b32 vcc_lo, exec_lo, s1
	s_cbranch_vccz .LBB283_84
; %bb.89:
	s_waitcnt lgkmcnt(0)
	v_dual_mov_b32 v14, 0 :: v_dual_mov_b32 v15, v21
	v_mov_b32_dpp v16, v21 row_shr:1 row_mask:0xf bank_mask:0xf
	s_delay_alu instid0(VALU_DEP_2)
	v_mov_b32_dpp v13, v14 row_shr:1 row_mask:0xf bank_mask:0xf
	s_and_saveexec_b32 s1, s0
; %bb.90:
	s_delay_alu instid0(VALU_DEP_2) | instskip(SKIP_1) | instid1(VALU_DEP_2)
	v_add_co_u32 v15, vcc_lo, v21, v16
	v_add_co_ci_u32_e32 v14, vcc_lo, 0, v22, vcc_lo
	v_add_co_u32 v21, vcc_lo, 0, v15
	s_delay_alu instid0(VALU_DEP_2) | instskip(NEXT) | instid1(VALU_DEP_1)
	v_add_co_ci_u32_e32 v22, vcc_lo, v13, v14, vcc_lo
	v_mov_b32_e32 v14, v22
; %bb.91:
	s_or_b32 exec_lo, exec_lo, s1
	v_mov_b32_dpp v13, v15 row_shr:2 row_mask:0xf bank_mask:0xf
	s_delay_alu instid0(VALU_DEP_2)
	v_mov_b32_dpp v16, v14 row_shr:2 row_mask:0xf bank_mask:0xf
	s_mov_b32 s0, exec_lo
	v_cmpx_lt_u32_e32 1, v44
; %bb.92:
	s_delay_alu instid0(VALU_DEP_3) | instskip(SKIP_1) | instid1(VALU_DEP_2)
	v_add_co_u32 v15, vcc_lo, v21, v13
	v_add_co_ci_u32_e32 v14, vcc_lo, 0, v22, vcc_lo
	v_add_co_u32 v13, vcc_lo, 0, v15
	s_delay_alu instid0(VALU_DEP_2) | instskip(NEXT) | instid1(VALU_DEP_1)
	v_add_co_ci_u32_e32 v14, vcc_lo, v16, v14, vcc_lo
	v_dual_mov_b32 v22, v14 :: v_dual_mov_b32 v21, v13
; %bb.93:
	s_or_b32 exec_lo, exec_lo, s0
	v_mov_b32_dpp v13, v15 row_shr:4 row_mask:0xf bank_mask:0xf
	v_mov_b32_dpp v16, v14 row_shr:4 row_mask:0xf bank_mask:0xf
	s_mov_b32 s0, exec_lo
	v_cmpx_lt_u32_e32 3, v44
; %bb.94:
	s_delay_alu instid0(VALU_DEP_3) | instskip(SKIP_1) | instid1(VALU_DEP_2)
	v_add_co_u32 v15, vcc_lo, v21, v13
	v_add_co_ci_u32_e32 v14, vcc_lo, 0, v22, vcc_lo
	v_add_co_u32 v13, vcc_lo, 0, v15
	s_delay_alu instid0(VALU_DEP_2) | instskip(NEXT) | instid1(VALU_DEP_1)
	v_add_co_ci_u32_e32 v14, vcc_lo, v16, v14, vcc_lo
	v_dual_mov_b32 v22, v14 :: v_dual_mov_b32 v21, v13
; %bb.95:
	s_or_b32 exec_lo, exec_lo, s0
	v_mov_b32_dpp v16, v15 row_shr:8 row_mask:0xf bank_mask:0xf
	v_mov_b32_dpp v13, v14 row_shr:8 row_mask:0xf bank_mask:0xf
	s_mov_b32 s0, exec_lo
	v_cmpx_lt_u32_e32 7, v44
; %bb.96:
	s_delay_alu instid0(VALU_DEP_3) | instskip(SKIP_1) | instid1(VALU_DEP_2)
	v_add_co_u32 v15, vcc_lo, v21, v16
	v_add_co_ci_u32_e32 v14, vcc_lo, 0, v22, vcc_lo
	v_add_co_u32 v21, vcc_lo, 0, v15
	s_delay_alu instid0(VALU_DEP_2) | instskip(NEXT) | instid1(VALU_DEP_1)
	v_add_co_ci_u32_e32 v22, vcc_lo, v13, v14, vcc_lo
	v_mov_b32_e32 v14, v22
; %bb.97:
	s_or_b32 exec_lo, exec_lo, s0
	ds_swizzle_b32 v15, v15 offset:swizzle(BROADCAST,32,15)
	ds_swizzle_b32 v13, v14 offset:swizzle(BROADCAST,32,15)
	v_and_b32_e32 v14, 16, v42
	s_mov_b32 s0, exec_lo
	s_delay_alu instid0(VALU_DEP_1)
	v_cmpx_ne_u32_e32 0, v14
	s_cbranch_execz .LBB283_99
; %bb.98:
	s_waitcnt lgkmcnt(1)
	v_add_co_u32 v14, vcc_lo, v21, v15
	v_add_co_ci_u32_e32 v15, vcc_lo, 0, v22, vcc_lo
	s_delay_alu instid0(VALU_DEP_2) | instskip(SKIP_1) | instid1(VALU_DEP_2)
	v_add_co_u32 v21, vcc_lo, v14, 0
	s_waitcnt lgkmcnt(0)
	v_add_co_ci_u32_e32 v22, vcc_lo, v15, v13, vcc_lo
.LBB283_99:
	s_or_b32 exec_lo, exec_lo, s0
	s_waitcnt lgkmcnt(0)
	v_or_b32_e32 v13, 31, v0
	v_lshrrev_b32_e32 v15, 5, v0
	s_mov_b32 s0, exec_lo
	s_delay_alu instid0(VALU_DEP_2)
	v_cmpx_eq_u32_e64 v13, v0
	s_cbranch_execz .LBB283_101
; %bb.100:
	s_delay_alu instid0(VALU_DEP_2)
	v_lshlrev_b32_e32 v13, 3, v15
	ds_store_b64 v13, v[21:22]
.LBB283_101:
	s_or_b32 exec_lo, exec_lo, s0
	s_delay_alu instid0(SALU_CYCLE_1)
	s_mov_b32 s0, exec_lo
	s_waitcnt lgkmcnt(0)
	s_barrier
	buffer_gl0_inv
	v_cmpx_gt_u32_e32 4, v0
	s_cbranch_execz .LBB283_107
; %bb.102:
	v_lshlrev_b32_e32 v13, 1, v0
	s_mov_b32 s1, exec_lo
	s_delay_alu instid0(VALU_DEP_1)
	v_add_nc_u32_e32 v16, v43, v13
	ds_load_b64 v[13:14], v16
	s_waitcnt lgkmcnt(0)
	v_dual_mov_b32 v18, v13 :: v_dual_and_b32 v17, 3, v42
	v_mov_b32_dpp v20, v13 row_shr:1 row_mask:0xf bank_mask:0xf
	v_mov_b32_dpp v19, v14 row_shr:1 row_mask:0xf bank_mask:0xf
	s_delay_alu instid0(VALU_DEP_3)
	v_cmpx_ne_u32_e32 0, v17
; %bb.103:
	s_delay_alu instid0(VALU_DEP_3) | instskip(SKIP_1) | instid1(VALU_DEP_2)
	v_add_co_u32 v18, vcc_lo, v13, v20
	v_add_co_ci_u32_e32 v14, vcc_lo, 0, v14, vcc_lo
	v_add_co_u32 v13, vcc_lo, 0, v18
	s_delay_alu instid0(VALU_DEP_2)
	v_add_co_ci_u32_e32 v14, vcc_lo, v19, v14, vcc_lo
; %bb.104:
	s_or_b32 exec_lo, exec_lo, s1
	v_mov_b32_dpp v19, v18 row_shr:2 row_mask:0xf bank_mask:0xf
	s_delay_alu instid0(VALU_DEP_2)
	v_mov_b32_dpp v18, v14 row_shr:2 row_mask:0xf bank_mask:0xf
	s_mov_b32 s1, exec_lo
	v_cmpx_lt_u32_e32 1, v17
; %bb.105:
	s_delay_alu instid0(VALU_DEP_3) | instskip(SKIP_1) | instid1(VALU_DEP_2)
	v_add_co_u32 v13, vcc_lo, v13, v19
	v_add_co_ci_u32_e32 v14, vcc_lo, 0, v14, vcc_lo
	v_add_co_u32 v13, vcc_lo, v13, 0
	s_delay_alu instid0(VALU_DEP_2)
	v_add_co_ci_u32_e32 v14, vcc_lo, v14, v18, vcc_lo
; %bb.106:
	s_or_b32 exec_lo, exec_lo, s1
	ds_store_b64 v16, v[13:14]
.LBB283_107:
	s_or_b32 exec_lo, exec_lo, s0
	v_mov_b32_e32 v17, 0
	v_mov_b32_e32 v18, 0
	s_mov_b32 s0, exec_lo
	s_waitcnt lgkmcnt(0)
	s_barrier
	buffer_gl0_inv
	v_cmpx_lt_u32_e32 31, v0
	s_cbranch_execz .LBB283_109
; %bb.108:
	v_lshl_add_u32 v13, v15, 3, -8
	ds_load_b64 v[17:18], v13
.LBB283_109:
	s_or_b32 exec_lo, exec_lo, s0
	v_dual_mov_b32 v16, 0 :: v_dual_add_nc_u32 v13, -1, v42
	s_delay_alu instid0(VALU_DEP_1) | instskip(SKIP_4) | instid1(VALU_DEP_3)
	v_cmp_gt_i32_e32 vcc_lo, 0, v13
	v_cndmask_b32_e32 v13, v13, v42, vcc_lo
	s_waitcnt lgkmcnt(0)
	v_add_co_u32 v14, vcc_lo, v17, v21
	v_add_co_ci_u32_e32 v15, vcc_lo, v18, v22, vcc_lo
	v_lshlrev_b32_e32 v13, 2, v13
	ds_bpermute_b32 v19, v13, v14
	ds_bpermute_b32 v20, v13, v15
	ds_load_b64 v[13:14], v16 offset:24
	s_and_saveexec_b32 s0, s2
	s_cbranch_execz .LBB283_111
; %bb.110:
	s_add_u32 s10, s14, 0x200
	s_addc_u32 s11, s15, 0
	s_delay_alu instid0(SALU_CYCLE_1)
	v_dual_mov_b32 v15, 2 :: v_dual_mov_b32 v22, s11
	v_mov_b32_e32 v21, s10
	s_waitcnt lgkmcnt(0)
	;;#ASMSTART
	global_store_dwordx4 v[21:22], v[13:16] off	
s_waitcnt vmcnt(0)
	;;#ASMEND
.LBB283_111:
	s_or_b32 exec_lo, exec_lo, s0
	v_cmp_eq_u32_e32 vcc_lo, 0, v42
	s_waitcnt lgkmcnt(0)
	s_barrier
	buffer_gl0_inv
	v_dual_cndmask_b32 v15, v19, v17 :: v_dual_cndmask_b32 v16, v20, v18
	s_delay_alu instid0(VALU_DEP_1) | instskip(NEXT) | instid1(VALU_DEP_2)
	v_cndmask_b32_e64 v29, v15, 0, s2
	v_cndmask_b32_e64 v30, v16, 0, s2
	v_mov_b32_e32 v15, 0
	v_mov_b32_e32 v16, 0
	s_delay_alu instid0(VALU_DEP_4) | instskip(NEXT) | instid1(VALU_DEP_4)
	v_add_co_u32 v27, vcc_lo, v29, v41
	v_add_co_ci_u32_e32 v28, vcc_lo, 0, v30, vcc_lo
	s_delay_alu instid0(VALU_DEP_2) | instskip(NEXT) | instid1(VALU_DEP_2)
	v_add_co_u32 v25, vcc_lo, v27, v40
	v_add_co_ci_u32_e32 v26, vcc_lo, 0, v28, vcc_lo
	s_delay_alu instid0(VALU_DEP_2) | instskip(NEXT) | instid1(VALU_DEP_2)
	;; [unrolled: 3-line block ×4, first 2 shown]
	v_add_co_u32 v17, vcc_lo, v19, v37
	v_add_co_ci_u32_e32 v18, vcc_lo, 0, v20, vcc_lo
	v_cmp_gt_u64_e32 vcc_lo, 0x81, v[13:14]
	s_mov_b32 s0, -1
	s_cbranch_vccz .LBB283_85
.LBB283_112:
	v_add_co_u32 v21, vcc_lo, v15, v13
	v_add_co_ci_u32_e32 v22, vcc_lo, v16, v14, vcc_lo
	s_delay_alu instid0(VALU_DEP_1) | instskip(SKIP_1) | instid1(SALU_CYCLE_1)
	v_cmp_lt_u64_e32 vcc_lo, v[29:30], v[21:22]
	s_or_b32 s1, s8, vcc_lo
	s_and_saveexec_b32 s0, s1
	s_cbranch_execz .LBB283_115
; %bb.113:
	v_and_b32_e32 v37, 1, v36
	s_delay_alu instid0(VALU_DEP_1)
	v_cmp_eq_u32_e32 vcc_lo, 1, v37
	s_and_b32 exec_lo, exec_lo, vcc_lo
	s_cbranch_execz .LBB283_115
; %bb.114:
	v_lshlrev_b64 v[37:38], 3, v[29:30]
	s_lshl_b64 s[10:11], s[6:7], 3
	s_delay_alu instid0(SALU_CYCLE_1) | instskip(SKIP_1) | instid1(VALU_DEP_1)
	s_add_u32 s1, s12, s10
	s_addc_u32 s9, s13, s11
	v_add_co_u32 v37, vcc_lo, s1, v37
	s_delay_alu instid0(VALU_DEP_2)
	v_add_co_ci_u32_e32 v38, vcc_lo, s9, v38, vcc_lo
	global_store_b64 v[37:38], v[9:10], off
.LBB283_115:
	s_or_b32 exec_lo, exec_lo, s0
	v_cmp_lt_u64_e32 vcc_lo, v[27:28], v[21:22]
	s_or_b32 s1, s8, vcc_lo
	s_delay_alu instid0(SALU_CYCLE_1)
	s_and_saveexec_b32 s0, s1
	s_cbranch_execz .LBB283_118
; %bb.116:
	v_and_b32_e32 v30, 1, v34
	s_delay_alu instid0(VALU_DEP_1)
	v_cmp_eq_u32_e32 vcc_lo, 1, v30
	s_and_b32 exec_lo, exec_lo, vcc_lo
	s_cbranch_execz .LBB283_118
; %bb.117:
	v_lshlrev_b64 v[37:38], 3, v[27:28]
	s_lshl_b64 s[10:11], s[6:7], 3
	s_delay_alu instid0(SALU_CYCLE_1) | instskip(SKIP_1) | instid1(VALU_DEP_1)
	s_add_u32 s1, s12, s10
	s_addc_u32 s9, s13, s11
	v_add_co_u32 v37, vcc_lo, s1, v37
	s_delay_alu instid0(VALU_DEP_2)
	v_add_co_ci_u32_e32 v38, vcc_lo, s9, v38, vcc_lo
	global_store_b64 v[37:38], v[11:12], off
.LBB283_118:
	s_or_b32 exec_lo, exec_lo, s0
	v_cmp_lt_u64_e32 vcc_lo, v[25:26], v[21:22]
	s_or_b32 s1, s8, vcc_lo
	s_delay_alu instid0(SALU_CYCLE_1)
	;; [unrolled: 23-line block ×5, first 2 shown]
	s_and_saveexec_b32 s0, s1
	s_cbranch_execz .LBB283_130
; %bb.128:
	v_and_b32_e32 v20, 1, v32
	s_delay_alu instid0(VALU_DEP_1)
	v_cmp_eq_u32_e32 vcc_lo, 1, v20
	s_and_b32 exec_lo, exec_lo, vcc_lo
	s_cbranch_execz .LBB283_130
; %bb.129:
	v_lshlrev_b64 v[20:21], 3, v[17:18]
	s_lshl_b64 s[8:9], s[6:7], 3
	s_delay_alu instid0(SALU_CYCLE_1) | instskip(SKIP_1) | instid1(VALU_DEP_1)
	s_add_u32 s1, s12, s8
	s_addc_u32 s8, s13, s9
	v_add_co_u32 v20, vcc_lo, s1, v20
	s_delay_alu instid0(VALU_DEP_2)
	v_add_co_ci_u32_e32 v21, vcc_lo, s8, v21, vcc_lo
	global_store_b64 v[20:21], v[3:4], off
.LBB283_130:
	s_or_b32 exec_lo, exec_lo, s0
	s_branch .LBB283_86
.LBB283_131:
	v_and_b32_e32 v18, 1, v36
	s_mov_b32 s0, exec_lo
	s_delay_alu instid0(VALU_DEP_1)
	v_cmpx_eq_u32_e32 1, v18
	s_cbranch_execz .LBB283_133
; %bb.132:
	v_sub_nc_u32_e32 v18, v29, v15
	s_delay_alu instid0(VALU_DEP_1)
	v_lshlrev_b32_e32 v18, 3, v18
	ds_store_b64 v18, v[9:10]
.LBB283_133:
	s_or_b32 exec_lo, exec_lo, s0
	v_and_b32_e32 v9, 1, v34
	s_mov_b32 s0, exec_lo
	s_delay_alu instid0(VALU_DEP_1)
	v_cmpx_eq_u32_e32 1, v9
	s_cbranch_execz .LBB283_135
; %bb.134:
	v_sub_nc_u32_e32 v9, v27, v15
	s_delay_alu instid0(VALU_DEP_1)
	v_lshlrev_b32_e32 v9, 3, v9
	ds_store_b64 v9, v[11:12]
.LBB283_135:
	s_or_b32 exec_lo, exec_lo, s0
	;; [unrolled: 12-line block ×6, first 2 shown]
	v_mov_b32_e32 v1, 0
	s_mov_b32 s1, exec_lo
	s_waitcnt lgkmcnt(0)
	s_waitcnt_vscnt null, 0x0
	s_barrier
	buffer_gl0_inv
	v_cmpx_gt_u64_e64 v[13:14], v[0:1]
	s_cbranch_execz .LBB283_146
; %bb.144:
	v_lshlrev_b64 v[4:5], 3, v[15:16]
	s_lshl_b64 s[8:9], s[6:7], 3
	v_dual_mov_b32 v3, v1 :: v_dual_mov_b32 v2, v0
	v_or_b32_e32 v0, 0x80, v0
	s_delay_alu instid0(VALU_DEP_3) | instskip(NEXT) | instid1(VALU_DEP_4)
	v_add_co_u32 v4, vcc_lo, s12, v4
	v_add_co_ci_u32_e32 v5, vcc_lo, s13, v5, vcc_lo
	s_delay_alu instid0(VALU_DEP_2) | instskip(NEXT) | instid1(VALU_DEP_2)
	v_add_co_u32 v4, vcc_lo, v4, s8
	v_add_co_ci_u32_e32 v5, vcc_lo, s9, v5, vcc_lo
	s_mov_b32 s8, 0
	.p2align	6
.LBB283_145:                            ; =>This Inner Loop Header: Depth=1
	v_lshlrev_b32_e32 v6, 3, v2
	v_lshlrev_b64 v[8:9], 3, v[2:3]
	v_mov_b32_e32 v3, v1
	v_cmp_le_u64_e32 vcc_lo, v[13:14], v[0:1]
	v_mov_b32_e32 v2, v0
	ds_load_b64 v[6:7], v6
	v_add_nc_u32_e32 v0, 0x80, v0
	v_add_co_u32 v8, s0, v4, v8
	s_delay_alu instid0(VALU_DEP_1)
	v_add_co_ci_u32_e64 v9, s0, v5, v9, s0
	s_or_b32 s8, vcc_lo, s8
	s_waitcnt lgkmcnt(0)
	global_store_b64 v[8:9], v[6:7], off
	s_and_not1_b32 exec_lo, exec_lo, s8
	s_cbranch_execnz .LBB283_145
.LBB283_146:
	s_or_b32 exec_lo, exec_lo, s1
	s_and_b32 s0, s2, s3
	s_delay_alu instid0(SALU_CYCLE_1)
	s_and_saveexec_b32 s1, s0
	s_cbranch_execz .LBB283_87
.LBB283_147:
	v_add_co_u32 v0, vcc_lo, v15, v13
	v_add_co_ci_u32_e32 v1, vcc_lo, v16, v14, vcc_lo
	v_mov_b32_e32 v2, 0
	s_delay_alu instid0(VALU_DEP_3) | instskip(NEXT) | instid1(VALU_DEP_3)
	v_add_co_u32 v0, vcc_lo, v0, s6
	v_add_co_ci_u32_e32 v1, vcc_lo, s7, v1, vcc_lo
	global_store_b64 v2, v[0:1], s[4:5]
	s_nop 0
	s_sendmsg sendmsg(MSG_DEALLOC_VGPRS)
	s_endpgm
	.section	.rodata,"a",@progbits
	.p2align	6, 0x0
	.amdhsa_kernel _ZN7rocprim17ROCPRIM_400000_NS6detail17trampoline_kernelINS0_14default_configENS1_25partition_config_selectorILNS1_17partition_subalgoE5ElNS0_10empty_typeEbEEZZNS1_14partition_implILS5_5ELb0ES3_mN6hipcub16HIPCUB_304000_NS21CountingInputIteratorIllEEPS6_NSA_22TransformInputIteratorIb7NonZeroIfEPflEENS0_5tupleIJPlS6_EEENSJ_IJSD_SD_EEES6_SK_JS6_EEE10hipError_tPvRmT3_T4_T5_T6_T7_T9_mT8_P12ihipStream_tbDpT10_ENKUlT_T0_E_clISt17integral_constantIbLb0EES15_IbLb1EEEEDaS11_S12_EUlS11_E_NS1_11comp_targetILNS1_3genE9ELNS1_11target_archE1100ELNS1_3gpuE3ELNS1_3repE0EEENS1_30default_config_static_selectorELNS0_4arch9wavefront6targetE0EEEvT1_
		.amdhsa_group_segment_fixed_size 6160
		.amdhsa_private_segment_fixed_size 0
		.amdhsa_kernarg_size 136
		.amdhsa_user_sgpr_count 15
		.amdhsa_user_sgpr_dispatch_ptr 0
		.amdhsa_user_sgpr_queue_ptr 0
		.amdhsa_user_sgpr_kernarg_segment_ptr 1
		.amdhsa_user_sgpr_dispatch_id 0
		.amdhsa_user_sgpr_private_segment_size 0
		.amdhsa_wavefront_size32 1
		.amdhsa_uses_dynamic_stack 0
		.amdhsa_enable_private_segment 0
		.amdhsa_system_sgpr_workgroup_id_x 1
		.amdhsa_system_sgpr_workgroup_id_y 0
		.amdhsa_system_sgpr_workgroup_id_z 0
		.amdhsa_system_sgpr_workgroup_info 0
		.amdhsa_system_vgpr_workitem_id 0
		.amdhsa_next_free_vgpr 57
		.amdhsa_next_free_sgpr 24
		.amdhsa_reserve_vcc 1
		.amdhsa_float_round_mode_32 0
		.amdhsa_float_round_mode_16_64 0
		.amdhsa_float_denorm_mode_32 3
		.amdhsa_float_denorm_mode_16_64 3
		.amdhsa_dx10_clamp 1
		.amdhsa_ieee_mode 1
		.amdhsa_fp16_overflow 0
		.amdhsa_workgroup_processor_mode 1
		.amdhsa_memory_ordered 1
		.amdhsa_forward_progress 0
		.amdhsa_shared_vgpr_count 0
		.amdhsa_exception_fp_ieee_invalid_op 0
		.amdhsa_exception_fp_denorm_src 0
		.amdhsa_exception_fp_ieee_div_zero 0
		.amdhsa_exception_fp_ieee_overflow 0
		.amdhsa_exception_fp_ieee_underflow 0
		.amdhsa_exception_fp_ieee_inexact 0
		.amdhsa_exception_int_div_zero 0
	.end_amdhsa_kernel
	.section	.text._ZN7rocprim17ROCPRIM_400000_NS6detail17trampoline_kernelINS0_14default_configENS1_25partition_config_selectorILNS1_17partition_subalgoE5ElNS0_10empty_typeEbEEZZNS1_14partition_implILS5_5ELb0ES3_mN6hipcub16HIPCUB_304000_NS21CountingInputIteratorIllEEPS6_NSA_22TransformInputIteratorIb7NonZeroIfEPflEENS0_5tupleIJPlS6_EEENSJ_IJSD_SD_EEES6_SK_JS6_EEE10hipError_tPvRmT3_T4_T5_T6_T7_T9_mT8_P12ihipStream_tbDpT10_ENKUlT_T0_E_clISt17integral_constantIbLb0EES15_IbLb1EEEEDaS11_S12_EUlS11_E_NS1_11comp_targetILNS1_3genE9ELNS1_11target_archE1100ELNS1_3gpuE3ELNS1_3repE0EEENS1_30default_config_static_selectorELNS0_4arch9wavefront6targetE0EEEvT1_,"axG",@progbits,_ZN7rocprim17ROCPRIM_400000_NS6detail17trampoline_kernelINS0_14default_configENS1_25partition_config_selectorILNS1_17partition_subalgoE5ElNS0_10empty_typeEbEEZZNS1_14partition_implILS5_5ELb0ES3_mN6hipcub16HIPCUB_304000_NS21CountingInputIteratorIllEEPS6_NSA_22TransformInputIteratorIb7NonZeroIfEPflEENS0_5tupleIJPlS6_EEENSJ_IJSD_SD_EEES6_SK_JS6_EEE10hipError_tPvRmT3_T4_T5_T6_T7_T9_mT8_P12ihipStream_tbDpT10_ENKUlT_T0_E_clISt17integral_constantIbLb0EES15_IbLb1EEEEDaS11_S12_EUlS11_E_NS1_11comp_targetILNS1_3genE9ELNS1_11target_archE1100ELNS1_3gpuE3ELNS1_3repE0EEENS1_30default_config_static_selectorELNS0_4arch9wavefront6targetE0EEEvT1_,comdat
.Lfunc_end283:
	.size	_ZN7rocprim17ROCPRIM_400000_NS6detail17trampoline_kernelINS0_14default_configENS1_25partition_config_selectorILNS1_17partition_subalgoE5ElNS0_10empty_typeEbEEZZNS1_14partition_implILS5_5ELb0ES3_mN6hipcub16HIPCUB_304000_NS21CountingInputIteratorIllEEPS6_NSA_22TransformInputIteratorIb7NonZeroIfEPflEENS0_5tupleIJPlS6_EEENSJ_IJSD_SD_EEES6_SK_JS6_EEE10hipError_tPvRmT3_T4_T5_T6_T7_T9_mT8_P12ihipStream_tbDpT10_ENKUlT_T0_E_clISt17integral_constantIbLb0EES15_IbLb1EEEEDaS11_S12_EUlS11_E_NS1_11comp_targetILNS1_3genE9ELNS1_11target_archE1100ELNS1_3gpuE3ELNS1_3repE0EEENS1_30default_config_static_selectorELNS0_4arch9wavefront6targetE0EEEvT1_, .Lfunc_end283-_ZN7rocprim17ROCPRIM_400000_NS6detail17trampoline_kernelINS0_14default_configENS1_25partition_config_selectorILNS1_17partition_subalgoE5ElNS0_10empty_typeEbEEZZNS1_14partition_implILS5_5ELb0ES3_mN6hipcub16HIPCUB_304000_NS21CountingInputIteratorIllEEPS6_NSA_22TransformInputIteratorIb7NonZeroIfEPflEENS0_5tupleIJPlS6_EEENSJ_IJSD_SD_EEES6_SK_JS6_EEE10hipError_tPvRmT3_T4_T5_T6_T7_T9_mT8_P12ihipStream_tbDpT10_ENKUlT_T0_E_clISt17integral_constantIbLb0EES15_IbLb1EEEEDaS11_S12_EUlS11_E_NS1_11comp_targetILNS1_3genE9ELNS1_11target_archE1100ELNS1_3gpuE3ELNS1_3repE0EEENS1_30default_config_static_selectorELNS0_4arch9wavefront6targetE0EEEvT1_
                                        ; -- End function
	.section	.AMDGPU.csdata,"",@progbits
; Kernel info:
; codeLenInByte = 6480
; NumSgprs: 26
; NumVgprs: 57
; ScratchSize: 0
; MemoryBound: 0
; FloatMode: 240
; IeeeMode: 1
; LDSByteSize: 6160 bytes/workgroup (compile time only)
; SGPRBlocks: 3
; VGPRBlocks: 7
; NumSGPRsForWavesPerEU: 26
; NumVGPRsForWavesPerEU: 57
; Occupancy: 16
; WaveLimiterHint : 1
; COMPUTE_PGM_RSRC2:SCRATCH_EN: 0
; COMPUTE_PGM_RSRC2:USER_SGPR: 15
; COMPUTE_PGM_RSRC2:TRAP_HANDLER: 0
; COMPUTE_PGM_RSRC2:TGID_X_EN: 1
; COMPUTE_PGM_RSRC2:TGID_Y_EN: 0
; COMPUTE_PGM_RSRC2:TGID_Z_EN: 0
; COMPUTE_PGM_RSRC2:TIDIG_COMP_CNT: 0
	.section	.text._ZN7rocprim17ROCPRIM_400000_NS6detail17trampoline_kernelINS0_14default_configENS1_25partition_config_selectorILNS1_17partition_subalgoE5ElNS0_10empty_typeEbEEZZNS1_14partition_implILS5_5ELb0ES3_mN6hipcub16HIPCUB_304000_NS21CountingInputIteratorIllEEPS6_NSA_22TransformInputIteratorIb7NonZeroIfEPflEENS0_5tupleIJPlS6_EEENSJ_IJSD_SD_EEES6_SK_JS6_EEE10hipError_tPvRmT3_T4_T5_T6_T7_T9_mT8_P12ihipStream_tbDpT10_ENKUlT_T0_E_clISt17integral_constantIbLb0EES15_IbLb1EEEEDaS11_S12_EUlS11_E_NS1_11comp_targetILNS1_3genE8ELNS1_11target_archE1030ELNS1_3gpuE2ELNS1_3repE0EEENS1_30default_config_static_selectorELNS0_4arch9wavefront6targetE0EEEvT1_,"axG",@progbits,_ZN7rocprim17ROCPRIM_400000_NS6detail17trampoline_kernelINS0_14default_configENS1_25partition_config_selectorILNS1_17partition_subalgoE5ElNS0_10empty_typeEbEEZZNS1_14partition_implILS5_5ELb0ES3_mN6hipcub16HIPCUB_304000_NS21CountingInputIteratorIllEEPS6_NSA_22TransformInputIteratorIb7NonZeroIfEPflEENS0_5tupleIJPlS6_EEENSJ_IJSD_SD_EEES6_SK_JS6_EEE10hipError_tPvRmT3_T4_T5_T6_T7_T9_mT8_P12ihipStream_tbDpT10_ENKUlT_T0_E_clISt17integral_constantIbLb0EES15_IbLb1EEEEDaS11_S12_EUlS11_E_NS1_11comp_targetILNS1_3genE8ELNS1_11target_archE1030ELNS1_3gpuE2ELNS1_3repE0EEENS1_30default_config_static_selectorELNS0_4arch9wavefront6targetE0EEEvT1_,comdat
	.protected	_ZN7rocprim17ROCPRIM_400000_NS6detail17trampoline_kernelINS0_14default_configENS1_25partition_config_selectorILNS1_17partition_subalgoE5ElNS0_10empty_typeEbEEZZNS1_14partition_implILS5_5ELb0ES3_mN6hipcub16HIPCUB_304000_NS21CountingInputIteratorIllEEPS6_NSA_22TransformInputIteratorIb7NonZeroIfEPflEENS0_5tupleIJPlS6_EEENSJ_IJSD_SD_EEES6_SK_JS6_EEE10hipError_tPvRmT3_T4_T5_T6_T7_T9_mT8_P12ihipStream_tbDpT10_ENKUlT_T0_E_clISt17integral_constantIbLb0EES15_IbLb1EEEEDaS11_S12_EUlS11_E_NS1_11comp_targetILNS1_3genE8ELNS1_11target_archE1030ELNS1_3gpuE2ELNS1_3repE0EEENS1_30default_config_static_selectorELNS0_4arch9wavefront6targetE0EEEvT1_ ; -- Begin function _ZN7rocprim17ROCPRIM_400000_NS6detail17trampoline_kernelINS0_14default_configENS1_25partition_config_selectorILNS1_17partition_subalgoE5ElNS0_10empty_typeEbEEZZNS1_14partition_implILS5_5ELb0ES3_mN6hipcub16HIPCUB_304000_NS21CountingInputIteratorIllEEPS6_NSA_22TransformInputIteratorIb7NonZeroIfEPflEENS0_5tupleIJPlS6_EEENSJ_IJSD_SD_EEES6_SK_JS6_EEE10hipError_tPvRmT3_T4_T5_T6_T7_T9_mT8_P12ihipStream_tbDpT10_ENKUlT_T0_E_clISt17integral_constantIbLb0EES15_IbLb1EEEEDaS11_S12_EUlS11_E_NS1_11comp_targetILNS1_3genE8ELNS1_11target_archE1030ELNS1_3gpuE2ELNS1_3repE0EEENS1_30default_config_static_selectorELNS0_4arch9wavefront6targetE0EEEvT1_
	.globl	_ZN7rocprim17ROCPRIM_400000_NS6detail17trampoline_kernelINS0_14default_configENS1_25partition_config_selectorILNS1_17partition_subalgoE5ElNS0_10empty_typeEbEEZZNS1_14partition_implILS5_5ELb0ES3_mN6hipcub16HIPCUB_304000_NS21CountingInputIteratorIllEEPS6_NSA_22TransformInputIteratorIb7NonZeroIfEPflEENS0_5tupleIJPlS6_EEENSJ_IJSD_SD_EEES6_SK_JS6_EEE10hipError_tPvRmT3_T4_T5_T6_T7_T9_mT8_P12ihipStream_tbDpT10_ENKUlT_T0_E_clISt17integral_constantIbLb0EES15_IbLb1EEEEDaS11_S12_EUlS11_E_NS1_11comp_targetILNS1_3genE8ELNS1_11target_archE1030ELNS1_3gpuE2ELNS1_3repE0EEENS1_30default_config_static_selectorELNS0_4arch9wavefront6targetE0EEEvT1_
	.p2align	8
	.type	_ZN7rocprim17ROCPRIM_400000_NS6detail17trampoline_kernelINS0_14default_configENS1_25partition_config_selectorILNS1_17partition_subalgoE5ElNS0_10empty_typeEbEEZZNS1_14partition_implILS5_5ELb0ES3_mN6hipcub16HIPCUB_304000_NS21CountingInputIteratorIllEEPS6_NSA_22TransformInputIteratorIb7NonZeroIfEPflEENS0_5tupleIJPlS6_EEENSJ_IJSD_SD_EEES6_SK_JS6_EEE10hipError_tPvRmT3_T4_T5_T6_T7_T9_mT8_P12ihipStream_tbDpT10_ENKUlT_T0_E_clISt17integral_constantIbLb0EES15_IbLb1EEEEDaS11_S12_EUlS11_E_NS1_11comp_targetILNS1_3genE8ELNS1_11target_archE1030ELNS1_3gpuE2ELNS1_3repE0EEENS1_30default_config_static_selectorELNS0_4arch9wavefront6targetE0EEEvT1_,@function
_ZN7rocprim17ROCPRIM_400000_NS6detail17trampoline_kernelINS0_14default_configENS1_25partition_config_selectorILNS1_17partition_subalgoE5ElNS0_10empty_typeEbEEZZNS1_14partition_implILS5_5ELb0ES3_mN6hipcub16HIPCUB_304000_NS21CountingInputIteratorIllEEPS6_NSA_22TransformInputIteratorIb7NonZeroIfEPflEENS0_5tupleIJPlS6_EEENSJ_IJSD_SD_EEES6_SK_JS6_EEE10hipError_tPvRmT3_T4_T5_T6_T7_T9_mT8_P12ihipStream_tbDpT10_ENKUlT_T0_E_clISt17integral_constantIbLb0EES15_IbLb1EEEEDaS11_S12_EUlS11_E_NS1_11comp_targetILNS1_3genE8ELNS1_11target_archE1030ELNS1_3gpuE2ELNS1_3repE0EEENS1_30default_config_static_selectorELNS0_4arch9wavefront6targetE0EEEvT1_: ; @_ZN7rocprim17ROCPRIM_400000_NS6detail17trampoline_kernelINS0_14default_configENS1_25partition_config_selectorILNS1_17partition_subalgoE5ElNS0_10empty_typeEbEEZZNS1_14partition_implILS5_5ELb0ES3_mN6hipcub16HIPCUB_304000_NS21CountingInputIteratorIllEEPS6_NSA_22TransformInputIteratorIb7NonZeroIfEPflEENS0_5tupleIJPlS6_EEENSJ_IJSD_SD_EEES6_SK_JS6_EEE10hipError_tPvRmT3_T4_T5_T6_T7_T9_mT8_P12ihipStream_tbDpT10_ENKUlT_T0_E_clISt17integral_constantIbLb0EES15_IbLb1EEEEDaS11_S12_EUlS11_E_NS1_11comp_targetILNS1_3genE8ELNS1_11target_archE1030ELNS1_3gpuE2ELNS1_3repE0EEENS1_30default_config_static_selectorELNS0_4arch9wavefront6targetE0EEEvT1_
; %bb.0:
	.section	.rodata,"a",@progbits
	.p2align	6, 0x0
	.amdhsa_kernel _ZN7rocprim17ROCPRIM_400000_NS6detail17trampoline_kernelINS0_14default_configENS1_25partition_config_selectorILNS1_17partition_subalgoE5ElNS0_10empty_typeEbEEZZNS1_14partition_implILS5_5ELb0ES3_mN6hipcub16HIPCUB_304000_NS21CountingInputIteratorIllEEPS6_NSA_22TransformInputIteratorIb7NonZeroIfEPflEENS0_5tupleIJPlS6_EEENSJ_IJSD_SD_EEES6_SK_JS6_EEE10hipError_tPvRmT3_T4_T5_T6_T7_T9_mT8_P12ihipStream_tbDpT10_ENKUlT_T0_E_clISt17integral_constantIbLb0EES15_IbLb1EEEEDaS11_S12_EUlS11_E_NS1_11comp_targetILNS1_3genE8ELNS1_11target_archE1030ELNS1_3gpuE2ELNS1_3repE0EEENS1_30default_config_static_selectorELNS0_4arch9wavefront6targetE0EEEvT1_
		.amdhsa_group_segment_fixed_size 0
		.amdhsa_private_segment_fixed_size 0
		.amdhsa_kernarg_size 136
		.amdhsa_user_sgpr_count 15
		.amdhsa_user_sgpr_dispatch_ptr 0
		.amdhsa_user_sgpr_queue_ptr 0
		.amdhsa_user_sgpr_kernarg_segment_ptr 1
		.amdhsa_user_sgpr_dispatch_id 0
		.amdhsa_user_sgpr_private_segment_size 0
		.amdhsa_wavefront_size32 1
		.amdhsa_uses_dynamic_stack 0
		.amdhsa_enable_private_segment 0
		.amdhsa_system_sgpr_workgroup_id_x 1
		.amdhsa_system_sgpr_workgroup_id_y 0
		.amdhsa_system_sgpr_workgroup_id_z 0
		.amdhsa_system_sgpr_workgroup_info 0
		.amdhsa_system_vgpr_workitem_id 0
		.amdhsa_next_free_vgpr 1
		.amdhsa_next_free_sgpr 1
		.amdhsa_reserve_vcc 0
		.amdhsa_float_round_mode_32 0
		.amdhsa_float_round_mode_16_64 0
		.amdhsa_float_denorm_mode_32 3
		.amdhsa_float_denorm_mode_16_64 3
		.amdhsa_dx10_clamp 1
		.amdhsa_ieee_mode 1
		.amdhsa_fp16_overflow 0
		.amdhsa_workgroup_processor_mode 1
		.amdhsa_memory_ordered 1
		.amdhsa_forward_progress 0
		.amdhsa_shared_vgpr_count 0
		.amdhsa_exception_fp_ieee_invalid_op 0
		.amdhsa_exception_fp_denorm_src 0
		.amdhsa_exception_fp_ieee_div_zero 0
		.amdhsa_exception_fp_ieee_overflow 0
		.amdhsa_exception_fp_ieee_underflow 0
		.amdhsa_exception_fp_ieee_inexact 0
		.amdhsa_exception_int_div_zero 0
	.end_amdhsa_kernel
	.section	.text._ZN7rocprim17ROCPRIM_400000_NS6detail17trampoline_kernelINS0_14default_configENS1_25partition_config_selectorILNS1_17partition_subalgoE5ElNS0_10empty_typeEbEEZZNS1_14partition_implILS5_5ELb0ES3_mN6hipcub16HIPCUB_304000_NS21CountingInputIteratorIllEEPS6_NSA_22TransformInputIteratorIb7NonZeroIfEPflEENS0_5tupleIJPlS6_EEENSJ_IJSD_SD_EEES6_SK_JS6_EEE10hipError_tPvRmT3_T4_T5_T6_T7_T9_mT8_P12ihipStream_tbDpT10_ENKUlT_T0_E_clISt17integral_constantIbLb0EES15_IbLb1EEEEDaS11_S12_EUlS11_E_NS1_11comp_targetILNS1_3genE8ELNS1_11target_archE1030ELNS1_3gpuE2ELNS1_3repE0EEENS1_30default_config_static_selectorELNS0_4arch9wavefront6targetE0EEEvT1_,"axG",@progbits,_ZN7rocprim17ROCPRIM_400000_NS6detail17trampoline_kernelINS0_14default_configENS1_25partition_config_selectorILNS1_17partition_subalgoE5ElNS0_10empty_typeEbEEZZNS1_14partition_implILS5_5ELb0ES3_mN6hipcub16HIPCUB_304000_NS21CountingInputIteratorIllEEPS6_NSA_22TransformInputIteratorIb7NonZeroIfEPflEENS0_5tupleIJPlS6_EEENSJ_IJSD_SD_EEES6_SK_JS6_EEE10hipError_tPvRmT3_T4_T5_T6_T7_T9_mT8_P12ihipStream_tbDpT10_ENKUlT_T0_E_clISt17integral_constantIbLb0EES15_IbLb1EEEEDaS11_S12_EUlS11_E_NS1_11comp_targetILNS1_3genE8ELNS1_11target_archE1030ELNS1_3gpuE2ELNS1_3repE0EEENS1_30default_config_static_selectorELNS0_4arch9wavefront6targetE0EEEvT1_,comdat
.Lfunc_end284:
	.size	_ZN7rocprim17ROCPRIM_400000_NS6detail17trampoline_kernelINS0_14default_configENS1_25partition_config_selectorILNS1_17partition_subalgoE5ElNS0_10empty_typeEbEEZZNS1_14partition_implILS5_5ELb0ES3_mN6hipcub16HIPCUB_304000_NS21CountingInputIteratorIllEEPS6_NSA_22TransformInputIteratorIb7NonZeroIfEPflEENS0_5tupleIJPlS6_EEENSJ_IJSD_SD_EEES6_SK_JS6_EEE10hipError_tPvRmT3_T4_T5_T6_T7_T9_mT8_P12ihipStream_tbDpT10_ENKUlT_T0_E_clISt17integral_constantIbLb0EES15_IbLb1EEEEDaS11_S12_EUlS11_E_NS1_11comp_targetILNS1_3genE8ELNS1_11target_archE1030ELNS1_3gpuE2ELNS1_3repE0EEENS1_30default_config_static_selectorELNS0_4arch9wavefront6targetE0EEEvT1_, .Lfunc_end284-_ZN7rocprim17ROCPRIM_400000_NS6detail17trampoline_kernelINS0_14default_configENS1_25partition_config_selectorILNS1_17partition_subalgoE5ElNS0_10empty_typeEbEEZZNS1_14partition_implILS5_5ELb0ES3_mN6hipcub16HIPCUB_304000_NS21CountingInputIteratorIllEEPS6_NSA_22TransformInputIteratorIb7NonZeroIfEPflEENS0_5tupleIJPlS6_EEENSJ_IJSD_SD_EEES6_SK_JS6_EEE10hipError_tPvRmT3_T4_T5_T6_T7_T9_mT8_P12ihipStream_tbDpT10_ENKUlT_T0_E_clISt17integral_constantIbLb0EES15_IbLb1EEEEDaS11_S12_EUlS11_E_NS1_11comp_targetILNS1_3genE8ELNS1_11target_archE1030ELNS1_3gpuE2ELNS1_3repE0EEENS1_30default_config_static_selectorELNS0_4arch9wavefront6targetE0EEEvT1_
                                        ; -- End function
	.section	.AMDGPU.csdata,"",@progbits
; Kernel info:
; codeLenInByte = 0
; NumSgprs: 0
; NumVgprs: 0
; ScratchSize: 0
; MemoryBound: 0
; FloatMode: 240
; IeeeMode: 1
; LDSByteSize: 0 bytes/workgroup (compile time only)
; SGPRBlocks: 0
; VGPRBlocks: 0
; NumSGPRsForWavesPerEU: 1
; NumVGPRsForWavesPerEU: 1
; Occupancy: 16
; WaveLimiterHint : 0
; COMPUTE_PGM_RSRC2:SCRATCH_EN: 0
; COMPUTE_PGM_RSRC2:USER_SGPR: 15
; COMPUTE_PGM_RSRC2:TRAP_HANDLER: 0
; COMPUTE_PGM_RSRC2:TGID_X_EN: 1
; COMPUTE_PGM_RSRC2:TGID_Y_EN: 0
; COMPUTE_PGM_RSRC2:TGID_Z_EN: 0
; COMPUTE_PGM_RSRC2:TIDIG_COMP_CNT: 0
	.section	.text._ZN7rocprim17ROCPRIM_400000_NS6detail17trampoline_kernelINS0_14default_configENS1_22reduce_config_selectorIlEEZNS1_11reduce_implILb1ES3_PlS7_lN6hipcub16HIPCUB_304000_NS6detail34convert_binary_result_type_wrapperINS9_3SumENS9_22TransformInputIteratorIb7NonZeroIdEPdlEElEEEE10hipError_tPvRmT1_T2_T3_mT4_P12ihipStream_tbEUlT_E0_NS1_11comp_targetILNS1_3genE0ELNS1_11target_archE4294967295ELNS1_3gpuE0ELNS1_3repE0EEENS1_30default_config_static_selectorELNS0_4arch9wavefront6targetE0EEEvSM_,"axG",@progbits,_ZN7rocprim17ROCPRIM_400000_NS6detail17trampoline_kernelINS0_14default_configENS1_22reduce_config_selectorIlEEZNS1_11reduce_implILb1ES3_PlS7_lN6hipcub16HIPCUB_304000_NS6detail34convert_binary_result_type_wrapperINS9_3SumENS9_22TransformInputIteratorIb7NonZeroIdEPdlEElEEEE10hipError_tPvRmT1_T2_T3_mT4_P12ihipStream_tbEUlT_E0_NS1_11comp_targetILNS1_3genE0ELNS1_11target_archE4294967295ELNS1_3gpuE0ELNS1_3repE0EEENS1_30default_config_static_selectorELNS0_4arch9wavefront6targetE0EEEvSM_,comdat
	.protected	_ZN7rocprim17ROCPRIM_400000_NS6detail17trampoline_kernelINS0_14default_configENS1_22reduce_config_selectorIlEEZNS1_11reduce_implILb1ES3_PlS7_lN6hipcub16HIPCUB_304000_NS6detail34convert_binary_result_type_wrapperINS9_3SumENS9_22TransformInputIteratorIb7NonZeroIdEPdlEElEEEE10hipError_tPvRmT1_T2_T3_mT4_P12ihipStream_tbEUlT_E0_NS1_11comp_targetILNS1_3genE0ELNS1_11target_archE4294967295ELNS1_3gpuE0ELNS1_3repE0EEENS1_30default_config_static_selectorELNS0_4arch9wavefront6targetE0EEEvSM_ ; -- Begin function _ZN7rocprim17ROCPRIM_400000_NS6detail17trampoline_kernelINS0_14default_configENS1_22reduce_config_selectorIlEEZNS1_11reduce_implILb1ES3_PlS7_lN6hipcub16HIPCUB_304000_NS6detail34convert_binary_result_type_wrapperINS9_3SumENS9_22TransformInputIteratorIb7NonZeroIdEPdlEElEEEE10hipError_tPvRmT1_T2_T3_mT4_P12ihipStream_tbEUlT_E0_NS1_11comp_targetILNS1_3genE0ELNS1_11target_archE4294967295ELNS1_3gpuE0ELNS1_3repE0EEENS1_30default_config_static_selectorELNS0_4arch9wavefront6targetE0EEEvSM_
	.globl	_ZN7rocprim17ROCPRIM_400000_NS6detail17trampoline_kernelINS0_14default_configENS1_22reduce_config_selectorIlEEZNS1_11reduce_implILb1ES3_PlS7_lN6hipcub16HIPCUB_304000_NS6detail34convert_binary_result_type_wrapperINS9_3SumENS9_22TransformInputIteratorIb7NonZeroIdEPdlEElEEEE10hipError_tPvRmT1_T2_T3_mT4_P12ihipStream_tbEUlT_E0_NS1_11comp_targetILNS1_3genE0ELNS1_11target_archE4294967295ELNS1_3gpuE0ELNS1_3repE0EEENS1_30default_config_static_selectorELNS0_4arch9wavefront6targetE0EEEvSM_
	.p2align	8
	.type	_ZN7rocprim17ROCPRIM_400000_NS6detail17trampoline_kernelINS0_14default_configENS1_22reduce_config_selectorIlEEZNS1_11reduce_implILb1ES3_PlS7_lN6hipcub16HIPCUB_304000_NS6detail34convert_binary_result_type_wrapperINS9_3SumENS9_22TransformInputIteratorIb7NonZeroIdEPdlEElEEEE10hipError_tPvRmT1_T2_T3_mT4_P12ihipStream_tbEUlT_E0_NS1_11comp_targetILNS1_3genE0ELNS1_11target_archE4294967295ELNS1_3gpuE0ELNS1_3repE0EEENS1_30default_config_static_selectorELNS0_4arch9wavefront6targetE0EEEvSM_,@function
_ZN7rocprim17ROCPRIM_400000_NS6detail17trampoline_kernelINS0_14default_configENS1_22reduce_config_selectorIlEEZNS1_11reduce_implILb1ES3_PlS7_lN6hipcub16HIPCUB_304000_NS6detail34convert_binary_result_type_wrapperINS9_3SumENS9_22TransformInputIteratorIb7NonZeroIdEPdlEElEEEE10hipError_tPvRmT1_T2_T3_mT4_P12ihipStream_tbEUlT_E0_NS1_11comp_targetILNS1_3genE0ELNS1_11target_archE4294967295ELNS1_3gpuE0ELNS1_3repE0EEENS1_30default_config_static_selectorELNS0_4arch9wavefront6targetE0EEEvSM_: ; @_ZN7rocprim17ROCPRIM_400000_NS6detail17trampoline_kernelINS0_14default_configENS1_22reduce_config_selectorIlEEZNS1_11reduce_implILb1ES3_PlS7_lN6hipcub16HIPCUB_304000_NS6detail34convert_binary_result_type_wrapperINS9_3SumENS9_22TransformInputIteratorIb7NonZeroIdEPdlEElEEEE10hipError_tPvRmT1_T2_T3_mT4_P12ihipStream_tbEUlT_E0_NS1_11comp_targetILNS1_3genE0ELNS1_11target_archE4294967295ELNS1_3gpuE0ELNS1_3repE0EEENS1_30default_config_static_selectorELNS0_4arch9wavefront6targetE0EEEvSM_
; %bb.0:
	.section	.rodata,"a",@progbits
	.p2align	6, 0x0
	.amdhsa_kernel _ZN7rocprim17ROCPRIM_400000_NS6detail17trampoline_kernelINS0_14default_configENS1_22reduce_config_selectorIlEEZNS1_11reduce_implILb1ES3_PlS7_lN6hipcub16HIPCUB_304000_NS6detail34convert_binary_result_type_wrapperINS9_3SumENS9_22TransformInputIteratorIb7NonZeroIdEPdlEElEEEE10hipError_tPvRmT1_T2_T3_mT4_P12ihipStream_tbEUlT_E0_NS1_11comp_targetILNS1_3genE0ELNS1_11target_archE4294967295ELNS1_3gpuE0ELNS1_3repE0EEENS1_30default_config_static_selectorELNS0_4arch9wavefront6targetE0EEEvSM_
		.amdhsa_group_segment_fixed_size 0
		.amdhsa_private_segment_fixed_size 0
		.amdhsa_kernarg_size 64
		.amdhsa_user_sgpr_count 15
		.amdhsa_user_sgpr_dispatch_ptr 0
		.amdhsa_user_sgpr_queue_ptr 0
		.amdhsa_user_sgpr_kernarg_segment_ptr 1
		.amdhsa_user_sgpr_dispatch_id 0
		.amdhsa_user_sgpr_private_segment_size 0
		.amdhsa_wavefront_size32 1
		.amdhsa_uses_dynamic_stack 0
		.amdhsa_enable_private_segment 0
		.amdhsa_system_sgpr_workgroup_id_x 1
		.amdhsa_system_sgpr_workgroup_id_y 0
		.amdhsa_system_sgpr_workgroup_id_z 0
		.amdhsa_system_sgpr_workgroup_info 0
		.amdhsa_system_vgpr_workitem_id 0
		.amdhsa_next_free_vgpr 1
		.amdhsa_next_free_sgpr 1
		.amdhsa_reserve_vcc 0
		.amdhsa_float_round_mode_32 0
		.amdhsa_float_round_mode_16_64 0
		.amdhsa_float_denorm_mode_32 3
		.amdhsa_float_denorm_mode_16_64 3
		.amdhsa_dx10_clamp 1
		.amdhsa_ieee_mode 1
		.amdhsa_fp16_overflow 0
		.amdhsa_workgroup_processor_mode 1
		.amdhsa_memory_ordered 1
		.amdhsa_forward_progress 0
		.amdhsa_shared_vgpr_count 0
		.amdhsa_exception_fp_ieee_invalid_op 0
		.amdhsa_exception_fp_denorm_src 0
		.amdhsa_exception_fp_ieee_div_zero 0
		.amdhsa_exception_fp_ieee_overflow 0
		.amdhsa_exception_fp_ieee_underflow 0
		.amdhsa_exception_fp_ieee_inexact 0
		.amdhsa_exception_int_div_zero 0
	.end_amdhsa_kernel
	.section	.text._ZN7rocprim17ROCPRIM_400000_NS6detail17trampoline_kernelINS0_14default_configENS1_22reduce_config_selectorIlEEZNS1_11reduce_implILb1ES3_PlS7_lN6hipcub16HIPCUB_304000_NS6detail34convert_binary_result_type_wrapperINS9_3SumENS9_22TransformInputIteratorIb7NonZeroIdEPdlEElEEEE10hipError_tPvRmT1_T2_T3_mT4_P12ihipStream_tbEUlT_E0_NS1_11comp_targetILNS1_3genE0ELNS1_11target_archE4294967295ELNS1_3gpuE0ELNS1_3repE0EEENS1_30default_config_static_selectorELNS0_4arch9wavefront6targetE0EEEvSM_,"axG",@progbits,_ZN7rocprim17ROCPRIM_400000_NS6detail17trampoline_kernelINS0_14default_configENS1_22reduce_config_selectorIlEEZNS1_11reduce_implILb1ES3_PlS7_lN6hipcub16HIPCUB_304000_NS6detail34convert_binary_result_type_wrapperINS9_3SumENS9_22TransformInputIteratorIb7NonZeroIdEPdlEElEEEE10hipError_tPvRmT1_T2_T3_mT4_P12ihipStream_tbEUlT_E0_NS1_11comp_targetILNS1_3genE0ELNS1_11target_archE4294967295ELNS1_3gpuE0ELNS1_3repE0EEENS1_30default_config_static_selectorELNS0_4arch9wavefront6targetE0EEEvSM_,comdat
.Lfunc_end285:
	.size	_ZN7rocprim17ROCPRIM_400000_NS6detail17trampoline_kernelINS0_14default_configENS1_22reduce_config_selectorIlEEZNS1_11reduce_implILb1ES3_PlS7_lN6hipcub16HIPCUB_304000_NS6detail34convert_binary_result_type_wrapperINS9_3SumENS9_22TransformInputIteratorIb7NonZeroIdEPdlEElEEEE10hipError_tPvRmT1_T2_T3_mT4_P12ihipStream_tbEUlT_E0_NS1_11comp_targetILNS1_3genE0ELNS1_11target_archE4294967295ELNS1_3gpuE0ELNS1_3repE0EEENS1_30default_config_static_selectorELNS0_4arch9wavefront6targetE0EEEvSM_, .Lfunc_end285-_ZN7rocprim17ROCPRIM_400000_NS6detail17trampoline_kernelINS0_14default_configENS1_22reduce_config_selectorIlEEZNS1_11reduce_implILb1ES3_PlS7_lN6hipcub16HIPCUB_304000_NS6detail34convert_binary_result_type_wrapperINS9_3SumENS9_22TransformInputIteratorIb7NonZeroIdEPdlEElEEEE10hipError_tPvRmT1_T2_T3_mT4_P12ihipStream_tbEUlT_E0_NS1_11comp_targetILNS1_3genE0ELNS1_11target_archE4294967295ELNS1_3gpuE0ELNS1_3repE0EEENS1_30default_config_static_selectorELNS0_4arch9wavefront6targetE0EEEvSM_
                                        ; -- End function
	.section	.AMDGPU.csdata,"",@progbits
; Kernel info:
; codeLenInByte = 0
; NumSgprs: 0
; NumVgprs: 0
; ScratchSize: 0
; MemoryBound: 0
; FloatMode: 240
; IeeeMode: 1
; LDSByteSize: 0 bytes/workgroup (compile time only)
; SGPRBlocks: 0
; VGPRBlocks: 0
; NumSGPRsForWavesPerEU: 1
; NumVGPRsForWavesPerEU: 1
; Occupancy: 16
; WaveLimiterHint : 0
; COMPUTE_PGM_RSRC2:SCRATCH_EN: 0
; COMPUTE_PGM_RSRC2:USER_SGPR: 15
; COMPUTE_PGM_RSRC2:TRAP_HANDLER: 0
; COMPUTE_PGM_RSRC2:TGID_X_EN: 1
; COMPUTE_PGM_RSRC2:TGID_Y_EN: 0
; COMPUTE_PGM_RSRC2:TGID_Z_EN: 0
; COMPUTE_PGM_RSRC2:TIDIG_COMP_CNT: 0
	.section	.text._ZN7rocprim17ROCPRIM_400000_NS6detail17trampoline_kernelINS0_14default_configENS1_22reduce_config_selectorIlEEZNS1_11reduce_implILb1ES3_PlS7_lN6hipcub16HIPCUB_304000_NS6detail34convert_binary_result_type_wrapperINS9_3SumENS9_22TransformInputIteratorIb7NonZeroIdEPdlEElEEEE10hipError_tPvRmT1_T2_T3_mT4_P12ihipStream_tbEUlT_E0_NS1_11comp_targetILNS1_3genE5ELNS1_11target_archE942ELNS1_3gpuE9ELNS1_3repE0EEENS1_30default_config_static_selectorELNS0_4arch9wavefront6targetE0EEEvSM_,"axG",@progbits,_ZN7rocprim17ROCPRIM_400000_NS6detail17trampoline_kernelINS0_14default_configENS1_22reduce_config_selectorIlEEZNS1_11reduce_implILb1ES3_PlS7_lN6hipcub16HIPCUB_304000_NS6detail34convert_binary_result_type_wrapperINS9_3SumENS9_22TransformInputIteratorIb7NonZeroIdEPdlEElEEEE10hipError_tPvRmT1_T2_T3_mT4_P12ihipStream_tbEUlT_E0_NS1_11comp_targetILNS1_3genE5ELNS1_11target_archE942ELNS1_3gpuE9ELNS1_3repE0EEENS1_30default_config_static_selectorELNS0_4arch9wavefront6targetE0EEEvSM_,comdat
	.protected	_ZN7rocprim17ROCPRIM_400000_NS6detail17trampoline_kernelINS0_14default_configENS1_22reduce_config_selectorIlEEZNS1_11reduce_implILb1ES3_PlS7_lN6hipcub16HIPCUB_304000_NS6detail34convert_binary_result_type_wrapperINS9_3SumENS9_22TransformInputIteratorIb7NonZeroIdEPdlEElEEEE10hipError_tPvRmT1_T2_T3_mT4_P12ihipStream_tbEUlT_E0_NS1_11comp_targetILNS1_3genE5ELNS1_11target_archE942ELNS1_3gpuE9ELNS1_3repE0EEENS1_30default_config_static_selectorELNS0_4arch9wavefront6targetE0EEEvSM_ ; -- Begin function _ZN7rocprim17ROCPRIM_400000_NS6detail17trampoline_kernelINS0_14default_configENS1_22reduce_config_selectorIlEEZNS1_11reduce_implILb1ES3_PlS7_lN6hipcub16HIPCUB_304000_NS6detail34convert_binary_result_type_wrapperINS9_3SumENS9_22TransformInputIteratorIb7NonZeroIdEPdlEElEEEE10hipError_tPvRmT1_T2_T3_mT4_P12ihipStream_tbEUlT_E0_NS1_11comp_targetILNS1_3genE5ELNS1_11target_archE942ELNS1_3gpuE9ELNS1_3repE0EEENS1_30default_config_static_selectorELNS0_4arch9wavefront6targetE0EEEvSM_
	.globl	_ZN7rocprim17ROCPRIM_400000_NS6detail17trampoline_kernelINS0_14default_configENS1_22reduce_config_selectorIlEEZNS1_11reduce_implILb1ES3_PlS7_lN6hipcub16HIPCUB_304000_NS6detail34convert_binary_result_type_wrapperINS9_3SumENS9_22TransformInputIteratorIb7NonZeroIdEPdlEElEEEE10hipError_tPvRmT1_T2_T3_mT4_P12ihipStream_tbEUlT_E0_NS1_11comp_targetILNS1_3genE5ELNS1_11target_archE942ELNS1_3gpuE9ELNS1_3repE0EEENS1_30default_config_static_selectorELNS0_4arch9wavefront6targetE0EEEvSM_
	.p2align	8
	.type	_ZN7rocprim17ROCPRIM_400000_NS6detail17trampoline_kernelINS0_14default_configENS1_22reduce_config_selectorIlEEZNS1_11reduce_implILb1ES3_PlS7_lN6hipcub16HIPCUB_304000_NS6detail34convert_binary_result_type_wrapperINS9_3SumENS9_22TransformInputIteratorIb7NonZeroIdEPdlEElEEEE10hipError_tPvRmT1_T2_T3_mT4_P12ihipStream_tbEUlT_E0_NS1_11comp_targetILNS1_3genE5ELNS1_11target_archE942ELNS1_3gpuE9ELNS1_3repE0EEENS1_30default_config_static_selectorELNS0_4arch9wavefront6targetE0EEEvSM_,@function
_ZN7rocprim17ROCPRIM_400000_NS6detail17trampoline_kernelINS0_14default_configENS1_22reduce_config_selectorIlEEZNS1_11reduce_implILb1ES3_PlS7_lN6hipcub16HIPCUB_304000_NS6detail34convert_binary_result_type_wrapperINS9_3SumENS9_22TransformInputIteratorIb7NonZeroIdEPdlEElEEEE10hipError_tPvRmT1_T2_T3_mT4_P12ihipStream_tbEUlT_E0_NS1_11comp_targetILNS1_3genE5ELNS1_11target_archE942ELNS1_3gpuE9ELNS1_3repE0EEENS1_30default_config_static_selectorELNS0_4arch9wavefront6targetE0EEEvSM_: ; @_ZN7rocprim17ROCPRIM_400000_NS6detail17trampoline_kernelINS0_14default_configENS1_22reduce_config_selectorIlEEZNS1_11reduce_implILb1ES3_PlS7_lN6hipcub16HIPCUB_304000_NS6detail34convert_binary_result_type_wrapperINS9_3SumENS9_22TransformInputIteratorIb7NonZeroIdEPdlEElEEEE10hipError_tPvRmT1_T2_T3_mT4_P12ihipStream_tbEUlT_E0_NS1_11comp_targetILNS1_3genE5ELNS1_11target_archE942ELNS1_3gpuE9ELNS1_3repE0EEENS1_30default_config_static_selectorELNS0_4arch9wavefront6targetE0EEEvSM_
; %bb.0:
	.section	.rodata,"a",@progbits
	.p2align	6, 0x0
	.amdhsa_kernel _ZN7rocprim17ROCPRIM_400000_NS6detail17trampoline_kernelINS0_14default_configENS1_22reduce_config_selectorIlEEZNS1_11reduce_implILb1ES3_PlS7_lN6hipcub16HIPCUB_304000_NS6detail34convert_binary_result_type_wrapperINS9_3SumENS9_22TransformInputIteratorIb7NonZeroIdEPdlEElEEEE10hipError_tPvRmT1_T2_T3_mT4_P12ihipStream_tbEUlT_E0_NS1_11comp_targetILNS1_3genE5ELNS1_11target_archE942ELNS1_3gpuE9ELNS1_3repE0EEENS1_30default_config_static_selectorELNS0_4arch9wavefront6targetE0EEEvSM_
		.amdhsa_group_segment_fixed_size 0
		.amdhsa_private_segment_fixed_size 0
		.amdhsa_kernarg_size 64
		.amdhsa_user_sgpr_count 15
		.amdhsa_user_sgpr_dispatch_ptr 0
		.amdhsa_user_sgpr_queue_ptr 0
		.amdhsa_user_sgpr_kernarg_segment_ptr 1
		.amdhsa_user_sgpr_dispatch_id 0
		.amdhsa_user_sgpr_private_segment_size 0
		.amdhsa_wavefront_size32 1
		.amdhsa_uses_dynamic_stack 0
		.amdhsa_enable_private_segment 0
		.amdhsa_system_sgpr_workgroup_id_x 1
		.amdhsa_system_sgpr_workgroup_id_y 0
		.amdhsa_system_sgpr_workgroup_id_z 0
		.amdhsa_system_sgpr_workgroup_info 0
		.amdhsa_system_vgpr_workitem_id 0
		.amdhsa_next_free_vgpr 1
		.amdhsa_next_free_sgpr 1
		.amdhsa_reserve_vcc 0
		.amdhsa_float_round_mode_32 0
		.amdhsa_float_round_mode_16_64 0
		.amdhsa_float_denorm_mode_32 3
		.amdhsa_float_denorm_mode_16_64 3
		.amdhsa_dx10_clamp 1
		.amdhsa_ieee_mode 1
		.amdhsa_fp16_overflow 0
		.amdhsa_workgroup_processor_mode 1
		.amdhsa_memory_ordered 1
		.amdhsa_forward_progress 0
		.amdhsa_shared_vgpr_count 0
		.amdhsa_exception_fp_ieee_invalid_op 0
		.amdhsa_exception_fp_denorm_src 0
		.amdhsa_exception_fp_ieee_div_zero 0
		.amdhsa_exception_fp_ieee_overflow 0
		.amdhsa_exception_fp_ieee_underflow 0
		.amdhsa_exception_fp_ieee_inexact 0
		.amdhsa_exception_int_div_zero 0
	.end_amdhsa_kernel
	.section	.text._ZN7rocprim17ROCPRIM_400000_NS6detail17trampoline_kernelINS0_14default_configENS1_22reduce_config_selectorIlEEZNS1_11reduce_implILb1ES3_PlS7_lN6hipcub16HIPCUB_304000_NS6detail34convert_binary_result_type_wrapperINS9_3SumENS9_22TransformInputIteratorIb7NonZeroIdEPdlEElEEEE10hipError_tPvRmT1_T2_T3_mT4_P12ihipStream_tbEUlT_E0_NS1_11comp_targetILNS1_3genE5ELNS1_11target_archE942ELNS1_3gpuE9ELNS1_3repE0EEENS1_30default_config_static_selectorELNS0_4arch9wavefront6targetE0EEEvSM_,"axG",@progbits,_ZN7rocprim17ROCPRIM_400000_NS6detail17trampoline_kernelINS0_14default_configENS1_22reduce_config_selectorIlEEZNS1_11reduce_implILb1ES3_PlS7_lN6hipcub16HIPCUB_304000_NS6detail34convert_binary_result_type_wrapperINS9_3SumENS9_22TransformInputIteratorIb7NonZeroIdEPdlEElEEEE10hipError_tPvRmT1_T2_T3_mT4_P12ihipStream_tbEUlT_E0_NS1_11comp_targetILNS1_3genE5ELNS1_11target_archE942ELNS1_3gpuE9ELNS1_3repE0EEENS1_30default_config_static_selectorELNS0_4arch9wavefront6targetE0EEEvSM_,comdat
.Lfunc_end286:
	.size	_ZN7rocprim17ROCPRIM_400000_NS6detail17trampoline_kernelINS0_14default_configENS1_22reduce_config_selectorIlEEZNS1_11reduce_implILb1ES3_PlS7_lN6hipcub16HIPCUB_304000_NS6detail34convert_binary_result_type_wrapperINS9_3SumENS9_22TransformInputIteratorIb7NonZeroIdEPdlEElEEEE10hipError_tPvRmT1_T2_T3_mT4_P12ihipStream_tbEUlT_E0_NS1_11comp_targetILNS1_3genE5ELNS1_11target_archE942ELNS1_3gpuE9ELNS1_3repE0EEENS1_30default_config_static_selectorELNS0_4arch9wavefront6targetE0EEEvSM_, .Lfunc_end286-_ZN7rocprim17ROCPRIM_400000_NS6detail17trampoline_kernelINS0_14default_configENS1_22reduce_config_selectorIlEEZNS1_11reduce_implILb1ES3_PlS7_lN6hipcub16HIPCUB_304000_NS6detail34convert_binary_result_type_wrapperINS9_3SumENS9_22TransformInputIteratorIb7NonZeroIdEPdlEElEEEE10hipError_tPvRmT1_T2_T3_mT4_P12ihipStream_tbEUlT_E0_NS1_11comp_targetILNS1_3genE5ELNS1_11target_archE942ELNS1_3gpuE9ELNS1_3repE0EEENS1_30default_config_static_selectorELNS0_4arch9wavefront6targetE0EEEvSM_
                                        ; -- End function
	.section	.AMDGPU.csdata,"",@progbits
; Kernel info:
; codeLenInByte = 0
; NumSgprs: 0
; NumVgprs: 0
; ScratchSize: 0
; MemoryBound: 0
; FloatMode: 240
; IeeeMode: 1
; LDSByteSize: 0 bytes/workgroup (compile time only)
; SGPRBlocks: 0
; VGPRBlocks: 0
; NumSGPRsForWavesPerEU: 1
; NumVGPRsForWavesPerEU: 1
; Occupancy: 16
; WaveLimiterHint : 0
; COMPUTE_PGM_RSRC2:SCRATCH_EN: 0
; COMPUTE_PGM_RSRC2:USER_SGPR: 15
; COMPUTE_PGM_RSRC2:TRAP_HANDLER: 0
; COMPUTE_PGM_RSRC2:TGID_X_EN: 1
; COMPUTE_PGM_RSRC2:TGID_Y_EN: 0
; COMPUTE_PGM_RSRC2:TGID_Z_EN: 0
; COMPUTE_PGM_RSRC2:TIDIG_COMP_CNT: 0
	.section	.text._ZN7rocprim17ROCPRIM_400000_NS6detail17trampoline_kernelINS0_14default_configENS1_22reduce_config_selectorIlEEZNS1_11reduce_implILb1ES3_PlS7_lN6hipcub16HIPCUB_304000_NS6detail34convert_binary_result_type_wrapperINS9_3SumENS9_22TransformInputIteratorIb7NonZeroIdEPdlEElEEEE10hipError_tPvRmT1_T2_T3_mT4_P12ihipStream_tbEUlT_E0_NS1_11comp_targetILNS1_3genE4ELNS1_11target_archE910ELNS1_3gpuE8ELNS1_3repE0EEENS1_30default_config_static_selectorELNS0_4arch9wavefront6targetE0EEEvSM_,"axG",@progbits,_ZN7rocprim17ROCPRIM_400000_NS6detail17trampoline_kernelINS0_14default_configENS1_22reduce_config_selectorIlEEZNS1_11reduce_implILb1ES3_PlS7_lN6hipcub16HIPCUB_304000_NS6detail34convert_binary_result_type_wrapperINS9_3SumENS9_22TransformInputIteratorIb7NonZeroIdEPdlEElEEEE10hipError_tPvRmT1_T2_T3_mT4_P12ihipStream_tbEUlT_E0_NS1_11comp_targetILNS1_3genE4ELNS1_11target_archE910ELNS1_3gpuE8ELNS1_3repE0EEENS1_30default_config_static_selectorELNS0_4arch9wavefront6targetE0EEEvSM_,comdat
	.protected	_ZN7rocprim17ROCPRIM_400000_NS6detail17trampoline_kernelINS0_14default_configENS1_22reduce_config_selectorIlEEZNS1_11reduce_implILb1ES3_PlS7_lN6hipcub16HIPCUB_304000_NS6detail34convert_binary_result_type_wrapperINS9_3SumENS9_22TransformInputIteratorIb7NonZeroIdEPdlEElEEEE10hipError_tPvRmT1_T2_T3_mT4_P12ihipStream_tbEUlT_E0_NS1_11comp_targetILNS1_3genE4ELNS1_11target_archE910ELNS1_3gpuE8ELNS1_3repE0EEENS1_30default_config_static_selectorELNS0_4arch9wavefront6targetE0EEEvSM_ ; -- Begin function _ZN7rocprim17ROCPRIM_400000_NS6detail17trampoline_kernelINS0_14default_configENS1_22reduce_config_selectorIlEEZNS1_11reduce_implILb1ES3_PlS7_lN6hipcub16HIPCUB_304000_NS6detail34convert_binary_result_type_wrapperINS9_3SumENS9_22TransformInputIteratorIb7NonZeroIdEPdlEElEEEE10hipError_tPvRmT1_T2_T3_mT4_P12ihipStream_tbEUlT_E0_NS1_11comp_targetILNS1_3genE4ELNS1_11target_archE910ELNS1_3gpuE8ELNS1_3repE0EEENS1_30default_config_static_selectorELNS0_4arch9wavefront6targetE0EEEvSM_
	.globl	_ZN7rocprim17ROCPRIM_400000_NS6detail17trampoline_kernelINS0_14default_configENS1_22reduce_config_selectorIlEEZNS1_11reduce_implILb1ES3_PlS7_lN6hipcub16HIPCUB_304000_NS6detail34convert_binary_result_type_wrapperINS9_3SumENS9_22TransformInputIteratorIb7NonZeroIdEPdlEElEEEE10hipError_tPvRmT1_T2_T3_mT4_P12ihipStream_tbEUlT_E0_NS1_11comp_targetILNS1_3genE4ELNS1_11target_archE910ELNS1_3gpuE8ELNS1_3repE0EEENS1_30default_config_static_selectorELNS0_4arch9wavefront6targetE0EEEvSM_
	.p2align	8
	.type	_ZN7rocprim17ROCPRIM_400000_NS6detail17trampoline_kernelINS0_14default_configENS1_22reduce_config_selectorIlEEZNS1_11reduce_implILb1ES3_PlS7_lN6hipcub16HIPCUB_304000_NS6detail34convert_binary_result_type_wrapperINS9_3SumENS9_22TransformInputIteratorIb7NonZeroIdEPdlEElEEEE10hipError_tPvRmT1_T2_T3_mT4_P12ihipStream_tbEUlT_E0_NS1_11comp_targetILNS1_3genE4ELNS1_11target_archE910ELNS1_3gpuE8ELNS1_3repE0EEENS1_30default_config_static_selectorELNS0_4arch9wavefront6targetE0EEEvSM_,@function
_ZN7rocprim17ROCPRIM_400000_NS6detail17trampoline_kernelINS0_14default_configENS1_22reduce_config_selectorIlEEZNS1_11reduce_implILb1ES3_PlS7_lN6hipcub16HIPCUB_304000_NS6detail34convert_binary_result_type_wrapperINS9_3SumENS9_22TransformInputIteratorIb7NonZeroIdEPdlEElEEEE10hipError_tPvRmT1_T2_T3_mT4_P12ihipStream_tbEUlT_E0_NS1_11comp_targetILNS1_3genE4ELNS1_11target_archE910ELNS1_3gpuE8ELNS1_3repE0EEENS1_30default_config_static_selectorELNS0_4arch9wavefront6targetE0EEEvSM_: ; @_ZN7rocprim17ROCPRIM_400000_NS6detail17trampoline_kernelINS0_14default_configENS1_22reduce_config_selectorIlEEZNS1_11reduce_implILb1ES3_PlS7_lN6hipcub16HIPCUB_304000_NS6detail34convert_binary_result_type_wrapperINS9_3SumENS9_22TransformInputIteratorIb7NonZeroIdEPdlEElEEEE10hipError_tPvRmT1_T2_T3_mT4_P12ihipStream_tbEUlT_E0_NS1_11comp_targetILNS1_3genE4ELNS1_11target_archE910ELNS1_3gpuE8ELNS1_3repE0EEENS1_30default_config_static_selectorELNS0_4arch9wavefront6targetE0EEEvSM_
; %bb.0:
	.section	.rodata,"a",@progbits
	.p2align	6, 0x0
	.amdhsa_kernel _ZN7rocprim17ROCPRIM_400000_NS6detail17trampoline_kernelINS0_14default_configENS1_22reduce_config_selectorIlEEZNS1_11reduce_implILb1ES3_PlS7_lN6hipcub16HIPCUB_304000_NS6detail34convert_binary_result_type_wrapperINS9_3SumENS9_22TransformInputIteratorIb7NonZeroIdEPdlEElEEEE10hipError_tPvRmT1_T2_T3_mT4_P12ihipStream_tbEUlT_E0_NS1_11comp_targetILNS1_3genE4ELNS1_11target_archE910ELNS1_3gpuE8ELNS1_3repE0EEENS1_30default_config_static_selectorELNS0_4arch9wavefront6targetE0EEEvSM_
		.amdhsa_group_segment_fixed_size 0
		.amdhsa_private_segment_fixed_size 0
		.amdhsa_kernarg_size 64
		.amdhsa_user_sgpr_count 15
		.amdhsa_user_sgpr_dispatch_ptr 0
		.amdhsa_user_sgpr_queue_ptr 0
		.amdhsa_user_sgpr_kernarg_segment_ptr 1
		.amdhsa_user_sgpr_dispatch_id 0
		.amdhsa_user_sgpr_private_segment_size 0
		.amdhsa_wavefront_size32 1
		.amdhsa_uses_dynamic_stack 0
		.amdhsa_enable_private_segment 0
		.amdhsa_system_sgpr_workgroup_id_x 1
		.amdhsa_system_sgpr_workgroup_id_y 0
		.amdhsa_system_sgpr_workgroup_id_z 0
		.amdhsa_system_sgpr_workgroup_info 0
		.amdhsa_system_vgpr_workitem_id 0
		.amdhsa_next_free_vgpr 1
		.amdhsa_next_free_sgpr 1
		.amdhsa_reserve_vcc 0
		.amdhsa_float_round_mode_32 0
		.amdhsa_float_round_mode_16_64 0
		.amdhsa_float_denorm_mode_32 3
		.amdhsa_float_denorm_mode_16_64 3
		.amdhsa_dx10_clamp 1
		.amdhsa_ieee_mode 1
		.amdhsa_fp16_overflow 0
		.amdhsa_workgroup_processor_mode 1
		.amdhsa_memory_ordered 1
		.amdhsa_forward_progress 0
		.amdhsa_shared_vgpr_count 0
		.amdhsa_exception_fp_ieee_invalid_op 0
		.amdhsa_exception_fp_denorm_src 0
		.amdhsa_exception_fp_ieee_div_zero 0
		.amdhsa_exception_fp_ieee_overflow 0
		.amdhsa_exception_fp_ieee_underflow 0
		.amdhsa_exception_fp_ieee_inexact 0
		.amdhsa_exception_int_div_zero 0
	.end_amdhsa_kernel
	.section	.text._ZN7rocprim17ROCPRIM_400000_NS6detail17trampoline_kernelINS0_14default_configENS1_22reduce_config_selectorIlEEZNS1_11reduce_implILb1ES3_PlS7_lN6hipcub16HIPCUB_304000_NS6detail34convert_binary_result_type_wrapperINS9_3SumENS9_22TransformInputIteratorIb7NonZeroIdEPdlEElEEEE10hipError_tPvRmT1_T2_T3_mT4_P12ihipStream_tbEUlT_E0_NS1_11comp_targetILNS1_3genE4ELNS1_11target_archE910ELNS1_3gpuE8ELNS1_3repE0EEENS1_30default_config_static_selectorELNS0_4arch9wavefront6targetE0EEEvSM_,"axG",@progbits,_ZN7rocprim17ROCPRIM_400000_NS6detail17trampoline_kernelINS0_14default_configENS1_22reduce_config_selectorIlEEZNS1_11reduce_implILb1ES3_PlS7_lN6hipcub16HIPCUB_304000_NS6detail34convert_binary_result_type_wrapperINS9_3SumENS9_22TransformInputIteratorIb7NonZeroIdEPdlEElEEEE10hipError_tPvRmT1_T2_T3_mT4_P12ihipStream_tbEUlT_E0_NS1_11comp_targetILNS1_3genE4ELNS1_11target_archE910ELNS1_3gpuE8ELNS1_3repE0EEENS1_30default_config_static_selectorELNS0_4arch9wavefront6targetE0EEEvSM_,comdat
.Lfunc_end287:
	.size	_ZN7rocprim17ROCPRIM_400000_NS6detail17trampoline_kernelINS0_14default_configENS1_22reduce_config_selectorIlEEZNS1_11reduce_implILb1ES3_PlS7_lN6hipcub16HIPCUB_304000_NS6detail34convert_binary_result_type_wrapperINS9_3SumENS9_22TransformInputIteratorIb7NonZeroIdEPdlEElEEEE10hipError_tPvRmT1_T2_T3_mT4_P12ihipStream_tbEUlT_E0_NS1_11comp_targetILNS1_3genE4ELNS1_11target_archE910ELNS1_3gpuE8ELNS1_3repE0EEENS1_30default_config_static_selectorELNS0_4arch9wavefront6targetE0EEEvSM_, .Lfunc_end287-_ZN7rocprim17ROCPRIM_400000_NS6detail17trampoline_kernelINS0_14default_configENS1_22reduce_config_selectorIlEEZNS1_11reduce_implILb1ES3_PlS7_lN6hipcub16HIPCUB_304000_NS6detail34convert_binary_result_type_wrapperINS9_3SumENS9_22TransformInputIteratorIb7NonZeroIdEPdlEElEEEE10hipError_tPvRmT1_T2_T3_mT4_P12ihipStream_tbEUlT_E0_NS1_11comp_targetILNS1_3genE4ELNS1_11target_archE910ELNS1_3gpuE8ELNS1_3repE0EEENS1_30default_config_static_selectorELNS0_4arch9wavefront6targetE0EEEvSM_
                                        ; -- End function
	.section	.AMDGPU.csdata,"",@progbits
; Kernel info:
; codeLenInByte = 0
; NumSgprs: 0
; NumVgprs: 0
; ScratchSize: 0
; MemoryBound: 0
; FloatMode: 240
; IeeeMode: 1
; LDSByteSize: 0 bytes/workgroup (compile time only)
; SGPRBlocks: 0
; VGPRBlocks: 0
; NumSGPRsForWavesPerEU: 1
; NumVGPRsForWavesPerEU: 1
; Occupancy: 16
; WaveLimiterHint : 0
; COMPUTE_PGM_RSRC2:SCRATCH_EN: 0
; COMPUTE_PGM_RSRC2:USER_SGPR: 15
; COMPUTE_PGM_RSRC2:TRAP_HANDLER: 0
; COMPUTE_PGM_RSRC2:TGID_X_EN: 1
; COMPUTE_PGM_RSRC2:TGID_Y_EN: 0
; COMPUTE_PGM_RSRC2:TGID_Z_EN: 0
; COMPUTE_PGM_RSRC2:TIDIG_COMP_CNT: 0
	.section	.text._ZN7rocprim17ROCPRIM_400000_NS6detail17trampoline_kernelINS0_14default_configENS1_22reduce_config_selectorIlEEZNS1_11reduce_implILb1ES3_PlS7_lN6hipcub16HIPCUB_304000_NS6detail34convert_binary_result_type_wrapperINS9_3SumENS9_22TransformInputIteratorIb7NonZeroIdEPdlEElEEEE10hipError_tPvRmT1_T2_T3_mT4_P12ihipStream_tbEUlT_E0_NS1_11comp_targetILNS1_3genE3ELNS1_11target_archE908ELNS1_3gpuE7ELNS1_3repE0EEENS1_30default_config_static_selectorELNS0_4arch9wavefront6targetE0EEEvSM_,"axG",@progbits,_ZN7rocprim17ROCPRIM_400000_NS6detail17trampoline_kernelINS0_14default_configENS1_22reduce_config_selectorIlEEZNS1_11reduce_implILb1ES3_PlS7_lN6hipcub16HIPCUB_304000_NS6detail34convert_binary_result_type_wrapperINS9_3SumENS9_22TransformInputIteratorIb7NonZeroIdEPdlEElEEEE10hipError_tPvRmT1_T2_T3_mT4_P12ihipStream_tbEUlT_E0_NS1_11comp_targetILNS1_3genE3ELNS1_11target_archE908ELNS1_3gpuE7ELNS1_3repE0EEENS1_30default_config_static_selectorELNS0_4arch9wavefront6targetE0EEEvSM_,comdat
	.protected	_ZN7rocprim17ROCPRIM_400000_NS6detail17trampoline_kernelINS0_14default_configENS1_22reduce_config_selectorIlEEZNS1_11reduce_implILb1ES3_PlS7_lN6hipcub16HIPCUB_304000_NS6detail34convert_binary_result_type_wrapperINS9_3SumENS9_22TransformInputIteratorIb7NonZeroIdEPdlEElEEEE10hipError_tPvRmT1_T2_T3_mT4_P12ihipStream_tbEUlT_E0_NS1_11comp_targetILNS1_3genE3ELNS1_11target_archE908ELNS1_3gpuE7ELNS1_3repE0EEENS1_30default_config_static_selectorELNS0_4arch9wavefront6targetE0EEEvSM_ ; -- Begin function _ZN7rocprim17ROCPRIM_400000_NS6detail17trampoline_kernelINS0_14default_configENS1_22reduce_config_selectorIlEEZNS1_11reduce_implILb1ES3_PlS7_lN6hipcub16HIPCUB_304000_NS6detail34convert_binary_result_type_wrapperINS9_3SumENS9_22TransformInputIteratorIb7NonZeroIdEPdlEElEEEE10hipError_tPvRmT1_T2_T3_mT4_P12ihipStream_tbEUlT_E0_NS1_11comp_targetILNS1_3genE3ELNS1_11target_archE908ELNS1_3gpuE7ELNS1_3repE0EEENS1_30default_config_static_selectorELNS0_4arch9wavefront6targetE0EEEvSM_
	.globl	_ZN7rocprim17ROCPRIM_400000_NS6detail17trampoline_kernelINS0_14default_configENS1_22reduce_config_selectorIlEEZNS1_11reduce_implILb1ES3_PlS7_lN6hipcub16HIPCUB_304000_NS6detail34convert_binary_result_type_wrapperINS9_3SumENS9_22TransformInputIteratorIb7NonZeroIdEPdlEElEEEE10hipError_tPvRmT1_T2_T3_mT4_P12ihipStream_tbEUlT_E0_NS1_11comp_targetILNS1_3genE3ELNS1_11target_archE908ELNS1_3gpuE7ELNS1_3repE0EEENS1_30default_config_static_selectorELNS0_4arch9wavefront6targetE0EEEvSM_
	.p2align	8
	.type	_ZN7rocprim17ROCPRIM_400000_NS6detail17trampoline_kernelINS0_14default_configENS1_22reduce_config_selectorIlEEZNS1_11reduce_implILb1ES3_PlS7_lN6hipcub16HIPCUB_304000_NS6detail34convert_binary_result_type_wrapperINS9_3SumENS9_22TransformInputIteratorIb7NonZeroIdEPdlEElEEEE10hipError_tPvRmT1_T2_T3_mT4_P12ihipStream_tbEUlT_E0_NS1_11comp_targetILNS1_3genE3ELNS1_11target_archE908ELNS1_3gpuE7ELNS1_3repE0EEENS1_30default_config_static_selectorELNS0_4arch9wavefront6targetE0EEEvSM_,@function
_ZN7rocprim17ROCPRIM_400000_NS6detail17trampoline_kernelINS0_14default_configENS1_22reduce_config_selectorIlEEZNS1_11reduce_implILb1ES3_PlS7_lN6hipcub16HIPCUB_304000_NS6detail34convert_binary_result_type_wrapperINS9_3SumENS9_22TransformInputIteratorIb7NonZeroIdEPdlEElEEEE10hipError_tPvRmT1_T2_T3_mT4_P12ihipStream_tbEUlT_E0_NS1_11comp_targetILNS1_3genE3ELNS1_11target_archE908ELNS1_3gpuE7ELNS1_3repE0EEENS1_30default_config_static_selectorELNS0_4arch9wavefront6targetE0EEEvSM_: ; @_ZN7rocprim17ROCPRIM_400000_NS6detail17trampoline_kernelINS0_14default_configENS1_22reduce_config_selectorIlEEZNS1_11reduce_implILb1ES3_PlS7_lN6hipcub16HIPCUB_304000_NS6detail34convert_binary_result_type_wrapperINS9_3SumENS9_22TransformInputIteratorIb7NonZeroIdEPdlEElEEEE10hipError_tPvRmT1_T2_T3_mT4_P12ihipStream_tbEUlT_E0_NS1_11comp_targetILNS1_3genE3ELNS1_11target_archE908ELNS1_3gpuE7ELNS1_3repE0EEENS1_30default_config_static_selectorELNS0_4arch9wavefront6targetE0EEEvSM_
; %bb.0:
	.section	.rodata,"a",@progbits
	.p2align	6, 0x0
	.amdhsa_kernel _ZN7rocprim17ROCPRIM_400000_NS6detail17trampoline_kernelINS0_14default_configENS1_22reduce_config_selectorIlEEZNS1_11reduce_implILb1ES3_PlS7_lN6hipcub16HIPCUB_304000_NS6detail34convert_binary_result_type_wrapperINS9_3SumENS9_22TransformInputIteratorIb7NonZeroIdEPdlEElEEEE10hipError_tPvRmT1_T2_T3_mT4_P12ihipStream_tbEUlT_E0_NS1_11comp_targetILNS1_3genE3ELNS1_11target_archE908ELNS1_3gpuE7ELNS1_3repE0EEENS1_30default_config_static_selectorELNS0_4arch9wavefront6targetE0EEEvSM_
		.amdhsa_group_segment_fixed_size 0
		.amdhsa_private_segment_fixed_size 0
		.amdhsa_kernarg_size 64
		.amdhsa_user_sgpr_count 15
		.amdhsa_user_sgpr_dispatch_ptr 0
		.amdhsa_user_sgpr_queue_ptr 0
		.amdhsa_user_sgpr_kernarg_segment_ptr 1
		.amdhsa_user_sgpr_dispatch_id 0
		.amdhsa_user_sgpr_private_segment_size 0
		.amdhsa_wavefront_size32 1
		.amdhsa_uses_dynamic_stack 0
		.amdhsa_enable_private_segment 0
		.amdhsa_system_sgpr_workgroup_id_x 1
		.amdhsa_system_sgpr_workgroup_id_y 0
		.amdhsa_system_sgpr_workgroup_id_z 0
		.amdhsa_system_sgpr_workgroup_info 0
		.amdhsa_system_vgpr_workitem_id 0
		.amdhsa_next_free_vgpr 1
		.amdhsa_next_free_sgpr 1
		.amdhsa_reserve_vcc 0
		.amdhsa_float_round_mode_32 0
		.amdhsa_float_round_mode_16_64 0
		.amdhsa_float_denorm_mode_32 3
		.amdhsa_float_denorm_mode_16_64 3
		.amdhsa_dx10_clamp 1
		.amdhsa_ieee_mode 1
		.amdhsa_fp16_overflow 0
		.amdhsa_workgroup_processor_mode 1
		.amdhsa_memory_ordered 1
		.amdhsa_forward_progress 0
		.amdhsa_shared_vgpr_count 0
		.amdhsa_exception_fp_ieee_invalid_op 0
		.amdhsa_exception_fp_denorm_src 0
		.amdhsa_exception_fp_ieee_div_zero 0
		.amdhsa_exception_fp_ieee_overflow 0
		.amdhsa_exception_fp_ieee_underflow 0
		.amdhsa_exception_fp_ieee_inexact 0
		.amdhsa_exception_int_div_zero 0
	.end_amdhsa_kernel
	.section	.text._ZN7rocprim17ROCPRIM_400000_NS6detail17trampoline_kernelINS0_14default_configENS1_22reduce_config_selectorIlEEZNS1_11reduce_implILb1ES3_PlS7_lN6hipcub16HIPCUB_304000_NS6detail34convert_binary_result_type_wrapperINS9_3SumENS9_22TransformInputIteratorIb7NonZeroIdEPdlEElEEEE10hipError_tPvRmT1_T2_T3_mT4_P12ihipStream_tbEUlT_E0_NS1_11comp_targetILNS1_3genE3ELNS1_11target_archE908ELNS1_3gpuE7ELNS1_3repE0EEENS1_30default_config_static_selectorELNS0_4arch9wavefront6targetE0EEEvSM_,"axG",@progbits,_ZN7rocprim17ROCPRIM_400000_NS6detail17trampoline_kernelINS0_14default_configENS1_22reduce_config_selectorIlEEZNS1_11reduce_implILb1ES3_PlS7_lN6hipcub16HIPCUB_304000_NS6detail34convert_binary_result_type_wrapperINS9_3SumENS9_22TransformInputIteratorIb7NonZeroIdEPdlEElEEEE10hipError_tPvRmT1_T2_T3_mT4_P12ihipStream_tbEUlT_E0_NS1_11comp_targetILNS1_3genE3ELNS1_11target_archE908ELNS1_3gpuE7ELNS1_3repE0EEENS1_30default_config_static_selectorELNS0_4arch9wavefront6targetE0EEEvSM_,comdat
.Lfunc_end288:
	.size	_ZN7rocprim17ROCPRIM_400000_NS6detail17trampoline_kernelINS0_14default_configENS1_22reduce_config_selectorIlEEZNS1_11reduce_implILb1ES3_PlS7_lN6hipcub16HIPCUB_304000_NS6detail34convert_binary_result_type_wrapperINS9_3SumENS9_22TransformInputIteratorIb7NonZeroIdEPdlEElEEEE10hipError_tPvRmT1_T2_T3_mT4_P12ihipStream_tbEUlT_E0_NS1_11comp_targetILNS1_3genE3ELNS1_11target_archE908ELNS1_3gpuE7ELNS1_3repE0EEENS1_30default_config_static_selectorELNS0_4arch9wavefront6targetE0EEEvSM_, .Lfunc_end288-_ZN7rocprim17ROCPRIM_400000_NS6detail17trampoline_kernelINS0_14default_configENS1_22reduce_config_selectorIlEEZNS1_11reduce_implILb1ES3_PlS7_lN6hipcub16HIPCUB_304000_NS6detail34convert_binary_result_type_wrapperINS9_3SumENS9_22TransformInputIteratorIb7NonZeroIdEPdlEElEEEE10hipError_tPvRmT1_T2_T3_mT4_P12ihipStream_tbEUlT_E0_NS1_11comp_targetILNS1_3genE3ELNS1_11target_archE908ELNS1_3gpuE7ELNS1_3repE0EEENS1_30default_config_static_selectorELNS0_4arch9wavefront6targetE0EEEvSM_
                                        ; -- End function
	.section	.AMDGPU.csdata,"",@progbits
; Kernel info:
; codeLenInByte = 0
; NumSgprs: 0
; NumVgprs: 0
; ScratchSize: 0
; MemoryBound: 0
; FloatMode: 240
; IeeeMode: 1
; LDSByteSize: 0 bytes/workgroup (compile time only)
; SGPRBlocks: 0
; VGPRBlocks: 0
; NumSGPRsForWavesPerEU: 1
; NumVGPRsForWavesPerEU: 1
; Occupancy: 16
; WaveLimiterHint : 0
; COMPUTE_PGM_RSRC2:SCRATCH_EN: 0
; COMPUTE_PGM_RSRC2:USER_SGPR: 15
; COMPUTE_PGM_RSRC2:TRAP_HANDLER: 0
; COMPUTE_PGM_RSRC2:TGID_X_EN: 1
; COMPUTE_PGM_RSRC2:TGID_Y_EN: 0
; COMPUTE_PGM_RSRC2:TGID_Z_EN: 0
; COMPUTE_PGM_RSRC2:TIDIG_COMP_CNT: 0
	.section	.text._ZN7rocprim17ROCPRIM_400000_NS6detail17trampoline_kernelINS0_14default_configENS1_22reduce_config_selectorIlEEZNS1_11reduce_implILb1ES3_PlS7_lN6hipcub16HIPCUB_304000_NS6detail34convert_binary_result_type_wrapperINS9_3SumENS9_22TransformInputIteratorIb7NonZeroIdEPdlEElEEEE10hipError_tPvRmT1_T2_T3_mT4_P12ihipStream_tbEUlT_E0_NS1_11comp_targetILNS1_3genE2ELNS1_11target_archE906ELNS1_3gpuE6ELNS1_3repE0EEENS1_30default_config_static_selectorELNS0_4arch9wavefront6targetE0EEEvSM_,"axG",@progbits,_ZN7rocprim17ROCPRIM_400000_NS6detail17trampoline_kernelINS0_14default_configENS1_22reduce_config_selectorIlEEZNS1_11reduce_implILb1ES3_PlS7_lN6hipcub16HIPCUB_304000_NS6detail34convert_binary_result_type_wrapperINS9_3SumENS9_22TransformInputIteratorIb7NonZeroIdEPdlEElEEEE10hipError_tPvRmT1_T2_T3_mT4_P12ihipStream_tbEUlT_E0_NS1_11comp_targetILNS1_3genE2ELNS1_11target_archE906ELNS1_3gpuE6ELNS1_3repE0EEENS1_30default_config_static_selectorELNS0_4arch9wavefront6targetE0EEEvSM_,comdat
	.protected	_ZN7rocprim17ROCPRIM_400000_NS6detail17trampoline_kernelINS0_14default_configENS1_22reduce_config_selectorIlEEZNS1_11reduce_implILb1ES3_PlS7_lN6hipcub16HIPCUB_304000_NS6detail34convert_binary_result_type_wrapperINS9_3SumENS9_22TransformInputIteratorIb7NonZeroIdEPdlEElEEEE10hipError_tPvRmT1_T2_T3_mT4_P12ihipStream_tbEUlT_E0_NS1_11comp_targetILNS1_3genE2ELNS1_11target_archE906ELNS1_3gpuE6ELNS1_3repE0EEENS1_30default_config_static_selectorELNS0_4arch9wavefront6targetE0EEEvSM_ ; -- Begin function _ZN7rocprim17ROCPRIM_400000_NS6detail17trampoline_kernelINS0_14default_configENS1_22reduce_config_selectorIlEEZNS1_11reduce_implILb1ES3_PlS7_lN6hipcub16HIPCUB_304000_NS6detail34convert_binary_result_type_wrapperINS9_3SumENS9_22TransformInputIteratorIb7NonZeroIdEPdlEElEEEE10hipError_tPvRmT1_T2_T3_mT4_P12ihipStream_tbEUlT_E0_NS1_11comp_targetILNS1_3genE2ELNS1_11target_archE906ELNS1_3gpuE6ELNS1_3repE0EEENS1_30default_config_static_selectorELNS0_4arch9wavefront6targetE0EEEvSM_
	.globl	_ZN7rocprim17ROCPRIM_400000_NS6detail17trampoline_kernelINS0_14default_configENS1_22reduce_config_selectorIlEEZNS1_11reduce_implILb1ES3_PlS7_lN6hipcub16HIPCUB_304000_NS6detail34convert_binary_result_type_wrapperINS9_3SumENS9_22TransformInputIteratorIb7NonZeroIdEPdlEElEEEE10hipError_tPvRmT1_T2_T3_mT4_P12ihipStream_tbEUlT_E0_NS1_11comp_targetILNS1_3genE2ELNS1_11target_archE906ELNS1_3gpuE6ELNS1_3repE0EEENS1_30default_config_static_selectorELNS0_4arch9wavefront6targetE0EEEvSM_
	.p2align	8
	.type	_ZN7rocprim17ROCPRIM_400000_NS6detail17trampoline_kernelINS0_14default_configENS1_22reduce_config_selectorIlEEZNS1_11reduce_implILb1ES3_PlS7_lN6hipcub16HIPCUB_304000_NS6detail34convert_binary_result_type_wrapperINS9_3SumENS9_22TransformInputIteratorIb7NonZeroIdEPdlEElEEEE10hipError_tPvRmT1_T2_T3_mT4_P12ihipStream_tbEUlT_E0_NS1_11comp_targetILNS1_3genE2ELNS1_11target_archE906ELNS1_3gpuE6ELNS1_3repE0EEENS1_30default_config_static_selectorELNS0_4arch9wavefront6targetE0EEEvSM_,@function
_ZN7rocprim17ROCPRIM_400000_NS6detail17trampoline_kernelINS0_14default_configENS1_22reduce_config_selectorIlEEZNS1_11reduce_implILb1ES3_PlS7_lN6hipcub16HIPCUB_304000_NS6detail34convert_binary_result_type_wrapperINS9_3SumENS9_22TransformInputIteratorIb7NonZeroIdEPdlEElEEEE10hipError_tPvRmT1_T2_T3_mT4_P12ihipStream_tbEUlT_E0_NS1_11comp_targetILNS1_3genE2ELNS1_11target_archE906ELNS1_3gpuE6ELNS1_3repE0EEENS1_30default_config_static_selectorELNS0_4arch9wavefront6targetE0EEEvSM_: ; @_ZN7rocprim17ROCPRIM_400000_NS6detail17trampoline_kernelINS0_14default_configENS1_22reduce_config_selectorIlEEZNS1_11reduce_implILb1ES3_PlS7_lN6hipcub16HIPCUB_304000_NS6detail34convert_binary_result_type_wrapperINS9_3SumENS9_22TransformInputIteratorIb7NonZeroIdEPdlEElEEEE10hipError_tPvRmT1_T2_T3_mT4_P12ihipStream_tbEUlT_E0_NS1_11comp_targetILNS1_3genE2ELNS1_11target_archE906ELNS1_3gpuE6ELNS1_3repE0EEENS1_30default_config_static_selectorELNS0_4arch9wavefront6targetE0EEEvSM_
; %bb.0:
	.section	.rodata,"a",@progbits
	.p2align	6, 0x0
	.amdhsa_kernel _ZN7rocprim17ROCPRIM_400000_NS6detail17trampoline_kernelINS0_14default_configENS1_22reduce_config_selectorIlEEZNS1_11reduce_implILb1ES3_PlS7_lN6hipcub16HIPCUB_304000_NS6detail34convert_binary_result_type_wrapperINS9_3SumENS9_22TransformInputIteratorIb7NonZeroIdEPdlEElEEEE10hipError_tPvRmT1_T2_T3_mT4_P12ihipStream_tbEUlT_E0_NS1_11comp_targetILNS1_3genE2ELNS1_11target_archE906ELNS1_3gpuE6ELNS1_3repE0EEENS1_30default_config_static_selectorELNS0_4arch9wavefront6targetE0EEEvSM_
		.amdhsa_group_segment_fixed_size 0
		.amdhsa_private_segment_fixed_size 0
		.amdhsa_kernarg_size 64
		.amdhsa_user_sgpr_count 15
		.amdhsa_user_sgpr_dispatch_ptr 0
		.amdhsa_user_sgpr_queue_ptr 0
		.amdhsa_user_sgpr_kernarg_segment_ptr 1
		.amdhsa_user_sgpr_dispatch_id 0
		.amdhsa_user_sgpr_private_segment_size 0
		.amdhsa_wavefront_size32 1
		.amdhsa_uses_dynamic_stack 0
		.amdhsa_enable_private_segment 0
		.amdhsa_system_sgpr_workgroup_id_x 1
		.amdhsa_system_sgpr_workgroup_id_y 0
		.amdhsa_system_sgpr_workgroup_id_z 0
		.amdhsa_system_sgpr_workgroup_info 0
		.amdhsa_system_vgpr_workitem_id 0
		.amdhsa_next_free_vgpr 1
		.amdhsa_next_free_sgpr 1
		.amdhsa_reserve_vcc 0
		.amdhsa_float_round_mode_32 0
		.amdhsa_float_round_mode_16_64 0
		.amdhsa_float_denorm_mode_32 3
		.amdhsa_float_denorm_mode_16_64 3
		.amdhsa_dx10_clamp 1
		.amdhsa_ieee_mode 1
		.amdhsa_fp16_overflow 0
		.amdhsa_workgroup_processor_mode 1
		.amdhsa_memory_ordered 1
		.amdhsa_forward_progress 0
		.amdhsa_shared_vgpr_count 0
		.amdhsa_exception_fp_ieee_invalid_op 0
		.amdhsa_exception_fp_denorm_src 0
		.amdhsa_exception_fp_ieee_div_zero 0
		.amdhsa_exception_fp_ieee_overflow 0
		.amdhsa_exception_fp_ieee_underflow 0
		.amdhsa_exception_fp_ieee_inexact 0
		.amdhsa_exception_int_div_zero 0
	.end_amdhsa_kernel
	.section	.text._ZN7rocprim17ROCPRIM_400000_NS6detail17trampoline_kernelINS0_14default_configENS1_22reduce_config_selectorIlEEZNS1_11reduce_implILb1ES3_PlS7_lN6hipcub16HIPCUB_304000_NS6detail34convert_binary_result_type_wrapperINS9_3SumENS9_22TransformInputIteratorIb7NonZeroIdEPdlEElEEEE10hipError_tPvRmT1_T2_T3_mT4_P12ihipStream_tbEUlT_E0_NS1_11comp_targetILNS1_3genE2ELNS1_11target_archE906ELNS1_3gpuE6ELNS1_3repE0EEENS1_30default_config_static_selectorELNS0_4arch9wavefront6targetE0EEEvSM_,"axG",@progbits,_ZN7rocprim17ROCPRIM_400000_NS6detail17trampoline_kernelINS0_14default_configENS1_22reduce_config_selectorIlEEZNS1_11reduce_implILb1ES3_PlS7_lN6hipcub16HIPCUB_304000_NS6detail34convert_binary_result_type_wrapperINS9_3SumENS9_22TransformInputIteratorIb7NonZeroIdEPdlEElEEEE10hipError_tPvRmT1_T2_T3_mT4_P12ihipStream_tbEUlT_E0_NS1_11comp_targetILNS1_3genE2ELNS1_11target_archE906ELNS1_3gpuE6ELNS1_3repE0EEENS1_30default_config_static_selectorELNS0_4arch9wavefront6targetE0EEEvSM_,comdat
.Lfunc_end289:
	.size	_ZN7rocprim17ROCPRIM_400000_NS6detail17trampoline_kernelINS0_14default_configENS1_22reduce_config_selectorIlEEZNS1_11reduce_implILb1ES3_PlS7_lN6hipcub16HIPCUB_304000_NS6detail34convert_binary_result_type_wrapperINS9_3SumENS9_22TransformInputIteratorIb7NonZeroIdEPdlEElEEEE10hipError_tPvRmT1_T2_T3_mT4_P12ihipStream_tbEUlT_E0_NS1_11comp_targetILNS1_3genE2ELNS1_11target_archE906ELNS1_3gpuE6ELNS1_3repE0EEENS1_30default_config_static_selectorELNS0_4arch9wavefront6targetE0EEEvSM_, .Lfunc_end289-_ZN7rocprim17ROCPRIM_400000_NS6detail17trampoline_kernelINS0_14default_configENS1_22reduce_config_selectorIlEEZNS1_11reduce_implILb1ES3_PlS7_lN6hipcub16HIPCUB_304000_NS6detail34convert_binary_result_type_wrapperINS9_3SumENS9_22TransformInputIteratorIb7NonZeroIdEPdlEElEEEE10hipError_tPvRmT1_T2_T3_mT4_P12ihipStream_tbEUlT_E0_NS1_11comp_targetILNS1_3genE2ELNS1_11target_archE906ELNS1_3gpuE6ELNS1_3repE0EEENS1_30default_config_static_selectorELNS0_4arch9wavefront6targetE0EEEvSM_
                                        ; -- End function
	.section	.AMDGPU.csdata,"",@progbits
; Kernel info:
; codeLenInByte = 0
; NumSgprs: 0
; NumVgprs: 0
; ScratchSize: 0
; MemoryBound: 0
; FloatMode: 240
; IeeeMode: 1
; LDSByteSize: 0 bytes/workgroup (compile time only)
; SGPRBlocks: 0
; VGPRBlocks: 0
; NumSGPRsForWavesPerEU: 1
; NumVGPRsForWavesPerEU: 1
; Occupancy: 16
; WaveLimiterHint : 0
; COMPUTE_PGM_RSRC2:SCRATCH_EN: 0
; COMPUTE_PGM_RSRC2:USER_SGPR: 15
; COMPUTE_PGM_RSRC2:TRAP_HANDLER: 0
; COMPUTE_PGM_RSRC2:TGID_X_EN: 1
; COMPUTE_PGM_RSRC2:TGID_Y_EN: 0
; COMPUTE_PGM_RSRC2:TGID_Z_EN: 0
; COMPUTE_PGM_RSRC2:TIDIG_COMP_CNT: 0
	.section	.text._ZN7rocprim17ROCPRIM_400000_NS6detail17trampoline_kernelINS0_14default_configENS1_22reduce_config_selectorIlEEZNS1_11reduce_implILb1ES3_PlS7_lN6hipcub16HIPCUB_304000_NS6detail34convert_binary_result_type_wrapperINS9_3SumENS9_22TransformInputIteratorIb7NonZeroIdEPdlEElEEEE10hipError_tPvRmT1_T2_T3_mT4_P12ihipStream_tbEUlT_E0_NS1_11comp_targetILNS1_3genE10ELNS1_11target_archE1201ELNS1_3gpuE5ELNS1_3repE0EEENS1_30default_config_static_selectorELNS0_4arch9wavefront6targetE0EEEvSM_,"axG",@progbits,_ZN7rocprim17ROCPRIM_400000_NS6detail17trampoline_kernelINS0_14default_configENS1_22reduce_config_selectorIlEEZNS1_11reduce_implILb1ES3_PlS7_lN6hipcub16HIPCUB_304000_NS6detail34convert_binary_result_type_wrapperINS9_3SumENS9_22TransformInputIteratorIb7NonZeroIdEPdlEElEEEE10hipError_tPvRmT1_T2_T3_mT4_P12ihipStream_tbEUlT_E0_NS1_11comp_targetILNS1_3genE10ELNS1_11target_archE1201ELNS1_3gpuE5ELNS1_3repE0EEENS1_30default_config_static_selectorELNS0_4arch9wavefront6targetE0EEEvSM_,comdat
	.protected	_ZN7rocprim17ROCPRIM_400000_NS6detail17trampoline_kernelINS0_14default_configENS1_22reduce_config_selectorIlEEZNS1_11reduce_implILb1ES3_PlS7_lN6hipcub16HIPCUB_304000_NS6detail34convert_binary_result_type_wrapperINS9_3SumENS9_22TransformInputIteratorIb7NonZeroIdEPdlEElEEEE10hipError_tPvRmT1_T2_T3_mT4_P12ihipStream_tbEUlT_E0_NS1_11comp_targetILNS1_3genE10ELNS1_11target_archE1201ELNS1_3gpuE5ELNS1_3repE0EEENS1_30default_config_static_selectorELNS0_4arch9wavefront6targetE0EEEvSM_ ; -- Begin function _ZN7rocprim17ROCPRIM_400000_NS6detail17trampoline_kernelINS0_14default_configENS1_22reduce_config_selectorIlEEZNS1_11reduce_implILb1ES3_PlS7_lN6hipcub16HIPCUB_304000_NS6detail34convert_binary_result_type_wrapperINS9_3SumENS9_22TransformInputIteratorIb7NonZeroIdEPdlEElEEEE10hipError_tPvRmT1_T2_T3_mT4_P12ihipStream_tbEUlT_E0_NS1_11comp_targetILNS1_3genE10ELNS1_11target_archE1201ELNS1_3gpuE5ELNS1_3repE0EEENS1_30default_config_static_selectorELNS0_4arch9wavefront6targetE0EEEvSM_
	.globl	_ZN7rocprim17ROCPRIM_400000_NS6detail17trampoline_kernelINS0_14default_configENS1_22reduce_config_selectorIlEEZNS1_11reduce_implILb1ES3_PlS7_lN6hipcub16HIPCUB_304000_NS6detail34convert_binary_result_type_wrapperINS9_3SumENS9_22TransformInputIteratorIb7NonZeroIdEPdlEElEEEE10hipError_tPvRmT1_T2_T3_mT4_P12ihipStream_tbEUlT_E0_NS1_11comp_targetILNS1_3genE10ELNS1_11target_archE1201ELNS1_3gpuE5ELNS1_3repE0EEENS1_30default_config_static_selectorELNS0_4arch9wavefront6targetE0EEEvSM_
	.p2align	8
	.type	_ZN7rocprim17ROCPRIM_400000_NS6detail17trampoline_kernelINS0_14default_configENS1_22reduce_config_selectorIlEEZNS1_11reduce_implILb1ES3_PlS7_lN6hipcub16HIPCUB_304000_NS6detail34convert_binary_result_type_wrapperINS9_3SumENS9_22TransformInputIteratorIb7NonZeroIdEPdlEElEEEE10hipError_tPvRmT1_T2_T3_mT4_P12ihipStream_tbEUlT_E0_NS1_11comp_targetILNS1_3genE10ELNS1_11target_archE1201ELNS1_3gpuE5ELNS1_3repE0EEENS1_30default_config_static_selectorELNS0_4arch9wavefront6targetE0EEEvSM_,@function
_ZN7rocprim17ROCPRIM_400000_NS6detail17trampoline_kernelINS0_14default_configENS1_22reduce_config_selectorIlEEZNS1_11reduce_implILb1ES3_PlS7_lN6hipcub16HIPCUB_304000_NS6detail34convert_binary_result_type_wrapperINS9_3SumENS9_22TransformInputIteratorIb7NonZeroIdEPdlEElEEEE10hipError_tPvRmT1_T2_T3_mT4_P12ihipStream_tbEUlT_E0_NS1_11comp_targetILNS1_3genE10ELNS1_11target_archE1201ELNS1_3gpuE5ELNS1_3repE0EEENS1_30default_config_static_selectorELNS0_4arch9wavefront6targetE0EEEvSM_: ; @_ZN7rocprim17ROCPRIM_400000_NS6detail17trampoline_kernelINS0_14default_configENS1_22reduce_config_selectorIlEEZNS1_11reduce_implILb1ES3_PlS7_lN6hipcub16HIPCUB_304000_NS6detail34convert_binary_result_type_wrapperINS9_3SumENS9_22TransformInputIteratorIb7NonZeroIdEPdlEElEEEE10hipError_tPvRmT1_T2_T3_mT4_P12ihipStream_tbEUlT_E0_NS1_11comp_targetILNS1_3genE10ELNS1_11target_archE1201ELNS1_3gpuE5ELNS1_3repE0EEENS1_30default_config_static_selectorELNS0_4arch9wavefront6targetE0EEEvSM_
; %bb.0:
	.section	.rodata,"a",@progbits
	.p2align	6, 0x0
	.amdhsa_kernel _ZN7rocprim17ROCPRIM_400000_NS6detail17trampoline_kernelINS0_14default_configENS1_22reduce_config_selectorIlEEZNS1_11reduce_implILb1ES3_PlS7_lN6hipcub16HIPCUB_304000_NS6detail34convert_binary_result_type_wrapperINS9_3SumENS9_22TransformInputIteratorIb7NonZeroIdEPdlEElEEEE10hipError_tPvRmT1_T2_T3_mT4_P12ihipStream_tbEUlT_E0_NS1_11comp_targetILNS1_3genE10ELNS1_11target_archE1201ELNS1_3gpuE5ELNS1_3repE0EEENS1_30default_config_static_selectorELNS0_4arch9wavefront6targetE0EEEvSM_
		.amdhsa_group_segment_fixed_size 0
		.amdhsa_private_segment_fixed_size 0
		.amdhsa_kernarg_size 64
		.amdhsa_user_sgpr_count 15
		.amdhsa_user_sgpr_dispatch_ptr 0
		.amdhsa_user_sgpr_queue_ptr 0
		.amdhsa_user_sgpr_kernarg_segment_ptr 1
		.amdhsa_user_sgpr_dispatch_id 0
		.amdhsa_user_sgpr_private_segment_size 0
		.amdhsa_wavefront_size32 1
		.amdhsa_uses_dynamic_stack 0
		.amdhsa_enable_private_segment 0
		.amdhsa_system_sgpr_workgroup_id_x 1
		.amdhsa_system_sgpr_workgroup_id_y 0
		.amdhsa_system_sgpr_workgroup_id_z 0
		.amdhsa_system_sgpr_workgroup_info 0
		.amdhsa_system_vgpr_workitem_id 0
		.amdhsa_next_free_vgpr 1
		.amdhsa_next_free_sgpr 1
		.amdhsa_reserve_vcc 0
		.amdhsa_float_round_mode_32 0
		.amdhsa_float_round_mode_16_64 0
		.amdhsa_float_denorm_mode_32 3
		.amdhsa_float_denorm_mode_16_64 3
		.amdhsa_dx10_clamp 1
		.amdhsa_ieee_mode 1
		.amdhsa_fp16_overflow 0
		.amdhsa_workgroup_processor_mode 1
		.amdhsa_memory_ordered 1
		.amdhsa_forward_progress 0
		.amdhsa_shared_vgpr_count 0
		.amdhsa_exception_fp_ieee_invalid_op 0
		.amdhsa_exception_fp_denorm_src 0
		.amdhsa_exception_fp_ieee_div_zero 0
		.amdhsa_exception_fp_ieee_overflow 0
		.amdhsa_exception_fp_ieee_underflow 0
		.amdhsa_exception_fp_ieee_inexact 0
		.amdhsa_exception_int_div_zero 0
	.end_amdhsa_kernel
	.section	.text._ZN7rocprim17ROCPRIM_400000_NS6detail17trampoline_kernelINS0_14default_configENS1_22reduce_config_selectorIlEEZNS1_11reduce_implILb1ES3_PlS7_lN6hipcub16HIPCUB_304000_NS6detail34convert_binary_result_type_wrapperINS9_3SumENS9_22TransformInputIteratorIb7NonZeroIdEPdlEElEEEE10hipError_tPvRmT1_T2_T3_mT4_P12ihipStream_tbEUlT_E0_NS1_11comp_targetILNS1_3genE10ELNS1_11target_archE1201ELNS1_3gpuE5ELNS1_3repE0EEENS1_30default_config_static_selectorELNS0_4arch9wavefront6targetE0EEEvSM_,"axG",@progbits,_ZN7rocprim17ROCPRIM_400000_NS6detail17trampoline_kernelINS0_14default_configENS1_22reduce_config_selectorIlEEZNS1_11reduce_implILb1ES3_PlS7_lN6hipcub16HIPCUB_304000_NS6detail34convert_binary_result_type_wrapperINS9_3SumENS9_22TransformInputIteratorIb7NonZeroIdEPdlEElEEEE10hipError_tPvRmT1_T2_T3_mT4_P12ihipStream_tbEUlT_E0_NS1_11comp_targetILNS1_3genE10ELNS1_11target_archE1201ELNS1_3gpuE5ELNS1_3repE0EEENS1_30default_config_static_selectorELNS0_4arch9wavefront6targetE0EEEvSM_,comdat
.Lfunc_end290:
	.size	_ZN7rocprim17ROCPRIM_400000_NS6detail17trampoline_kernelINS0_14default_configENS1_22reduce_config_selectorIlEEZNS1_11reduce_implILb1ES3_PlS7_lN6hipcub16HIPCUB_304000_NS6detail34convert_binary_result_type_wrapperINS9_3SumENS9_22TransformInputIteratorIb7NonZeroIdEPdlEElEEEE10hipError_tPvRmT1_T2_T3_mT4_P12ihipStream_tbEUlT_E0_NS1_11comp_targetILNS1_3genE10ELNS1_11target_archE1201ELNS1_3gpuE5ELNS1_3repE0EEENS1_30default_config_static_selectorELNS0_4arch9wavefront6targetE0EEEvSM_, .Lfunc_end290-_ZN7rocprim17ROCPRIM_400000_NS6detail17trampoline_kernelINS0_14default_configENS1_22reduce_config_selectorIlEEZNS1_11reduce_implILb1ES3_PlS7_lN6hipcub16HIPCUB_304000_NS6detail34convert_binary_result_type_wrapperINS9_3SumENS9_22TransformInputIteratorIb7NonZeroIdEPdlEElEEEE10hipError_tPvRmT1_T2_T3_mT4_P12ihipStream_tbEUlT_E0_NS1_11comp_targetILNS1_3genE10ELNS1_11target_archE1201ELNS1_3gpuE5ELNS1_3repE0EEENS1_30default_config_static_selectorELNS0_4arch9wavefront6targetE0EEEvSM_
                                        ; -- End function
	.section	.AMDGPU.csdata,"",@progbits
; Kernel info:
; codeLenInByte = 0
; NumSgprs: 0
; NumVgprs: 0
; ScratchSize: 0
; MemoryBound: 0
; FloatMode: 240
; IeeeMode: 1
; LDSByteSize: 0 bytes/workgroup (compile time only)
; SGPRBlocks: 0
; VGPRBlocks: 0
; NumSGPRsForWavesPerEU: 1
; NumVGPRsForWavesPerEU: 1
; Occupancy: 16
; WaveLimiterHint : 0
; COMPUTE_PGM_RSRC2:SCRATCH_EN: 0
; COMPUTE_PGM_RSRC2:USER_SGPR: 15
; COMPUTE_PGM_RSRC2:TRAP_HANDLER: 0
; COMPUTE_PGM_RSRC2:TGID_X_EN: 1
; COMPUTE_PGM_RSRC2:TGID_Y_EN: 0
; COMPUTE_PGM_RSRC2:TGID_Z_EN: 0
; COMPUTE_PGM_RSRC2:TIDIG_COMP_CNT: 0
	.section	.text._ZN7rocprim17ROCPRIM_400000_NS6detail17trampoline_kernelINS0_14default_configENS1_22reduce_config_selectorIlEEZNS1_11reduce_implILb1ES3_PlS7_lN6hipcub16HIPCUB_304000_NS6detail34convert_binary_result_type_wrapperINS9_3SumENS9_22TransformInputIteratorIb7NonZeroIdEPdlEElEEEE10hipError_tPvRmT1_T2_T3_mT4_P12ihipStream_tbEUlT_E0_NS1_11comp_targetILNS1_3genE10ELNS1_11target_archE1200ELNS1_3gpuE4ELNS1_3repE0EEENS1_30default_config_static_selectorELNS0_4arch9wavefront6targetE0EEEvSM_,"axG",@progbits,_ZN7rocprim17ROCPRIM_400000_NS6detail17trampoline_kernelINS0_14default_configENS1_22reduce_config_selectorIlEEZNS1_11reduce_implILb1ES3_PlS7_lN6hipcub16HIPCUB_304000_NS6detail34convert_binary_result_type_wrapperINS9_3SumENS9_22TransformInputIteratorIb7NonZeroIdEPdlEElEEEE10hipError_tPvRmT1_T2_T3_mT4_P12ihipStream_tbEUlT_E0_NS1_11comp_targetILNS1_3genE10ELNS1_11target_archE1200ELNS1_3gpuE4ELNS1_3repE0EEENS1_30default_config_static_selectorELNS0_4arch9wavefront6targetE0EEEvSM_,comdat
	.protected	_ZN7rocprim17ROCPRIM_400000_NS6detail17trampoline_kernelINS0_14default_configENS1_22reduce_config_selectorIlEEZNS1_11reduce_implILb1ES3_PlS7_lN6hipcub16HIPCUB_304000_NS6detail34convert_binary_result_type_wrapperINS9_3SumENS9_22TransformInputIteratorIb7NonZeroIdEPdlEElEEEE10hipError_tPvRmT1_T2_T3_mT4_P12ihipStream_tbEUlT_E0_NS1_11comp_targetILNS1_3genE10ELNS1_11target_archE1200ELNS1_3gpuE4ELNS1_3repE0EEENS1_30default_config_static_selectorELNS0_4arch9wavefront6targetE0EEEvSM_ ; -- Begin function _ZN7rocprim17ROCPRIM_400000_NS6detail17trampoline_kernelINS0_14default_configENS1_22reduce_config_selectorIlEEZNS1_11reduce_implILb1ES3_PlS7_lN6hipcub16HIPCUB_304000_NS6detail34convert_binary_result_type_wrapperINS9_3SumENS9_22TransformInputIteratorIb7NonZeroIdEPdlEElEEEE10hipError_tPvRmT1_T2_T3_mT4_P12ihipStream_tbEUlT_E0_NS1_11comp_targetILNS1_3genE10ELNS1_11target_archE1200ELNS1_3gpuE4ELNS1_3repE0EEENS1_30default_config_static_selectorELNS0_4arch9wavefront6targetE0EEEvSM_
	.globl	_ZN7rocprim17ROCPRIM_400000_NS6detail17trampoline_kernelINS0_14default_configENS1_22reduce_config_selectorIlEEZNS1_11reduce_implILb1ES3_PlS7_lN6hipcub16HIPCUB_304000_NS6detail34convert_binary_result_type_wrapperINS9_3SumENS9_22TransformInputIteratorIb7NonZeroIdEPdlEElEEEE10hipError_tPvRmT1_T2_T3_mT4_P12ihipStream_tbEUlT_E0_NS1_11comp_targetILNS1_3genE10ELNS1_11target_archE1200ELNS1_3gpuE4ELNS1_3repE0EEENS1_30default_config_static_selectorELNS0_4arch9wavefront6targetE0EEEvSM_
	.p2align	8
	.type	_ZN7rocprim17ROCPRIM_400000_NS6detail17trampoline_kernelINS0_14default_configENS1_22reduce_config_selectorIlEEZNS1_11reduce_implILb1ES3_PlS7_lN6hipcub16HIPCUB_304000_NS6detail34convert_binary_result_type_wrapperINS9_3SumENS9_22TransformInputIteratorIb7NonZeroIdEPdlEElEEEE10hipError_tPvRmT1_T2_T3_mT4_P12ihipStream_tbEUlT_E0_NS1_11comp_targetILNS1_3genE10ELNS1_11target_archE1200ELNS1_3gpuE4ELNS1_3repE0EEENS1_30default_config_static_selectorELNS0_4arch9wavefront6targetE0EEEvSM_,@function
_ZN7rocprim17ROCPRIM_400000_NS6detail17trampoline_kernelINS0_14default_configENS1_22reduce_config_selectorIlEEZNS1_11reduce_implILb1ES3_PlS7_lN6hipcub16HIPCUB_304000_NS6detail34convert_binary_result_type_wrapperINS9_3SumENS9_22TransformInputIteratorIb7NonZeroIdEPdlEElEEEE10hipError_tPvRmT1_T2_T3_mT4_P12ihipStream_tbEUlT_E0_NS1_11comp_targetILNS1_3genE10ELNS1_11target_archE1200ELNS1_3gpuE4ELNS1_3repE0EEENS1_30default_config_static_selectorELNS0_4arch9wavefront6targetE0EEEvSM_: ; @_ZN7rocprim17ROCPRIM_400000_NS6detail17trampoline_kernelINS0_14default_configENS1_22reduce_config_selectorIlEEZNS1_11reduce_implILb1ES3_PlS7_lN6hipcub16HIPCUB_304000_NS6detail34convert_binary_result_type_wrapperINS9_3SumENS9_22TransformInputIteratorIb7NonZeroIdEPdlEElEEEE10hipError_tPvRmT1_T2_T3_mT4_P12ihipStream_tbEUlT_E0_NS1_11comp_targetILNS1_3genE10ELNS1_11target_archE1200ELNS1_3gpuE4ELNS1_3repE0EEENS1_30default_config_static_selectorELNS0_4arch9wavefront6targetE0EEEvSM_
; %bb.0:
	.section	.rodata,"a",@progbits
	.p2align	6, 0x0
	.amdhsa_kernel _ZN7rocprim17ROCPRIM_400000_NS6detail17trampoline_kernelINS0_14default_configENS1_22reduce_config_selectorIlEEZNS1_11reduce_implILb1ES3_PlS7_lN6hipcub16HIPCUB_304000_NS6detail34convert_binary_result_type_wrapperINS9_3SumENS9_22TransformInputIteratorIb7NonZeroIdEPdlEElEEEE10hipError_tPvRmT1_T2_T3_mT4_P12ihipStream_tbEUlT_E0_NS1_11comp_targetILNS1_3genE10ELNS1_11target_archE1200ELNS1_3gpuE4ELNS1_3repE0EEENS1_30default_config_static_selectorELNS0_4arch9wavefront6targetE0EEEvSM_
		.amdhsa_group_segment_fixed_size 0
		.amdhsa_private_segment_fixed_size 0
		.amdhsa_kernarg_size 64
		.amdhsa_user_sgpr_count 15
		.amdhsa_user_sgpr_dispatch_ptr 0
		.amdhsa_user_sgpr_queue_ptr 0
		.amdhsa_user_sgpr_kernarg_segment_ptr 1
		.amdhsa_user_sgpr_dispatch_id 0
		.amdhsa_user_sgpr_private_segment_size 0
		.amdhsa_wavefront_size32 1
		.amdhsa_uses_dynamic_stack 0
		.amdhsa_enable_private_segment 0
		.amdhsa_system_sgpr_workgroup_id_x 1
		.amdhsa_system_sgpr_workgroup_id_y 0
		.amdhsa_system_sgpr_workgroup_id_z 0
		.amdhsa_system_sgpr_workgroup_info 0
		.amdhsa_system_vgpr_workitem_id 0
		.amdhsa_next_free_vgpr 1
		.amdhsa_next_free_sgpr 1
		.amdhsa_reserve_vcc 0
		.amdhsa_float_round_mode_32 0
		.amdhsa_float_round_mode_16_64 0
		.amdhsa_float_denorm_mode_32 3
		.amdhsa_float_denorm_mode_16_64 3
		.amdhsa_dx10_clamp 1
		.amdhsa_ieee_mode 1
		.amdhsa_fp16_overflow 0
		.amdhsa_workgroup_processor_mode 1
		.amdhsa_memory_ordered 1
		.amdhsa_forward_progress 0
		.amdhsa_shared_vgpr_count 0
		.amdhsa_exception_fp_ieee_invalid_op 0
		.amdhsa_exception_fp_denorm_src 0
		.amdhsa_exception_fp_ieee_div_zero 0
		.amdhsa_exception_fp_ieee_overflow 0
		.amdhsa_exception_fp_ieee_underflow 0
		.amdhsa_exception_fp_ieee_inexact 0
		.amdhsa_exception_int_div_zero 0
	.end_amdhsa_kernel
	.section	.text._ZN7rocprim17ROCPRIM_400000_NS6detail17trampoline_kernelINS0_14default_configENS1_22reduce_config_selectorIlEEZNS1_11reduce_implILb1ES3_PlS7_lN6hipcub16HIPCUB_304000_NS6detail34convert_binary_result_type_wrapperINS9_3SumENS9_22TransformInputIteratorIb7NonZeroIdEPdlEElEEEE10hipError_tPvRmT1_T2_T3_mT4_P12ihipStream_tbEUlT_E0_NS1_11comp_targetILNS1_3genE10ELNS1_11target_archE1200ELNS1_3gpuE4ELNS1_3repE0EEENS1_30default_config_static_selectorELNS0_4arch9wavefront6targetE0EEEvSM_,"axG",@progbits,_ZN7rocprim17ROCPRIM_400000_NS6detail17trampoline_kernelINS0_14default_configENS1_22reduce_config_selectorIlEEZNS1_11reduce_implILb1ES3_PlS7_lN6hipcub16HIPCUB_304000_NS6detail34convert_binary_result_type_wrapperINS9_3SumENS9_22TransformInputIteratorIb7NonZeroIdEPdlEElEEEE10hipError_tPvRmT1_T2_T3_mT4_P12ihipStream_tbEUlT_E0_NS1_11comp_targetILNS1_3genE10ELNS1_11target_archE1200ELNS1_3gpuE4ELNS1_3repE0EEENS1_30default_config_static_selectorELNS0_4arch9wavefront6targetE0EEEvSM_,comdat
.Lfunc_end291:
	.size	_ZN7rocprim17ROCPRIM_400000_NS6detail17trampoline_kernelINS0_14default_configENS1_22reduce_config_selectorIlEEZNS1_11reduce_implILb1ES3_PlS7_lN6hipcub16HIPCUB_304000_NS6detail34convert_binary_result_type_wrapperINS9_3SumENS9_22TransformInputIteratorIb7NonZeroIdEPdlEElEEEE10hipError_tPvRmT1_T2_T3_mT4_P12ihipStream_tbEUlT_E0_NS1_11comp_targetILNS1_3genE10ELNS1_11target_archE1200ELNS1_3gpuE4ELNS1_3repE0EEENS1_30default_config_static_selectorELNS0_4arch9wavefront6targetE0EEEvSM_, .Lfunc_end291-_ZN7rocprim17ROCPRIM_400000_NS6detail17trampoline_kernelINS0_14default_configENS1_22reduce_config_selectorIlEEZNS1_11reduce_implILb1ES3_PlS7_lN6hipcub16HIPCUB_304000_NS6detail34convert_binary_result_type_wrapperINS9_3SumENS9_22TransformInputIteratorIb7NonZeroIdEPdlEElEEEE10hipError_tPvRmT1_T2_T3_mT4_P12ihipStream_tbEUlT_E0_NS1_11comp_targetILNS1_3genE10ELNS1_11target_archE1200ELNS1_3gpuE4ELNS1_3repE0EEENS1_30default_config_static_selectorELNS0_4arch9wavefront6targetE0EEEvSM_
                                        ; -- End function
	.section	.AMDGPU.csdata,"",@progbits
; Kernel info:
; codeLenInByte = 0
; NumSgprs: 0
; NumVgprs: 0
; ScratchSize: 0
; MemoryBound: 0
; FloatMode: 240
; IeeeMode: 1
; LDSByteSize: 0 bytes/workgroup (compile time only)
; SGPRBlocks: 0
; VGPRBlocks: 0
; NumSGPRsForWavesPerEU: 1
; NumVGPRsForWavesPerEU: 1
; Occupancy: 16
; WaveLimiterHint : 0
; COMPUTE_PGM_RSRC2:SCRATCH_EN: 0
; COMPUTE_PGM_RSRC2:USER_SGPR: 15
; COMPUTE_PGM_RSRC2:TRAP_HANDLER: 0
; COMPUTE_PGM_RSRC2:TGID_X_EN: 1
; COMPUTE_PGM_RSRC2:TGID_Y_EN: 0
; COMPUTE_PGM_RSRC2:TGID_Z_EN: 0
; COMPUTE_PGM_RSRC2:TIDIG_COMP_CNT: 0
	.section	.text._ZN7rocprim17ROCPRIM_400000_NS6detail17trampoline_kernelINS0_14default_configENS1_22reduce_config_selectorIlEEZNS1_11reduce_implILb1ES3_PlS7_lN6hipcub16HIPCUB_304000_NS6detail34convert_binary_result_type_wrapperINS9_3SumENS9_22TransformInputIteratorIb7NonZeroIdEPdlEElEEEE10hipError_tPvRmT1_T2_T3_mT4_P12ihipStream_tbEUlT_E0_NS1_11comp_targetILNS1_3genE9ELNS1_11target_archE1100ELNS1_3gpuE3ELNS1_3repE0EEENS1_30default_config_static_selectorELNS0_4arch9wavefront6targetE0EEEvSM_,"axG",@progbits,_ZN7rocprim17ROCPRIM_400000_NS6detail17trampoline_kernelINS0_14default_configENS1_22reduce_config_selectorIlEEZNS1_11reduce_implILb1ES3_PlS7_lN6hipcub16HIPCUB_304000_NS6detail34convert_binary_result_type_wrapperINS9_3SumENS9_22TransformInputIteratorIb7NonZeroIdEPdlEElEEEE10hipError_tPvRmT1_T2_T3_mT4_P12ihipStream_tbEUlT_E0_NS1_11comp_targetILNS1_3genE9ELNS1_11target_archE1100ELNS1_3gpuE3ELNS1_3repE0EEENS1_30default_config_static_selectorELNS0_4arch9wavefront6targetE0EEEvSM_,comdat
	.protected	_ZN7rocprim17ROCPRIM_400000_NS6detail17trampoline_kernelINS0_14default_configENS1_22reduce_config_selectorIlEEZNS1_11reduce_implILb1ES3_PlS7_lN6hipcub16HIPCUB_304000_NS6detail34convert_binary_result_type_wrapperINS9_3SumENS9_22TransformInputIteratorIb7NonZeroIdEPdlEElEEEE10hipError_tPvRmT1_T2_T3_mT4_P12ihipStream_tbEUlT_E0_NS1_11comp_targetILNS1_3genE9ELNS1_11target_archE1100ELNS1_3gpuE3ELNS1_3repE0EEENS1_30default_config_static_selectorELNS0_4arch9wavefront6targetE0EEEvSM_ ; -- Begin function _ZN7rocprim17ROCPRIM_400000_NS6detail17trampoline_kernelINS0_14default_configENS1_22reduce_config_selectorIlEEZNS1_11reduce_implILb1ES3_PlS7_lN6hipcub16HIPCUB_304000_NS6detail34convert_binary_result_type_wrapperINS9_3SumENS9_22TransformInputIteratorIb7NonZeroIdEPdlEElEEEE10hipError_tPvRmT1_T2_T3_mT4_P12ihipStream_tbEUlT_E0_NS1_11comp_targetILNS1_3genE9ELNS1_11target_archE1100ELNS1_3gpuE3ELNS1_3repE0EEENS1_30default_config_static_selectorELNS0_4arch9wavefront6targetE0EEEvSM_
	.globl	_ZN7rocprim17ROCPRIM_400000_NS6detail17trampoline_kernelINS0_14default_configENS1_22reduce_config_selectorIlEEZNS1_11reduce_implILb1ES3_PlS7_lN6hipcub16HIPCUB_304000_NS6detail34convert_binary_result_type_wrapperINS9_3SumENS9_22TransformInputIteratorIb7NonZeroIdEPdlEElEEEE10hipError_tPvRmT1_T2_T3_mT4_P12ihipStream_tbEUlT_E0_NS1_11comp_targetILNS1_3genE9ELNS1_11target_archE1100ELNS1_3gpuE3ELNS1_3repE0EEENS1_30default_config_static_selectorELNS0_4arch9wavefront6targetE0EEEvSM_
	.p2align	8
	.type	_ZN7rocprim17ROCPRIM_400000_NS6detail17trampoline_kernelINS0_14default_configENS1_22reduce_config_selectorIlEEZNS1_11reduce_implILb1ES3_PlS7_lN6hipcub16HIPCUB_304000_NS6detail34convert_binary_result_type_wrapperINS9_3SumENS9_22TransformInputIteratorIb7NonZeroIdEPdlEElEEEE10hipError_tPvRmT1_T2_T3_mT4_P12ihipStream_tbEUlT_E0_NS1_11comp_targetILNS1_3genE9ELNS1_11target_archE1100ELNS1_3gpuE3ELNS1_3repE0EEENS1_30default_config_static_selectorELNS0_4arch9wavefront6targetE0EEEvSM_,@function
_ZN7rocprim17ROCPRIM_400000_NS6detail17trampoline_kernelINS0_14default_configENS1_22reduce_config_selectorIlEEZNS1_11reduce_implILb1ES3_PlS7_lN6hipcub16HIPCUB_304000_NS6detail34convert_binary_result_type_wrapperINS9_3SumENS9_22TransformInputIteratorIb7NonZeroIdEPdlEElEEEE10hipError_tPvRmT1_T2_T3_mT4_P12ihipStream_tbEUlT_E0_NS1_11comp_targetILNS1_3genE9ELNS1_11target_archE1100ELNS1_3gpuE3ELNS1_3repE0EEENS1_30default_config_static_selectorELNS0_4arch9wavefront6targetE0EEEvSM_: ; @_ZN7rocprim17ROCPRIM_400000_NS6detail17trampoline_kernelINS0_14default_configENS1_22reduce_config_selectorIlEEZNS1_11reduce_implILb1ES3_PlS7_lN6hipcub16HIPCUB_304000_NS6detail34convert_binary_result_type_wrapperINS9_3SumENS9_22TransformInputIteratorIb7NonZeroIdEPdlEElEEEE10hipError_tPvRmT1_T2_T3_mT4_P12ihipStream_tbEUlT_E0_NS1_11comp_targetILNS1_3genE9ELNS1_11target_archE1100ELNS1_3gpuE3ELNS1_3repE0EEENS1_30default_config_static_selectorELNS0_4arch9wavefront6targetE0EEEvSM_
; %bb.0:
	s_mov_b32 s2, s15
	s_clause 0x2
	s_load_b256 s[4:11], s[0:1], 0x0
	s_load_b128 s[12:15], s[0:1], 0x20
	s_load_b64 s[16:17], s[0:1], 0x30
	s_mov_b32 s1, 0
	v_lshlrev_b32_e32 v10, 3, v0
	v_mbcnt_lo_u32_b32 v9, -1, 0
	s_mov_b32 s3, s1
	s_waitcnt lgkmcnt(0)
	s_lshl_b64 s[6:7], s[6:7], 3
	s_delay_alu instid0(SALU_CYCLE_1) | instskip(SKIP_4) | instid1(SALU_CYCLE_1)
	s_add_u32 s18, s4, s6
	s_addc_u32 s19, s5, s7
	s_lshl_b32 s0, s2, 10
	s_lshr_b64 s[6:7], s[8:9], 10
	s_lshl_b64 s[4:5], s[0:1], 3
	s_add_u32 s4, s18, s4
	s_addc_u32 s5, s19, s5
	s_cmp_lg_u64 s[6:7], s[2:3]
	s_cbranch_scc0 .LBB292_6
; %bb.1:
	v_add_co_u32 v3, s1, s4, v10
	s_delay_alu instid0(VALU_DEP_1)
	v_add_co_ci_u32_e64 v4, null, s5, 0, s1
	global_load_b64 v[1:2], v10, s[4:5] offset:2048
	v_add_co_u32 v3, vcc_lo, 0x1000, v3
	v_add_co_ci_u32_e32 v4, vcc_lo, 0, v4, vcc_lo
	s_mov_b32 s1, exec_lo
	s_clause 0x2
	global_load_b64 v[5:6], v10, s[4:5]
	global_load_b64 v[7:8], v[3:4], off
	global_load_b64 v[3:4], v[3:4], off offset:2048
	s_waitcnt vmcnt(2)
	v_add_co_u32 v1, vcc_lo, v1, v5
	v_add_co_ci_u32_e32 v2, vcc_lo, v2, v6, vcc_lo
	s_waitcnt vmcnt(1)
	s_delay_alu instid0(VALU_DEP_2) | instskip(NEXT) | instid1(VALU_DEP_2)
	v_add_co_u32 v1, vcc_lo, v1, v7
	v_add_co_ci_u32_e32 v2, vcc_lo, v2, v8, vcc_lo
	s_waitcnt vmcnt(0)
	s_delay_alu instid0(VALU_DEP_2) | instskip(NEXT) | instid1(VALU_DEP_2)
	v_add_co_u32 v1, vcc_lo, v1, v3
	v_add_co_ci_u32_e32 v2, vcc_lo, v2, v4, vcc_lo
	s_delay_alu instid0(VALU_DEP_2) | instskip(NEXT) | instid1(VALU_DEP_1)
	v_mov_b32_dpp v3, v1 quad_perm:[1,0,3,2] row_mask:0xf bank_mask:0xf
	v_add_co_u32 v1, vcc_lo, v1, v3
	s_delay_alu instid0(VALU_DEP_3) | instskip(SKIP_1) | instid1(VALU_DEP_3)
	v_mov_b32_dpp v3, v2 quad_perm:[1,0,3,2] row_mask:0xf bank_mask:0xf
	v_add_co_ci_u32_e32 v2, vcc_lo, 0, v2, vcc_lo
	v_mov_b32_dpp v4, v1 quad_perm:[2,3,0,1] row_mask:0xf bank_mask:0xf
	v_add_co_u32 v1, vcc_lo, 0, v1
	s_delay_alu instid0(VALU_DEP_3) | instskip(NEXT) | instid1(VALU_DEP_2)
	v_add_co_ci_u32_e32 v2, vcc_lo, v3, v2, vcc_lo
	v_add_co_u32 v1, vcc_lo, v1, v4
	s_delay_alu instid0(VALU_DEP_2) | instskip(SKIP_1) | instid1(VALU_DEP_3)
	v_mov_b32_dpp v3, v2 quad_perm:[2,3,0,1] row_mask:0xf bank_mask:0xf
	v_add_co_ci_u32_e32 v2, vcc_lo, 0, v2, vcc_lo
	v_mov_b32_dpp v4, v1 row_ror:4 row_mask:0xf bank_mask:0xf
	v_add_co_u32 v1, vcc_lo, v1, 0
	s_delay_alu instid0(VALU_DEP_3) | instskip(NEXT) | instid1(VALU_DEP_2)
	v_add_co_ci_u32_e32 v2, vcc_lo, v2, v3, vcc_lo
	v_add_co_u32 v1, vcc_lo, v1, v4
	s_delay_alu instid0(VALU_DEP_2) | instskip(SKIP_1) | instid1(VALU_DEP_3)
	v_mov_b32_dpp v3, v2 row_ror:4 row_mask:0xf bank_mask:0xf
	v_add_co_ci_u32_e32 v2, vcc_lo, 0, v2, vcc_lo
	v_mov_b32_dpp v4, v1 row_ror:8 row_mask:0xf bank_mask:0xf
	v_add_co_u32 v1, vcc_lo, v1, 0
	s_delay_alu instid0(VALU_DEP_3) | instskip(NEXT) | instid1(VALU_DEP_2)
	v_add_co_ci_u32_e32 v2, vcc_lo, v2, v3, vcc_lo
	v_add_co_u32 v1, vcc_lo, v1, v4
	s_delay_alu instid0(VALU_DEP_2)
	v_mov_b32_dpp v3, v2 row_ror:8 row_mask:0xf bank_mask:0xf
	v_add_co_ci_u32_e32 v2, vcc_lo, 0, v2, vcc_lo
	ds_swizzle_b32 v4, v1 offset:swizzle(BROADCAST,32,15)
	v_add_co_u32 v1, vcc_lo, v1, 0
	v_add_co_ci_u32_e32 v2, vcc_lo, v2, v3, vcc_lo
	ds_swizzle_b32 v3, v2 offset:swizzle(BROADCAST,32,15)
	s_waitcnt lgkmcnt(1)
	v_add_co_u32 v1, vcc_lo, v1, v4
	v_add_co_ci_u32_e32 v2, vcc_lo, 0, v2, vcc_lo
	v_mov_b32_e32 v4, 0
	s_waitcnt lgkmcnt(0)
	s_delay_alu instid0(VALU_DEP_2)
	v_add_nc_u32_e32 v2, v3, v2
	ds_bpermute_b32 v1, v4, v1 offset:124
	ds_bpermute_b32 v2, v4, v2 offset:124
	v_cmpx_eq_u32_e32 0, v9
	s_cbranch_execz .LBB292_3
; %bb.2:
	v_lshrrev_b32_e32 v3, 2, v0
	s_delay_alu instid0(VALU_DEP_1)
	v_and_b32_e32 v3, 56, v3
	s_waitcnt lgkmcnt(0)
	ds_store_b64 v3, v[1:2]
.LBB292_3:
	s_or_b32 exec_lo, exec_lo, s1
	s_delay_alu instid0(SALU_CYCLE_1)
	s_mov_b32 s1, exec_lo
	s_waitcnt lgkmcnt(0)
	s_barrier
	buffer_gl0_inv
	v_cmpx_gt_u32_e32 32, v0
	s_cbranch_execz .LBB292_5
; %bb.4:
	v_and_b32_e32 v3, 7, v9
	s_delay_alu instid0(VALU_DEP_1) | instskip(SKIP_4) | instid1(VALU_DEP_2)
	v_lshlrev_b32_e32 v1, 3, v3
	v_cmp_ne_u32_e32 vcc_lo, 7, v3
	ds_load_b64 v[1:2], v1
	v_add_co_ci_u32_e32 v4, vcc_lo, 0, v9, vcc_lo
	v_cmp_gt_u32_e32 vcc_lo, 6, v3
	v_lshlrev_b32_e32 v4, 2, v4
	v_cndmask_b32_e64 v6, 0, 1, vcc_lo
	s_delay_alu instid0(VALU_DEP_1) | instskip(NEXT) | instid1(VALU_DEP_1)
	v_lshlrev_b32_e32 v6, 1, v6
	v_add_lshl_u32 v6, v6, v9, 2
	s_waitcnt lgkmcnt(0)
	ds_bpermute_b32 v5, v4, v1
	ds_bpermute_b32 v4, v4, v2
	s_waitcnt lgkmcnt(1)
	v_add_co_u32 v1, vcc_lo, v1, v5
	v_add_co_ci_u32_e32 v2, vcc_lo, 0, v2, vcc_lo
	ds_bpermute_b32 v5, v6, v1
	v_add_co_u32 v1, vcc_lo, 0, v1
	s_waitcnt lgkmcnt(1)
	v_add_co_ci_u32_e32 v2, vcc_lo, v4, v2, vcc_lo
	v_cmp_gt_u32_e32 vcc_lo, 4, v3
	ds_bpermute_b32 v4, v6, v2
	v_cndmask_b32_e64 v3, 0, 1, vcc_lo
	s_delay_alu instid0(VALU_DEP_1) | instskip(NEXT) | instid1(VALU_DEP_1)
	v_lshlrev_b32_e32 v3, 2, v3
	v_add_lshl_u32 v3, v3, v9, 2
	s_waitcnt lgkmcnt(1)
	v_add_co_u32 v1, vcc_lo, v1, v5
	v_add_co_ci_u32_e32 v2, vcc_lo, 0, v2, vcc_lo
	ds_bpermute_b32 v5, v3, v1
	v_add_co_u32 v1, vcc_lo, v1, 0
	s_waitcnt lgkmcnt(1)
	v_add_co_ci_u32_e32 v2, vcc_lo, v2, v4, vcc_lo
	ds_bpermute_b32 v3, v3, v2
	s_waitcnt lgkmcnt(1)
	v_add_co_u32 v1, vcc_lo, v1, v5
	v_add_co_ci_u32_e32 v2, vcc_lo, 0, v2, vcc_lo
	s_delay_alu instid0(VALU_DEP_2) | instskip(SKIP_1) | instid1(VALU_DEP_2)
	v_add_co_u32 v1, vcc_lo, v1, 0
	s_waitcnt lgkmcnt(0)
	v_add_co_ci_u32_e32 v2, vcc_lo, v2, v3, vcc_lo
.LBB292_5:
	s_or_b32 exec_lo, exec_lo, s1
	s_branch .LBB292_36
.LBB292_6:
                                        ; implicit-def: $vgpr1_vgpr2
	s_cbranch_execz .LBB292_36
; %bb.7:
	s_sub_i32 s6, s8, s0
	s_mov_b32 s0, exec_lo
                                        ; implicit-def: $vgpr1_vgpr2_vgpr3_vgpr4_vgpr5_vgpr6_vgpr7_vgpr8
	v_cmpx_gt_u32_e64 s6, v0
	s_cbranch_execz .LBB292_9
; %bb.8:
	global_load_b64 v[1:2], v10, s[4:5]
.LBB292_9:
	s_or_b32 exec_lo, exec_lo, s0
	v_or_b32_e32 v11, 0x100, v0
	s_delay_alu instid0(VALU_DEP_1)
	v_cmp_gt_u32_e32 vcc_lo, s6, v11
	s_and_saveexec_b32 s0, vcc_lo
	s_cbranch_execz .LBB292_11
; %bb.10:
	global_load_b64 v[3:4], v10, s[4:5] offset:2048
.LBB292_11:
	s_or_b32 exec_lo, exec_lo, s0
	v_or_b32_e32 v10, 0x200, v0
	s_delay_alu instid0(VALU_DEP_1) | instskip(NEXT) | instid1(VALU_DEP_1)
	v_cmp_gt_u32_e64 s0, s6, v10
	s_and_saveexec_b32 s1, s0
	s_cbranch_execz .LBB292_13
; %bb.12:
	v_lshlrev_b32_e32 v5, 3, v10
	global_load_b64 v[5:6], v5, s[4:5]
.LBB292_13:
	s_or_b32 exec_lo, exec_lo, s1
	v_or_b32_e32 v10, 0x300, v0
	s_delay_alu instid0(VALU_DEP_1) | instskip(NEXT) | instid1(VALU_DEP_1)
	v_cmp_gt_u32_e64 s1, s6, v10
	s_and_saveexec_b32 s7, s1
	s_cbranch_execz .LBB292_15
; %bb.14:
	v_lshlrev_b32_e32 v7, 3, v10
	global_load_b64 v[7:8], v7, s[4:5]
.LBB292_15:
	s_or_b32 exec_lo, exec_lo, s7
	s_waitcnt vmcnt(0)
	v_dual_cndmask_b32 v3, 0, v3 :: v_dual_cndmask_b32 v4, 0, v4
	s_delay_alu instid0(VALU_DEP_1) | instskip(NEXT) | instid1(VALU_DEP_2)
	v_add_co_u32 v1, vcc_lo, v3, v1
	v_add_co_ci_u32_e32 v2, vcc_lo, v4, v2, vcc_lo
	v_cmp_ne_u32_e32 vcc_lo, 31, v9
	v_cndmask_b32_e64 v4, 0, v5, s0
	v_cndmask_b32_e64 v3, 0, v6, s0
	;; [unrolled: 1-line block ×3, first 2 shown]
	s_min_u32 s0, s6, 0x100
	v_add_co_ci_u32_e32 v6, vcc_lo, 0, v9, vcc_lo
	v_add_co_u32 v1, vcc_lo, v1, v4
	v_add_co_ci_u32_e32 v2, vcc_lo, v2, v3, vcc_lo
	v_cndmask_b32_e64 v3, 0, v8, s1
	s_delay_alu instid0(VALU_DEP_3) | instskip(SKIP_1) | instid1(VALU_DEP_3)
	v_add_co_u32 v1, vcc_lo, v1, v5
	v_lshlrev_b32_e32 v4, 2, v6
	v_add_co_ci_u32_e32 v2, vcc_lo, v2, v3, vcc_lo
	v_and_b32_e32 v3, 0xe0, v0
	ds_bpermute_b32 v6, v4, v1
	ds_bpermute_b32 v5, v4, v2
	v_add_nc_u32_e32 v4, 1, v9
	v_sub_nc_u32_e64 v3, s0, v3 clamp
	s_delay_alu instid0(VALU_DEP_1)
	v_cmp_lt_u32_e32 vcc_lo, v4, v3
	v_mov_b32_e32 v4, v1
	s_and_saveexec_b32 s1, vcc_lo
	s_cbranch_execz .LBB292_17
; %bb.16:
	s_waitcnt lgkmcnt(1)
	v_add_co_u32 v4, vcc_lo, v1, v6
	v_add_co_ci_u32_e32 v2, vcc_lo, 0, v2, vcc_lo
	s_delay_alu instid0(VALU_DEP_2) | instskip(SKIP_1) | instid1(VALU_DEP_2)
	v_add_co_u32 v1, vcc_lo, v4, 0
	s_waitcnt lgkmcnt(0)
	v_add_co_ci_u32_e32 v2, vcc_lo, v2, v5, vcc_lo
.LBB292_17:
	s_or_b32 exec_lo, exec_lo, s1
	v_cmp_gt_u32_e32 vcc_lo, 30, v9
	v_add_nc_u32_e32 v7, 2, v9
	s_mov_b32 s1, exec_lo
	s_waitcnt lgkmcnt(0)
	v_cndmask_b32_e64 v5, 0, 1, vcc_lo
	s_delay_alu instid0(VALU_DEP_1) | instskip(NEXT) | instid1(VALU_DEP_1)
	v_lshlrev_b32_e32 v5, 1, v5
	v_add_lshl_u32 v5, v5, v9, 2
	ds_bpermute_b32 v6, v5, v4
	ds_bpermute_b32 v5, v5, v2
	v_cmpx_lt_u32_e64 v7, v3
	s_cbranch_execz .LBB292_19
; %bb.18:
	s_waitcnt lgkmcnt(1)
	v_add_co_u32 v4, vcc_lo, v1, v6
	v_add_co_ci_u32_e32 v2, vcc_lo, 0, v2, vcc_lo
	s_delay_alu instid0(VALU_DEP_2) | instskip(SKIP_1) | instid1(VALU_DEP_2)
	v_add_co_u32 v1, vcc_lo, 0, v4
	s_waitcnt lgkmcnt(0)
	v_add_co_ci_u32_e32 v2, vcc_lo, v5, v2, vcc_lo
.LBB292_19:
	s_or_b32 exec_lo, exec_lo, s1
	v_cmp_gt_u32_e32 vcc_lo, 28, v9
	v_add_nc_u32_e32 v7, 4, v9
	s_mov_b32 s1, exec_lo
	s_waitcnt lgkmcnt(0)
	v_cndmask_b32_e64 v5, 0, 1, vcc_lo
	s_delay_alu instid0(VALU_DEP_1) | instskip(NEXT) | instid1(VALU_DEP_1)
	v_lshlrev_b32_e32 v5, 2, v5
	v_add_lshl_u32 v5, v5, v9, 2
	ds_bpermute_b32 v6, v5, v4
	ds_bpermute_b32 v5, v5, v2
	v_cmpx_lt_u32_e64 v7, v3
	;; [unrolled: 22-line block ×3, first 2 shown]
	s_cbranch_execz .LBB292_23
; %bb.22:
	s_waitcnt lgkmcnt(1)
	v_add_co_u32 v4, vcc_lo, v1, v6
	v_add_co_ci_u32_e32 v2, vcc_lo, 0, v2, vcc_lo
	s_delay_alu instid0(VALU_DEP_2) | instskip(SKIP_1) | instid1(VALU_DEP_2)
	v_add_co_u32 v1, vcc_lo, 0, v4
	s_waitcnt lgkmcnt(0)
	v_add_co_ci_u32_e32 v2, vcc_lo, v5, v2, vcc_lo
.LBB292_23:
	s_or_b32 exec_lo, exec_lo, s1
	v_cmp_gt_u32_e32 vcc_lo, 16, v9
	s_mov_b32 s1, exec_lo
	s_waitcnt lgkmcnt(0)
	v_cndmask_b32_e64 v5, 0, 1, vcc_lo
	s_delay_alu instid0(VALU_DEP_1) | instskip(NEXT) | instid1(VALU_DEP_1)
	v_lshlrev_b32_e32 v5, 4, v5
	v_add_lshl_u32 v6, v5, v9, 2
	ds_bpermute_b32 v5, v6, v4
	ds_bpermute_b32 v4, v6, v2
	v_add_nc_u32_e32 v6, 16, v9
	s_delay_alu instid0(VALU_DEP_1)
	v_cmpx_lt_u32_e64 v6, v3
	s_cbranch_execz .LBB292_25
; %bb.24:
	s_waitcnt lgkmcnt(1)
	v_add_co_u32 v1, vcc_lo, v1, v5
	v_add_co_ci_u32_e32 v2, vcc_lo, 0, v2, vcc_lo
	s_delay_alu instid0(VALU_DEP_2) | instskip(SKIP_1) | instid1(VALU_DEP_2)
	v_add_co_u32 v1, vcc_lo, v1, 0
	s_waitcnt lgkmcnt(0)
	v_add_co_ci_u32_e32 v2, vcc_lo, v2, v4, vcc_lo
.LBB292_25:
	s_or_b32 exec_lo, exec_lo, s1
	s_delay_alu instid0(SALU_CYCLE_1)
	s_mov_b32 s1, exec_lo
	v_cmpx_eq_u32_e32 0, v9
	s_cbranch_execz .LBB292_27
; %bb.26:
	v_lshrrev_b32_e32 v3, 2, v0
	s_delay_alu instid0(VALU_DEP_1)
	v_and_b32_e32 v3, 56, v3
	ds_store_b64 v3, v[1:2] offset:64
.LBB292_27:
	s_or_b32 exec_lo, exec_lo, s1
	s_delay_alu instid0(SALU_CYCLE_1)
	s_mov_b32 s1, exec_lo
	s_waitcnt lgkmcnt(0)
	s_barrier
	buffer_gl0_inv
	v_cmpx_gt_u32_e32 8, v0
	s_cbranch_execz .LBB292_35
; %bb.28:
	v_lshlrev_b32_e32 v1, 3, v9
	s_add_i32 s0, s0, 31
	s_delay_alu instid0(SALU_CYCLE_1) | instskip(SKIP_2) | instid1(VALU_DEP_1)
	s_lshr_b32 s0, s0, 5
	ds_load_b64 v[1:2], v1 offset:64
	v_and_b32_e32 v3, 7, v9
	v_cmp_ne_u32_e32 vcc_lo, 7, v3
	v_add_co_ci_u32_e32 v4, vcc_lo, 0, v9, vcc_lo
	s_delay_alu instid0(VALU_DEP_1) | instskip(SKIP_4) | instid1(VALU_DEP_1)
	v_lshlrev_b32_e32 v4, 2, v4
	s_waitcnt lgkmcnt(0)
	ds_bpermute_b32 v6, v4, v1
	ds_bpermute_b32 v5, v4, v2
	v_add_nc_u32_e32 v4, 1, v3
	v_cmp_gt_u32_e32 vcc_lo, s0, v4
	v_mov_b32_e32 v4, v1
	s_and_saveexec_b32 s4, vcc_lo
	s_cbranch_execz .LBB292_30
; %bb.29:
	s_waitcnt lgkmcnt(1)
	v_add_co_u32 v4, vcc_lo, v1, v6
	v_add_co_ci_u32_e32 v2, vcc_lo, 0, v2, vcc_lo
	s_delay_alu instid0(VALU_DEP_2) | instskip(SKIP_1) | instid1(VALU_DEP_2)
	v_add_co_u32 v1, vcc_lo, 0, v4
	s_waitcnt lgkmcnt(0)
	v_add_co_ci_u32_e32 v2, vcc_lo, v5, v2, vcc_lo
.LBB292_30:
	s_or_b32 exec_lo, exec_lo, s4
	v_cmp_gt_u32_e32 vcc_lo, 6, v3
	v_add_nc_u32_e32 v7, 2, v3
	s_mov_b32 s4, exec_lo
	s_waitcnt lgkmcnt(0)
	v_cndmask_b32_e64 v5, 0, 1, vcc_lo
	s_delay_alu instid0(VALU_DEP_1) | instskip(NEXT) | instid1(VALU_DEP_1)
	v_lshlrev_b32_e32 v5, 1, v5
	v_add_lshl_u32 v5, v5, v9, 2
	ds_bpermute_b32 v6, v5, v4
	ds_bpermute_b32 v5, v5, v2
	v_cmpx_gt_u32_e64 s0, v7
	s_cbranch_execz .LBB292_32
; %bb.31:
	s_waitcnt lgkmcnt(1)
	v_add_co_u32 v4, vcc_lo, v1, v6
	v_add_co_ci_u32_e32 v2, vcc_lo, 0, v2, vcc_lo
	s_delay_alu instid0(VALU_DEP_2) | instskip(SKIP_1) | instid1(VALU_DEP_2)
	v_add_co_u32 v1, vcc_lo, 0, v4
	s_waitcnt lgkmcnt(0)
	v_add_co_ci_u32_e32 v2, vcc_lo, v5, v2, vcc_lo
.LBB292_32:
	s_or_b32 exec_lo, exec_lo, s4
	v_cmp_gt_u32_e32 vcc_lo, 4, v3
	v_add_nc_u32_e32 v3, 4, v3
	s_waitcnt lgkmcnt(0)
	v_cndmask_b32_e64 v5, 0, 1, vcc_lo
	s_delay_alu instid0(VALU_DEP_2) | instskip(NEXT) | instid1(VALU_DEP_2)
	v_cmp_gt_u32_e32 vcc_lo, s0, v3
	v_lshlrev_b32_e32 v5, 2, v5
	s_delay_alu instid0(VALU_DEP_1)
	v_add_lshl_u32 v6, v5, v9, 2
	ds_bpermute_b32 v5, v6, v4
	ds_bpermute_b32 v4, v6, v2
	s_and_saveexec_b32 s0, vcc_lo
	s_cbranch_execz .LBB292_34
; %bb.33:
	s_waitcnt lgkmcnt(1)
	v_add_co_u32 v1, vcc_lo, v1, v5
	v_add_co_ci_u32_e32 v2, vcc_lo, 0, v2, vcc_lo
	s_delay_alu instid0(VALU_DEP_2) | instskip(SKIP_1) | instid1(VALU_DEP_2)
	v_add_co_u32 v1, vcc_lo, v1, 0
	s_waitcnt lgkmcnt(0)
	v_add_co_ci_u32_e32 v2, vcc_lo, v2, v4, vcc_lo
.LBB292_34:
	s_or_b32 exec_lo, exec_lo, s0
.LBB292_35:
	s_delay_alu instid0(SALU_CYCLE_1)
	s_or_b32 exec_lo, exec_lo, s1
.LBB292_36:
	s_delay_alu instid0(SALU_CYCLE_1)
	s_mov_b32 s0, exec_lo
	v_cmpx_eq_u32_e32 0, v0
	s_cbranch_execz .LBB292_38
; %bb.37:
	s_mul_i32 s0, s14, s13
	s_mul_hi_u32 s1, s14, s12
	s_mul_i32 s4, s15, s12
	s_add_i32 s1, s1, s0
	s_mul_i32 s0, s14, s12
	s_add_i32 s1, s1, s4
	v_mov_b32_e32 v0, 0
	s_lshl_b64 s[0:1], s[0:1], 3
	s_delay_alu instid0(SALU_CYCLE_1)
	s_add_u32 s4, s10, s0
	s_addc_u32 s5, s11, s1
	s_cmp_eq_u64 s[8:9], 0
	s_cselect_b32 s6, -1, 0
	s_lshl_b64 s[0:1], s[2:3], 3
	v_cndmask_b32_e64 v2, v2, s17, s6
	v_cndmask_b32_e64 v1, v1, s16, s6
	s_add_u32 s0, s4, s0
	s_addc_u32 s1, s5, s1
	global_store_b64 v0, v[1:2], s[0:1]
.LBB292_38:
	s_nop 0
	s_sendmsg sendmsg(MSG_DEALLOC_VGPRS)
	s_endpgm
	.section	.rodata,"a",@progbits
	.p2align	6, 0x0
	.amdhsa_kernel _ZN7rocprim17ROCPRIM_400000_NS6detail17trampoline_kernelINS0_14default_configENS1_22reduce_config_selectorIlEEZNS1_11reduce_implILb1ES3_PlS7_lN6hipcub16HIPCUB_304000_NS6detail34convert_binary_result_type_wrapperINS9_3SumENS9_22TransformInputIteratorIb7NonZeroIdEPdlEElEEEE10hipError_tPvRmT1_T2_T3_mT4_P12ihipStream_tbEUlT_E0_NS1_11comp_targetILNS1_3genE9ELNS1_11target_archE1100ELNS1_3gpuE3ELNS1_3repE0EEENS1_30default_config_static_selectorELNS0_4arch9wavefront6targetE0EEEvSM_
		.amdhsa_group_segment_fixed_size 128
		.amdhsa_private_segment_fixed_size 0
		.amdhsa_kernarg_size 64
		.amdhsa_user_sgpr_count 15
		.amdhsa_user_sgpr_dispatch_ptr 0
		.amdhsa_user_sgpr_queue_ptr 0
		.amdhsa_user_sgpr_kernarg_segment_ptr 1
		.amdhsa_user_sgpr_dispatch_id 0
		.amdhsa_user_sgpr_private_segment_size 0
		.amdhsa_wavefront_size32 1
		.amdhsa_uses_dynamic_stack 0
		.amdhsa_enable_private_segment 0
		.amdhsa_system_sgpr_workgroup_id_x 1
		.amdhsa_system_sgpr_workgroup_id_y 0
		.amdhsa_system_sgpr_workgroup_id_z 0
		.amdhsa_system_sgpr_workgroup_info 0
		.amdhsa_system_vgpr_workitem_id 0
		.amdhsa_next_free_vgpr 12
		.amdhsa_next_free_sgpr 20
		.amdhsa_reserve_vcc 1
		.amdhsa_float_round_mode_32 0
		.amdhsa_float_round_mode_16_64 0
		.amdhsa_float_denorm_mode_32 3
		.amdhsa_float_denorm_mode_16_64 3
		.amdhsa_dx10_clamp 1
		.amdhsa_ieee_mode 1
		.amdhsa_fp16_overflow 0
		.amdhsa_workgroup_processor_mode 1
		.amdhsa_memory_ordered 1
		.amdhsa_forward_progress 0
		.amdhsa_shared_vgpr_count 0
		.amdhsa_exception_fp_ieee_invalid_op 0
		.amdhsa_exception_fp_denorm_src 0
		.amdhsa_exception_fp_ieee_div_zero 0
		.amdhsa_exception_fp_ieee_overflow 0
		.amdhsa_exception_fp_ieee_underflow 0
		.amdhsa_exception_fp_ieee_inexact 0
		.amdhsa_exception_int_div_zero 0
	.end_amdhsa_kernel
	.section	.text._ZN7rocprim17ROCPRIM_400000_NS6detail17trampoline_kernelINS0_14default_configENS1_22reduce_config_selectorIlEEZNS1_11reduce_implILb1ES3_PlS7_lN6hipcub16HIPCUB_304000_NS6detail34convert_binary_result_type_wrapperINS9_3SumENS9_22TransformInputIteratorIb7NonZeroIdEPdlEElEEEE10hipError_tPvRmT1_T2_T3_mT4_P12ihipStream_tbEUlT_E0_NS1_11comp_targetILNS1_3genE9ELNS1_11target_archE1100ELNS1_3gpuE3ELNS1_3repE0EEENS1_30default_config_static_selectorELNS0_4arch9wavefront6targetE0EEEvSM_,"axG",@progbits,_ZN7rocprim17ROCPRIM_400000_NS6detail17trampoline_kernelINS0_14default_configENS1_22reduce_config_selectorIlEEZNS1_11reduce_implILb1ES3_PlS7_lN6hipcub16HIPCUB_304000_NS6detail34convert_binary_result_type_wrapperINS9_3SumENS9_22TransformInputIteratorIb7NonZeroIdEPdlEElEEEE10hipError_tPvRmT1_T2_T3_mT4_P12ihipStream_tbEUlT_E0_NS1_11comp_targetILNS1_3genE9ELNS1_11target_archE1100ELNS1_3gpuE3ELNS1_3repE0EEENS1_30default_config_static_selectorELNS0_4arch9wavefront6targetE0EEEvSM_,comdat
.Lfunc_end292:
	.size	_ZN7rocprim17ROCPRIM_400000_NS6detail17trampoline_kernelINS0_14default_configENS1_22reduce_config_selectorIlEEZNS1_11reduce_implILb1ES3_PlS7_lN6hipcub16HIPCUB_304000_NS6detail34convert_binary_result_type_wrapperINS9_3SumENS9_22TransformInputIteratorIb7NonZeroIdEPdlEElEEEE10hipError_tPvRmT1_T2_T3_mT4_P12ihipStream_tbEUlT_E0_NS1_11comp_targetILNS1_3genE9ELNS1_11target_archE1100ELNS1_3gpuE3ELNS1_3repE0EEENS1_30default_config_static_selectorELNS0_4arch9wavefront6targetE0EEEvSM_, .Lfunc_end292-_ZN7rocprim17ROCPRIM_400000_NS6detail17trampoline_kernelINS0_14default_configENS1_22reduce_config_selectorIlEEZNS1_11reduce_implILb1ES3_PlS7_lN6hipcub16HIPCUB_304000_NS6detail34convert_binary_result_type_wrapperINS9_3SumENS9_22TransformInputIteratorIb7NonZeroIdEPdlEElEEEE10hipError_tPvRmT1_T2_T3_mT4_P12ihipStream_tbEUlT_E0_NS1_11comp_targetILNS1_3genE9ELNS1_11target_archE1100ELNS1_3gpuE3ELNS1_3repE0EEENS1_30default_config_static_selectorELNS0_4arch9wavefront6targetE0EEEvSM_
                                        ; -- End function
	.section	.AMDGPU.csdata,"",@progbits
; Kernel info:
; codeLenInByte = 2140
; NumSgprs: 22
; NumVgprs: 12
; ScratchSize: 0
; MemoryBound: 0
; FloatMode: 240
; IeeeMode: 1
; LDSByteSize: 128 bytes/workgroup (compile time only)
; SGPRBlocks: 2
; VGPRBlocks: 1
; NumSGPRsForWavesPerEU: 22
; NumVGPRsForWavesPerEU: 12
; Occupancy: 16
; WaveLimiterHint : 1
; COMPUTE_PGM_RSRC2:SCRATCH_EN: 0
; COMPUTE_PGM_RSRC2:USER_SGPR: 15
; COMPUTE_PGM_RSRC2:TRAP_HANDLER: 0
; COMPUTE_PGM_RSRC2:TGID_X_EN: 1
; COMPUTE_PGM_RSRC2:TGID_Y_EN: 0
; COMPUTE_PGM_RSRC2:TGID_Z_EN: 0
; COMPUTE_PGM_RSRC2:TIDIG_COMP_CNT: 0
	.section	.text._ZN7rocprim17ROCPRIM_400000_NS6detail17trampoline_kernelINS0_14default_configENS1_22reduce_config_selectorIlEEZNS1_11reduce_implILb1ES3_PlS7_lN6hipcub16HIPCUB_304000_NS6detail34convert_binary_result_type_wrapperINS9_3SumENS9_22TransformInputIteratorIb7NonZeroIdEPdlEElEEEE10hipError_tPvRmT1_T2_T3_mT4_P12ihipStream_tbEUlT_E0_NS1_11comp_targetILNS1_3genE8ELNS1_11target_archE1030ELNS1_3gpuE2ELNS1_3repE0EEENS1_30default_config_static_selectorELNS0_4arch9wavefront6targetE0EEEvSM_,"axG",@progbits,_ZN7rocprim17ROCPRIM_400000_NS6detail17trampoline_kernelINS0_14default_configENS1_22reduce_config_selectorIlEEZNS1_11reduce_implILb1ES3_PlS7_lN6hipcub16HIPCUB_304000_NS6detail34convert_binary_result_type_wrapperINS9_3SumENS9_22TransformInputIteratorIb7NonZeroIdEPdlEElEEEE10hipError_tPvRmT1_T2_T3_mT4_P12ihipStream_tbEUlT_E0_NS1_11comp_targetILNS1_3genE8ELNS1_11target_archE1030ELNS1_3gpuE2ELNS1_3repE0EEENS1_30default_config_static_selectorELNS0_4arch9wavefront6targetE0EEEvSM_,comdat
	.protected	_ZN7rocprim17ROCPRIM_400000_NS6detail17trampoline_kernelINS0_14default_configENS1_22reduce_config_selectorIlEEZNS1_11reduce_implILb1ES3_PlS7_lN6hipcub16HIPCUB_304000_NS6detail34convert_binary_result_type_wrapperINS9_3SumENS9_22TransformInputIteratorIb7NonZeroIdEPdlEElEEEE10hipError_tPvRmT1_T2_T3_mT4_P12ihipStream_tbEUlT_E0_NS1_11comp_targetILNS1_3genE8ELNS1_11target_archE1030ELNS1_3gpuE2ELNS1_3repE0EEENS1_30default_config_static_selectorELNS0_4arch9wavefront6targetE0EEEvSM_ ; -- Begin function _ZN7rocprim17ROCPRIM_400000_NS6detail17trampoline_kernelINS0_14default_configENS1_22reduce_config_selectorIlEEZNS1_11reduce_implILb1ES3_PlS7_lN6hipcub16HIPCUB_304000_NS6detail34convert_binary_result_type_wrapperINS9_3SumENS9_22TransformInputIteratorIb7NonZeroIdEPdlEElEEEE10hipError_tPvRmT1_T2_T3_mT4_P12ihipStream_tbEUlT_E0_NS1_11comp_targetILNS1_3genE8ELNS1_11target_archE1030ELNS1_3gpuE2ELNS1_3repE0EEENS1_30default_config_static_selectorELNS0_4arch9wavefront6targetE0EEEvSM_
	.globl	_ZN7rocprim17ROCPRIM_400000_NS6detail17trampoline_kernelINS0_14default_configENS1_22reduce_config_selectorIlEEZNS1_11reduce_implILb1ES3_PlS7_lN6hipcub16HIPCUB_304000_NS6detail34convert_binary_result_type_wrapperINS9_3SumENS9_22TransformInputIteratorIb7NonZeroIdEPdlEElEEEE10hipError_tPvRmT1_T2_T3_mT4_P12ihipStream_tbEUlT_E0_NS1_11comp_targetILNS1_3genE8ELNS1_11target_archE1030ELNS1_3gpuE2ELNS1_3repE0EEENS1_30default_config_static_selectorELNS0_4arch9wavefront6targetE0EEEvSM_
	.p2align	8
	.type	_ZN7rocprim17ROCPRIM_400000_NS6detail17trampoline_kernelINS0_14default_configENS1_22reduce_config_selectorIlEEZNS1_11reduce_implILb1ES3_PlS7_lN6hipcub16HIPCUB_304000_NS6detail34convert_binary_result_type_wrapperINS9_3SumENS9_22TransformInputIteratorIb7NonZeroIdEPdlEElEEEE10hipError_tPvRmT1_T2_T3_mT4_P12ihipStream_tbEUlT_E0_NS1_11comp_targetILNS1_3genE8ELNS1_11target_archE1030ELNS1_3gpuE2ELNS1_3repE0EEENS1_30default_config_static_selectorELNS0_4arch9wavefront6targetE0EEEvSM_,@function
_ZN7rocprim17ROCPRIM_400000_NS6detail17trampoline_kernelINS0_14default_configENS1_22reduce_config_selectorIlEEZNS1_11reduce_implILb1ES3_PlS7_lN6hipcub16HIPCUB_304000_NS6detail34convert_binary_result_type_wrapperINS9_3SumENS9_22TransformInputIteratorIb7NonZeroIdEPdlEElEEEE10hipError_tPvRmT1_T2_T3_mT4_P12ihipStream_tbEUlT_E0_NS1_11comp_targetILNS1_3genE8ELNS1_11target_archE1030ELNS1_3gpuE2ELNS1_3repE0EEENS1_30default_config_static_selectorELNS0_4arch9wavefront6targetE0EEEvSM_: ; @_ZN7rocprim17ROCPRIM_400000_NS6detail17trampoline_kernelINS0_14default_configENS1_22reduce_config_selectorIlEEZNS1_11reduce_implILb1ES3_PlS7_lN6hipcub16HIPCUB_304000_NS6detail34convert_binary_result_type_wrapperINS9_3SumENS9_22TransformInputIteratorIb7NonZeroIdEPdlEElEEEE10hipError_tPvRmT1_T2_T3_mT4_P12ihipStream_tbEUlT_E0_NS1_11comp_targetILNS1_3genE8ELNS1_11target_archE1030ELNS1_3gpuE2ELNS1_3repE0EEENS1_30default_config_static_selectorELNS0_4arch9wavefront6targetE0EEEvSM_
; %bb.0:
	.section	.rodata,"a",@progbits
	.p2align	6, 0x0
	.amdhsa_kernel _ZN7rocprim17ROCPRIM_400000_NS6detail17trampoline_kernelINS0_14default_configENS1_22reduce_config_selectorIlEEZNS1_11reduce_implILb1ES3_PlS7_lN6hipcub16HIPCUB_304000_NS6detail34convert_binary_result_type_wrapperINS9_3SumENS9_22TransformInputIteratorIb7NonZeroIdEPdlEElEEEE10hipError_tPvRmT1_T2_T3_mT4_P12ihipStream_tbEUlT_E0_NS1_11comp_targetILNS1_3genE8ELNS1_11target_archE1030ELNS1_3gpuE2ELNS1_3repE0EEENS1_30default_config_static_selectorELNS0_4arch9wavefront6targetE0EEEvSM_
		.amdhsa_group_segment_fixed_size 0
		.amdhsa_private_segment_fixed_size 0
		.amdhsa_kernarg_size 64
		.amdhsa_user_sgpr_count 15
		.amdhsa_user_sgpr_dispatch_ptr 0
		.amdhsa_user_sgpr_queue_ptr 0
		.amdhsa_user_sgpr_kernarg_segment_ptr 1
		.amdhsa_user_sgpr_dispatch_id 0
		.amdhsa_user_sgpr_private_segment_size 0
		.amdhsa_wavefront_size32 1
		.amdhsa_uses_dynamic_stack 0
		.amdhsa_enable_private_segment 0
		.amdhsa_system_sgpr_workgroup_id_x 1
		.amdhsa_system_sgpr_workgroup_id_y 0
		.amdhsa_system_sgpr_workgroup_id_z 0
		.amdhsa_system_sgpr_workgroup_info 0
		.amdhsa_system_vgpr_workitem_id 0
		.amdhsa_next_free_vgpr 1
		.amdhsa_next_free_sgpr 1
		.amdhsa_reserve_vcc 0
		.amdhsa_float_round_mode_32 0
		.amdhsa_float_round_mode_16_64 0
		.amdhsa_float_denorm_mode_32 3
		.amdhsa_float_denorm_mode_16_64 3
		.amdhsa_dx10_clamp 1
		.amdhsa_ieee_mode 1
		.amdhsa_fp16_overflow 0
		.amdhsa_workgroup_processor_mode 1
		.amdhsa_memory_ordered 1
		.amdhsa_forward_progress 0
		.amdhsa_shared_vgpr_count 0
		.amdhsa_exception_fp_ieee_invalid_op 0
		.amdhsa_exception_fp_denorm_src 0
		.amdhsa_exception_fp_ieee_div_zero 0
		.amdhsa_exception_fp_ieee_overflow 0
		.amdhsa_exception_fp_ieee_underflow 0
		.amdhsa_exception_fp_ieee_inexact 0
		.amdhsa_exception_int_div_zero 0
	.end_amdhsa_kernel
	.section	.text._ZN7rocprim17ROCPRIM_400000_NS6detail17trampoline_kernelINS0_14default_configENS1_22reduce_config_selectorIlEEZNS1_11reduce_implILb1ES3_PlS7_lN6hipcub16HIPCUB_304000_NS6detail34convert_binary_result_type_wrapperINS9_3SumENS9_22TransformInputIteratorIb7NonZeroIdEPdlEElEEEE10hipError_tPvRmT1_T2_T3_mT4_P12ihipStream_tbEUlT_E0_NS1_11comp_targetILNS1_3genE8ELNS1_11target_archE1030ELNS1_3gpuE2ELNS1_3repE0EEENS1_30default_config_static_selectorELNS0_4arch9wavefront6targetE0EEEvSM_,"axG",@progbits,_ZN7rocprim17ROCPRIM_400000_NS6detail17trampoline_kernelINS0_14default_configENS1_22reduce_config_selectorIlEEZNS1_11reduce_implILb1ES3_PlS7_lN6hipcub16HIPCUB_304000_NS6detail34convert_binary_result_type_wrapperINS9_3SumENS9_22TransformInputIteratorIb7NonZeroIdEPdlEElEEEE10hipError_tPvRmT1_T2_T3_mT4_P12ihipStream_tbEUlT_E0_NS1_11comp_targetILNS1_3genE8ELNS1_11target_archE1030ELNS1_3gpuE2ELNS1_3repE0EEENS1_30default_config_static_selectorELNS0_4arch9wavefront6targetE0EEEvSM_,comdat
.Lfunc_end293:
	.size	_ZN7rocprim17ROCPRIM_400000_NS6detail17trampoline_kernelINS0_14default_configENS1_22reduce_config_selectorIlEEZNS1_11reduce_implILb1ES3_PlS7_lN6hipcub16HIPCUB_304000_NS6detail34convert_binary_result_type_wrapperINS9_3SumENS9_22TransformInputIteratorIb7NonZeroIdEPdlEElEEEE10hipError_tPvRmT1_T2_T3_mT4_P12ihipStream_tbEUlT_E0_NS1_11comp_targetILNS1_3genE8ELNS1_11target_archE1030ELNS1_3gpuE2ELNS1_3repE0EEENS1_30default_config_static_selectorELNS0_4arch9wavefront6targetE0EEEvSM_, .Lfunc_end293-_ZN7rocprim17ROCPRIM_400000_NS6detail17trampoline_kernelINS0_14default_configENS1_22reduce_config_selectorIlEEZNS1_11reduce_implILb1ES3_PlS7_lN6hipcub16HIPCUB_304000_NS6detail34convert_binary_result_type_wrapperINS9_3SumENS9_22TransformInputIteratorIb7NonZeroIdEPdlEElEEEE10hipError_tPvRmT1_T2_T3_mT4_P12ihipStream_tbEUlT_E0_NS1_11comp_targetILNS1_3genE8ELNS1_11target_archE1030ELNS1_3gpuE2ELNS1_3repE0EEENS1_30default_config_static_selectorELNS0_4arch9wavefront6targetE0EEEvSM_
                                        ; -- End function
	.section	.AMDGPU.csdata,"",@progbits
; Kernel info:
; codeLenInByte = 0
; NumSgprs: 0
; NumVgprs: 0
; ScratchSize: 0
; MemoryBound: 0
; FloatMode: 240
; IeeeMode: 1
; LDSByteSize: 0 bytes/workgroup (compile time only)
; SGPRBlocks: 0
; VGPRBlocks: 0
; NumSGPRsForWavesPerEU: 1
; NumVGPRsForWavesPerEU: 1
; Occupancy: 16
; WaveLimiterHint : 0
; COMPUTE_PGM_RSRC2:SCRATCH_EN: 0
; COMPUTE_PGM_RSRC2:USER_SGPR: 15
; COMPUTE_PGM_RSRC2:TRAP_HANDLER: 0
; COMPUTE_PGM_RSRC2:TGID_X_EN: 1
; COMPUTE_PGM_RSRC2:TGID_Y_EN: 0
; COMPUTE_PGM_RSRC2:TGID_Z_EN: 0
; COMPUTE_PGM_RSRC2:TIDIG_COMP_CNT: 0
	.section	.text._ZN7rocprim17ROCPRIM_400000_NS6detail17trampoline_kernelINS0_14default_configENS1_22reduce_config_selectorIlEEZNS1_11reduce_implILb1ES3_PlS7_lN6hipcub16HIPCUB_304000_NS6detail34convert_binary_result_type_wrapperINS9_3SumENS9_22TransformInputIteratorIb7NonZeroIdEPdlEElEEEE10hipError_tPvRmT1_T2_T3_mT4_P12ihipStream_tbEUlT_E1_NS1_11comp_targetILNS1_3genE0ELNS1_11target_archE4294967295ELNS1_3gpuE0ELNS1_3repE0EEENS1_30default_config_static_selectorELNS0_4arch9wavefront6targetE0EEEvSM_,"axG",@progbits,_ZN7rocprim17ROCPRIM_400000_NS6detail17trampoline_kernelINS0_14default_configENS1_22reduce_config_selectorIlEEZNS1_11reduce_implILb1ES3_PlS7_lN6hipcub16HIPCUB_304000_NS6detail34convert_binary_result_type_wrapperINS9_3SumENS9_22TransformInputIteratorIb7NonZeroIdEPdlEElEEEE10hipError_tPvRmT1_T2_T3_mT4_P12ihipStream_tbEUlT_E1_NS1_11comp_targetILNS1_3genE0ELNS1_11target_archE4294967295ELNS1_3gpuE0ELNS1_3repE0EEENS1_30default_config_static_selectorELNS0_4arch9wavefront6targetE0EEEvSM_,comdat
	.protected	_ZN7rocprim17ROCPRIM_400000_NS6detail17trampoline_kernelINS0_14default_configENS1_22reduce_config_selectorIlEEZNS1_11reduce_implILb1ES3_PlS7_lN6hipcub16HIPCUB_304000_NS6detail34convert_binary_result_type_wrapperINS9_3SumENS9_22TransformInputIteratorIb7NonZeroIdEPdlEElEEEE10hipError_tPvRmT1_T2_T3_mT4_P12ihipStream_tbEUlT_E1_NS1_11comp_targetILNS1_3genE0ELNS1_11target_archE4294967295ELNS1_3gpuE0ELNS1_3repE0EEENS1_30default_config_static_selectorELNS0_4arch9wavefront6targetE0EEEvSM_ ; -- Begin function _ZN7rocprim17ROCPRIM_400000_NS6detail17trampoline_kernelINS0_14default_configENS1_22reduce_config_selectorIlEEZNS1_11reduce_implILb1ES3_PlS7_lN6hipcub16HIPCUB_304000_NS6detail34convert_binary_result_type_wrapperINS9_3SumENS9_22TransformInputIteratorIb7NonZeroIdEPdlEElEEEE10hipError_tPvRmT1_T2_T3_mT4_P12ihipStream_tbEUlT_E1_NS1_11comp_targetILNS1_3genE0ELNS1_11target_archE4294967295ELNS1_3gpuE0ELNS1_3repE0EEENS1_30default_config_static_selectorELNS0_4arch9wavefront6targetE0EEEvSM_
	.globl	_ZN7rocprim17ROCPRIM_400000_NS6detail17trampoline_kernelINS0_14default_configENS1_22reduce_config_selectorIlEEZNS1_11reduce_implILb1ES3_PlS7_lN6hipcub16HIPCUB_304000_NS6detail34convert_binary_result_type_wrapperINS9_3SumENS9_22TransformInputIteratorIb7NonZeroIdEPdlEElEEEE10hipError_tPvRmT1_T2_T3_mT4_P12ihipStream_tbEUlT_E1_NS1_11comp_targetILNS1_3genE0ELNS1_11target_archE4294967295ELNS1_3gpuE0ELNS1_3repE0EEENS1_30default_config_static_selectorELNS0_4arch9wavefront6targetE0EEEvSM_
	.p2align	8
	.type	_ZN7rocprim17ROCPRIM_400000_NS6detail17trampoline_kernelINS0_14default_configENS1_22reduce_config_selectorIlEEZNS1_11reduce_implILb1ES3_PlS7_lN6hipcub16HIPCUB_304000_NS6detail34convert_binary_result_type_wrapperINS9_3SumENS9_22TransformInputIteratorIb7NonZeroIdEPdlEElEEEE10hipError_tPvRmT1_T2_T3_mT4_P12ihipStream_tbEUlT_E1_NS1_11comp_targetILNS1_3genE0ELNS1_11target_archE4294967295ELNS1_3gpuE0ELNS1_3repE0EEENS1_30default_config_static_selectorELNS0_4arch9wavefront6targetE0EEEvSM_,@function
_ZN7rocprim17ROCPRIM_400000_NS6detail17trampoline_kernelINS0_14default_configENS1_22reduce_config_selectorIlEEZNS1_11reduce_implILb1ES3_PlS7_lN6hipcub16HIPCUB_304000_NS6detail34convert_binary_result_type_wrapperINS9_3SumENS9_22TransformInputIteratorIb7NonZeroIdEPdlEElEEEE10hipError_tPvRmT1_T2_T3_mT4_P12ihipStream_tbEUlT_E1_NS1_11comp_targetILNS1_3genE0ELNS1_11target_archE4294967295ELNS1_3gpuE0ELNS1_3repE0EEENS1_30default_config_static_selectorELNS0_4arch9wavefront6targetE0EEEvSM_: ; @_ZN7rocprim17ROCPRIM_400000_NS6detail17trampoline_kernelINS0_14default_configENS1_22reduce_config_selectorIlEEZNS1_11reduce_implILb1ES3_PlS7_lN6hipcub16HIPCUB_304000_NS6detail34convert_binary_result_type_wrapperINS9_3SumENS9_22TransformInputIteratorIb7NonZeroIdEPdlEElEEEE10hipError_tPvRmT1_T2_T3_mT4_P12ihipStream_tbEUlT_E1_NS1_11comp_targetILNS1_3genE0ELNS1_11target_archE4294967295ELNS1_3gpuE0ELNS1_3repE0EEENS1_30default_config_static_selectorELNS0_4arch9wavefront6targetE0EEEvSM_
; %bb.0:
	.section	.rodata,"a",@progbits
	.p2align	6, 0x0
	.amdhsa_kernel _ZN7rocprim17ROCPRIM_400000_NS6detail17trampoline_kernelINS0_14default_configENS1_22reduce_config_selectorIlEEZNS1_11reduce_implILb1ES3_PlS7_lN6hipcub16HIPCUB_304000_NS6detail34convert_binary_result_type_wrapperINS9_3SumENS9_22TransformInputIteratorIb7NonZeroIdEPdlEElEEEE10hipError_tPvRmT1_T2_T3_mT4_P12ihipStream_tbEUlT_E1_NS1_11comp_targetILNS1_3genE0ELNS1_11target_archE4294967295ELNS1_3gpuE0ELNS1_3repE0EEENS1_30default_config_static_selectorELNS0_4arch9wavefront6targetE0EEEvSM_
		.amdhsa_group_segment_fixed_size 0
		.amdhsa_private_segment_fixed_size 0
		.amdhsa_kernarg_size 48
		.amdhsa_user_sgpr_count 15
		.amdhsa_user_sgpr_dispatch_ptr 0
		.amdhsa_user_sgpr_queue_ptr 0
		.amdhsa_user_sgpr_kernarg_segment_ptr 1
		.amdhsa_user_sgpr_dispatch_id 0
		.amdhsa_user_sgpr_private_segment_size 0
		.amdhsa_wavefront_size32 1
		.amdhsa_uses_dynamic_stack 0
		.amdhsa_enable_private_segment 0
		.amdhsa_system_sgpr_workgroup_id_x 1
		.amdhsa_system_sgpr_workgroup_id_y 0
		.amdhsa_system_sgpr_workgroup_id_z 0
		.amdhsa_system_sgpr_workgroup_info 0
		.amdhsa_system_vgpr_workitem_id 0
		.amdhsa_next_free_vgpr 1
		.amdhsa_next_free_sgpr 1
		.amdhsa_reserve_vcc 0
		.amdhsa_float_round_mode_32 0
		.amdhsa_float_round_mode_16_64 0
		.amdhsa_float_denorm_mode_32 3
		.amdhsa_float_denorm_mode_16_64 3
		.amdhsa_dx10_clamp 1
		.amdhsa_ieee_mode 1
		.amdhsa_fp16_overflow 0
		.amdhsa_workgroup_processor_mode 1
		.amdhsa_memory_ordered 1
		.amdhsa_forward_progress 0
		.amdhsa_shared_vgpr_count 0
		.amdhsa_exception_fp_ieee_invalid_op 0
		.amdhsa_exception_fp_denorm_src 0
		.amdhsa_exception_fp_ieee_div_zero 0
		.amdhsa_exception_fp_ieee_overflow 0
		.amdhsa_exception_fp_ieee_underflow 0
		.amdhsa_exception_fp_ieee_inexact 0
		.amdhsa_exception_int_div_zero 0
	.end_amdhsa_kernel
	.section	.text._ZN7rocprim17ROCPRIM_400000_NS6detail17trampoline_kernelINS0_14default_configENS1_22reduce_config_selectorIlEEZNS1_11reduce_implILb1ES3_PlS7_lN6hipcub16HIPCUB_304000_NS6detail34convert_binary_result_type_wrapperINS9_3SumENS9_22TransformInputIteratorIb7NonZeroIdEPdlEElEEEE10hipError_tPvRmT1_T2_T3_mT4_P12ihipStream_tbEUlT_E1_NS1_11comp_targetILNS1_3genE0ELNS1_11target_archE4294967295ELNS1_3gpuE0ELNS1_3repE0EEENS1_30default_config_static_selectorELNS0_4arch9wavefront6targetE0EEEvSM_,"axG",@progbits,_ZN7rocprim17ROCPRIM_400000_NS6detail17trampoline_kernelINS0_14default_configENS1_22reduce_config_selectorIlEEZNS1_11reduce_implILb1ES3_PlS7_lN6hipcub16HIPCUB_304000_NS6detail34convert_binary_result_type_wrapperINS9_3SumENS9_22TransformInputIteratorIb7NonZeroIdEPdlEElEEEE10hipError_tPvRmT1_T2_T3_mT4_P12ihipStream_tbEUlT_E1_NS1_11comp_targetILNS1_3genE0ELNS1_11target_archE4294967295ELNS1_3gpuE0ELNS1_3repE0EEENS1_30default_config_static_selectorELNS0_4arch9wavefront6targetE0EEEvSM_,comdat
.Lfunc_end294:
	.size	_ZN7rocprim17ROCPRIM_400000_NS6detail17trampoline_kernelINS0_14default_configENS1_22reduce_config_selectorIlEEZNS1_11reduce_implILb1ES3_PlS7_lN6hipcub16HIPCUB_304000_NS6detail34convert_binary_result_type_wrapperINS9_3SumENS9_22TransformInputIteratorIb7NonZeroIdEPdlEElEEEE10hipError_tPvRmT1_T2_T3_mT4_P12ihipStream_tbEUlT_E1_NS1_11comp_targetILNS1_3genE0ELNS1_11target_archE4294967295ELNS1_3gpuE0ELNS1_3repE0EEENS1_30default_config_static_selectorELNS0_4arch9wavefront6targetE0EEEvSM_, .Lfunc_end294-_ZN7rocprim17ROCPRIM_400000_NS6detail17trampoline_kernelINS0_14default_configENS1_22reduce_config_selectorIlEEZNS1_11reduce_implILb1ES3_PlS7_lN6hipcub16HIPCUB_304000_NS6detail34convert_binary_result_type_wrapperINS9_3SumENS9_22TransformInputIteratorIb7NonZeroIdEPdlEElEEEE10hipError_tPvRmT1_T2_T3_mT4_P12ihipStream_tbEUlT_E1_NS1_11comp_targetILNS1_3genE0ELNS1_11target_archE4294967295ELNS1_3gpuE0ELNS1_3repE0EEENS1_30default_config_static_selectorELNS0_4arch9wavefront6targetE0EEEvSM_
                                        ; -- End function
	.section	.AMDGPU.csdata,"",@progbits
; Kernel info:
; codeLenInByte = 0
; NumSgprs: 0
; NumVgprs: 0
; ScratchSize: 0
; MemoryBound: 0
; FloatMode: 240
; IeeeMode: 1
; LDSByteSize: 0 bytes/workgroup (compile time only)
; SGPRBlocks: 0
; VGPRBlocks: 0
; NumSGPRsForWavesPerEU: 1
; NumVGPRsForWavesPerEU: 1
; Occupancy: 16
; WaveLimiterHint : 0
; COMPUTE_PGM_RSRC2:SCRATCH_EN: 0
; COMPUTE_PGM_RSRC2:USER_SGPR: 15
; COMPUTE_PGM_RSRC2:TRAP_HANDLER: 0
; COMPUTE_PGM_RSRC2:TGID_X_EN: 1
; COMPUTE_PGM_RSRC2:TGID_Y_EN: 0
; COMPUTE_PGM_RSRC2:TGID_Z_EN: 0
; COMPUTE_PGM_RSRC2:TIDIG_COMP_CNT: 0
	.section	.text._ZN7rocprim17ROCPRIM_400000_NS6detail17trampoline_kernelINS0_14default_configENS1_22reduce_config_selectorIlEEZNS1_11reduce_implILb1ES3_PlS7_lN6hipcub16HIPCUB_304000_NS6detail34convert_binary_result_type_wrapperINS9_3SumENS9_22TransformInputIteratorIb7NonZeroIdEPdlEElEEEE10hipError_tPvRmT1_T2_T3_mT4_P12ihipStream_tbEUlT_E1_NS1_11comp_targetILNS1_3genE5ELNS1_11target_archE942ELNS1_3gpuE9ELNS1_3repE0EEENS1_30default_config_static_selectorELNS0_4arch9wavefront6targetE0EEEvSM_,"axG",@progbits,_ZN7rocprim17ROCPRIM_400000_NS6detail17trampoline_kernelINS0_14default_configENS1_22reduce_config_selectorIlEEZNS1_11reduce_implILb1ES3_PlS7_lN6hipcub16HIPCUB_304000_NS6detail34convert_binary_result_type_wrapperINS9_3SumENS9_22TransformInputIteratorIb7NonZeroIdEPdlEElEEEE10hipError_tPvRmT1_T2_T3_mT4_P12ihipStream_tbEUlT_E1_NS1_11comp_targetILNS1_3genE5ELNS1_11target_archE942ELNS1_3gpuE9ELNS1_3repE0EEENS1_30default_config_static_selectorELNS0_4arch9wavefront6targetE0EEEvSM_,comdat
	.protected	_ZN7rocprim17ROCPRIM_400000_NS6detail17trampoline_kernelINS0_14default_configENS1_22reduce_config_selectorIlEEZNS1_11reduce_implILb1ES3_PlS7_lN6hipcub16HIPCUB_304000_NS6detail34convert_binary_result_type_wrapperINS9_3SumENS9_22TransformInputIteratorIb7NonZeroIdEPdlEElEEEE10hipError_tPvRmT1_T2_T3_mT4_P12ihipStream_tbEUlT_E1_NS1_11comp_targetILNS1_3genE5ELNS1_11target_archE942ELNS1_3gpuE9ELNS1_3repE0EEENS1_30default_config_static_selectorELNS0_4arch9wavefront6targetE0EEEvSM_ ; -- Begin function _ZN7rocprim17ROCPRIM_400000_NS6detail17trampoline_kernelINS0_14default_configENS1_22reduce_config_selectorIlEEZNS1_11reduce_implILb1ES3_PlS7_lN6hipcub16HIPCUB_304000_NS6detail34convert_binary_result_type_wrapperINS9_3SumENS9_22TransformInputIteratorIb7NonZeroIdEPdlEElEEEE10hipError_tPvRmT1_T2_T3_mT4_P12ihipStream_tbEUlT_E1_NS1_11comp_targetILNS1_3genE5ELNS1_11target_archE942ELNS1_3gpuE9ELNS1_3repE0EEENS1_30default_config_static_selectorELNS0_4arch9wavefront6targetE0EEEvSM_
	.globl	_ZN7rocprim17ROCPRIM_400000_NS6detail17trampoline_kernelINS0_14default_configENS1_22reduce_config_selectorIlEEZNS1_11reduce_implILb1ES3_PlS7_lN6hipcub16HIPCUB_304000_NS6detail34convert_binary_result_type_wrapperINS9_3SumENS9_22TransformInputIteratorIb7NonZeroIdEPdlEElEEEE10hipError_tPvRmT1_T2_T3_mT4_P12ihipStream_tbEUlT_E1_NS1_11comp_targetILNS1_3genE5ELNS1_11target_archE942ELNS1_3gpuE9ELNS1_3repE0EEENS1_30default_config_static_selectorELNS0_4arch9wavefront6targetE0EEEvSM_
	.p2align	8
	.type	_ZN7rocprim17ROCPRIM_400000_NS6detail17trampoline_kernelINS0_14default_configENS1_22reduce_config_selectorIlEEZNS1_11reduce_implILb1ES3_PlS7_lN6hipcub16HIPCUB_304000_NS6detail34convert_binary_result_type_wrapperINS9_3SumENS9_22TransformInputIteratorIb7NonZeroIdEPdlEElEEEE10hipError_tPvRmT1_T2_T3_mT4_P12ihipStream_tbEUlT_E1_NS1_11comp_targetILNS1_3genE5ELNS1_11target_archE942ELNS1_3gpuE9ELNS1_3repE0EEENS1_30default_config_static_selectorELNS0_4arch9wavefront6targetE0EEEvSM_,@function
_ZN7rocprim17ROCPRIM_400000_NS6detail17trampoline_kernelINS0_14default_configENS1_22reduce_config_selectorIlEEZNS1_11reduce_implILb1ES3_PlS7_lN6hipcub16HIPCUB_304000_NS6detail34convert_binary_result_type_wrapperINS9_3SumENS9_22TransformInputIteratorIb7NonZeroIdEPdlEElEEEE10hipError_tPvRmT1_T2_T3_mT4_P12ihipStream_tbEUlT_E1_NS1_11comp_targetILNS1_3genE5ELNS1_11target_archE942ELNS1_3gpuE9ELNS1_3repE0EEENS1_30default_config_static_selectorELNS0_4arch9wavefront6targetE0EEEvSM_: ; @_ZN7rocprim17ROCPRIM_400000_NS6detail17trampoline_kernelINS0_14default_configENS1_22reduce_config_selectorIlEEZNS1_11reduce_implILb1ES3_PlS7_lN6hipcub16HIPCUB_304000_NS6detail34convert_binary_result_type_wrapperINS9_3SumENS9_22TransformInputIteratorIb7NonZeroIdEPdlEElEEEE10hipError_tPvRmT1_T2_T3_mT4_P12ihipStream_tbEUlT_E1_NS1_11comp_targetILNS1_3genE5ELNS1_11target_archE942ELNS1_3gpuE9ELNS1_3repE0EEENS1_30default_config_static_selectorELNS0_4arch9wavefront6targetE0EEEvSM_
; %bb.0:
	.section	.rodata,"a",@progbits
	.p2align	6, 0x0
	.amdhsa_kernel _ZN7rocprim17ROCPRIM_400000_NS6detail17trampoline_kernelINS0_14default_configENS1_22reduce_config_selectorIlEEZNS1_11reduce_implILb1ES3_PlS7_lN6hipcub16HIPCUB_304000_NS6detail34convert_binary_result_type_wrapperINS9_3SumENS9_22TransformInputIteratorIb7NonZeroIdEPdlEElEEEE10hipError_tPvRmT1_T2_T3_mT4_P12ihipStream_tbEUlT_E1_NS1_11comp_targetILNS1_3genE5ELNS1_11target_archE942ELNS1_3gpuE9ELNS1_3repE0EEENS1_30default_config_static_selectorELNS0_4arch9wavefront6targetE0EEEvSM_
		.amdhsa_group_segment_fixed_size 0
		.amdhsa_private_segment_fixed_size 0
		.amdhsa_kernarg_size 48
		.amdhsa_user_sgpr_count 15
		.amdhsa_user_sgpr_dispatch_ptr 0
		.amdhsa_user_sgpr_queue_ptr 0
		.amdhsa_user_sgpr_kernarg_segment_ptr 1
		.amdhsa_user_sgpr_dispatch_id 0
		.amdhsa_user_sgpr_private_segment_size 0
		.amdhsa_wavefront_size32 1
		.amdhsa_uses_dynamic_stack 0
		.amdhsa_enable_private_segment 0
		.amdhsa_system_sgpr_workgroup_id_x 1
		.amdhsa_system_sgpr_workgroup_id_y 0
		.amdhsa_system_sgpr_workgroup_id_z 0
		.amdhsa_system_sgpr_workgroup_info 0
		.amdhsa_system_vgpr_workitem_id 0
		.amdhsa_next_free_vgpr 1
		.amdhsa_next_free_sgpr 1
		.amdhsa_reserve_vcc 0
		.amdhsa_float_round_mode_32 0
		.amdhsa_float_round_mode_16_64 0
		.amdhsa_float_denorm_mode_32 3
		.amdhsa_float_denorm_mode_16_64 3
		.amdhsa_dx10_clamp 1
		.amdhsa_ieee_mode 1
		.amdhsa_fp16_overflow 0
		.amdhsa_workgroup_processor_mode 1
		.amdhsa_memory_ordered 1
		.amdhsa_forward_progress 0
		.amdhsa_shared_vgpr_count 0
		.amdhsa_exception_fp_ieee_invalid_op 0
		.amdhsa_exception_fp_denorm_src 0
		.amdhsa_exception_fp_ieee_div_zero 0
		.amdhsa_exception_fp_ieee_overflow 0
		.amdhsa_exception_fp_ieee_underflow 0
		.amdhsa_exception_fp_ieee_inexact 0
		.amdhsa_exception_int_div_zero 0
	.end_amdhsa_kernel
	.section	.text._ZN7rocprim17ROCPRIM_400000_NS6detail17trampoline_kernelINS0_14default_configENS1_22reduce_config_selectorIlEEZNS1_11reduce_implILb1ES3_PlS7_lN6hipcub16HIPCUB_304000_NS6detail34convert_binary_result_type_wrapperINS9_3SumENS9_22TransformInputIteratorIb7NonZeroIdEPdlEElEEEE10hipError_tPvRmT1_T2_T3_mT4_P12ihipStream_tbEUlT_E1_NS1_11comp_targetILNS1_3genE5ELNS1_11target_archE942ELNS1_3gpuE9ELNS1_3repE0EEENS1_30default_config_static_selectorELNS0_4arch9wavefront6targetE0EEEvSM_,"axG",@progbits,_ZN7rocprim17ROCPRIM_400000_NS6detail17trampoline_kernelINS0_14default_configENS1_22reduce_config_selectorIlEEZNS1_11reduce_implILb1ES3_PlS7_lN6hipcub16HIPCUB_304000_NS6detail34convert_binary_result_type_wrapperINS9_3SumENS9_22TransformInputIteratorIb7NonZeroIdEPdlEElEEEE10hipError_tPvRmT1_T2_T3_mT4_P12ihipStream_tbEUlT_E1_NS1_11comp_targetILNS1_3genE5ELNS1_11target_archE942ELNS1_3gpuE9ELNS1_3repE0EEENS1_30default_config_static_selectorELNS0_4arch9wavefront6targetE0EEEvSM_,comdat
.Lfunc_end295:
	.size	_ZN7rocprim17ROCPRIM_400000_NS6detail17trampoline_kernelINS0_14default_configENS1_22reduce_config_selectorIlEEZNS1_11reduce_implILb1ES3_PlS7_lN6hipcub16HIPCUB_304000_NS6detail34convert_binary_result_type_wrapperINS9_3SumENS9_22TransformInputIteratorIb7NonZeroIdEPdlEElEEEE10hipError_tPvRmT1_T2_T3_mT4_P12ihipStream_tbEUlT_E1_NS1_11comp_targetILNS1_3genE5ELNS1_11target_archE942ELNS1_3gpuE9ELNS1_3repE0EEENS1_30default_config_static_selectorELNS0_4arch9wavefront6targetE0EEEvSM_, .Lfunc_end295-_ZN7rocprim17ROCPRIM_400000_NS6detail17trampoline_kernelINS0_14default_configENS1_22reduce_config_selectorIlEEZNS1_11reduce_implILb1ES3_PlS7_lN6hipcub16HIPCUB_304000_NS6detail34convert_binary_result_type_wrapperINS9_3SumENS9_22TransformInputIteratorIb7NonZeroIdEPdlEElEEEE10hipError_tPvRmT1_T2_T3_mT4_P12ihipStream_tbEUlT_E1_NS1_11comp_targetILNS1_3genE5ELNS1_11target_archE942ELNS1_3gpuE9ELNS1_3repE0EEENS1_30default_config_static_selectorELNS0_4arch9wavefront6targetE0EEEvSM_
                                        ; -- End function
	.section	.AMDGPU.csdata,"",@progbits
; Kernel info:
; codeLenInByte = 0
; NumSgprs: 0
; NumVgprs: 0
; ScratchSize: 0
; MemoryBound: 0
; FloatMode: 240
; IeeeMode: 1
; LDSByteSize: 0 bytes/workgroup (compile time only)
; SGPRBlocks: 0
; VGPRBlocks: 0
; NumSGPRsForWavesPerEU: 1
; NumVGPRsForWavesPerEU: 1
; Occupancy: 16
; WaveLimiterHint : 0
; COMPUTE_PGM_RSRC2:SCRATCH_EN: 0
; COMPUTE_PGM_RSRC2:USER_SGPR: 15
; COMPUTE_PGM_RSRC2:TRAP_HANDLER: 0
; COMPUTE_PGM_RSRC2:TGID_X_EN: 1
; COMPUTE_PGM_RSRC2:TGID_Y_EN: 0
; COMPUTE_PGM_RSRC2:TGID_Z_EN: 0
; COMPUTE_PGM_RSRC2:TIDIG_COMP_CNT: 0
	.section	.text._ZN7rocprim17ROCPRIM_400000_NS6detail17trampoline_kernelINS0_14default_configENS1_22reduce_config_selectorIlEEZNS1_11reduce_implILb1ES3_PlS7_lN6hipcub16HIPCUB_304000_NS6detail34convert_binary_result_type_wrapperINS9_3SumENS9_22TransformInputIteratorIb7NonZeroIdEPdlEElEEEE10hipError_tPvRmT1_T2_T3_mT4_P12ihipStream_tbEUlT_E1_NS1_11comp_targetILNS1_3genE4ELNS1_11target_archE910ELNS1_3gpuE8ELNS1_3repE0EEENS1_30default_config_static_selectorELNS0_4arch9wavefront6targetE0EEEvSM_,"axG",@progbits,_ZN7rocprim17ROCPRIM_400000_NS6detail17trampoline_kernelINS0_14default_configENS1_22reduce_config_selectorIlEEZNS1_11reduce_implILb1ES3_PlS7_lN6hipcub16HIPCUB_304000_NS6detail34convert_binary_result_type_wrapperINS9_3SumENS9_22TransformInputIteratorIb7NonZeroIdEPdlEElEEEE10hipError_tPvRmT1_T2_T3_mT4_P12ihipStream_tbEUlT_E1_NS1_11comp_targetILNS1_3genE4ELNS1_11target_archE910ELNS1_3gpuE8ELNS1_3repE0EEENS1_30default_config_static_selectorELNS0_4arch9wavefront6targetE0EEEvSM_,comdat
	.protected	_ZN7rocprim17ROCPRIM_400000_NS6detail17trampoline_kernelINS0_14default_configENS1_22reduce_config_selectorIlEEZNS1_11reduce_implILb1ES3_PlS7_lN6hipcub16HIPCUB_304000_NS6detail34convert_binary_result_type_wrapperINS9_3SumENS9_22TransformInputIteratorIb7NonZeroIdEPdlEElEEEE10hipError_tPvRmT1_T2_T3_mT4_P12ihipStream_tbEUlT_E1_NS1_11comp_targetILNS1_3genE4ELNS1_11target_archE910ELNS1_3gpuE8ELNS1_3repE0EEENS1_30default_config_static_selectorELNS0_4arch9wavefront6targetE0EEEvSM_ ; -- Begin function _ZN7rocprim17ROCPRIM_400000_NS6detail17trampoline_kernelINS0_14default_configENS1_22reduce_config_selectorIlEEZNS1_11reduce_implILb1ES3_PlS7_lN6hipcub16HIPCUB_304000_NS6detail34convert_binary_result_type_wrapperINS9_3SumENS9_22TransformInputIteratorIb7NonZeroIdEPdlEElEEEE10hipError_tPvRmT1_T2_T3_mT4_P12ihipStream_tbEUlT_E1_NS1_11comp_targetILNS1_3genE4ELNS1_11target_archE910ELNS1_3gpuE8ELNS1_3repE0EEENS1_30default_config_static_selectorELNS0_4arch9wavefront6targetE0EEEvSM_
	.globl	_ZN7rocprim17ROCPRIM_400000_NS6detail17trampoline_kernelINS0_14default_configENS1_22reduce_config_selectorIlEEZNS1_11reduce_implILb1ES3_PlS7_lN6hipcub16HIPCUB_304000_NS6detail34convert_binary_result_type_wrapperINS9_3SumENS9_22TransformInputIteratorIb7NonZeroIdEPdlEElEEEE10hipError_tPvRmT1_T2_T3_mT4_P12ihipStream_tbEUlT_E1_NS1_11comp_targetILNS1_3genE4ELNS1_11target_archE910ELNS1_3gpuE8ELNS1_3repE0EEENS1_30default_config_static_selectorELNS0_4arch9wavefront6targetE0EEEvSM_
	.p2align	8
	.type	_ZN7rocprim17ROCPRIM_400000_NS6detail17trampoline_kernelINS0_14default_configENS1_22reduce_config_selectorIlEEZNS1_11reduce_implILb1ES3_PlS7_lN6hipcub16HIPCUB_304000_NS6detail34convert_binary_result_type_wrapperINS9_3SumENS9_22TransformInputIteratorIb7NonZeroIdEPdlEElEEEE10hipError_tPvRmT1_T2_T3_mT4_P12ihipStream_tbEUlT_E1_NS1_11comp_targetILNS1_3genE4ELNS1_11target_archE910ELNS1_3gpuE8ELNS1_3repE0EEENS1_30default_config_static_selectorELNS0_4arch9wavefront6targetE0EEEvSM_,@function
_ZN7rocprim17ROCPRIM_400000_NS6detail17trampoline_kernelINS0_14default_configENS1_22reduce_config_selectorIlEEZNS1_11reduce_implILb1ES3_PlS7_lN6hipcub16HIPCUB_304000_NS6detail34convert_binary_result_type_wrapperINS9_3SumENS9_22TransformInputIteratorIb7NonZeroIdEPdlEElEEEE10hipError_tPvRmT1_T2_T3_mT4_P12ihipStream_tbEUlT_E1_NS1_11comp_targetILNS1_3genE4ELNS1_11target_archE910ELNS1_3gpuE8ELNS1_3repE0EEENS1_30default_config_static_selectorELNS0_4arch9wavefront6targetE0EEEvSM_: ; @_ZN7rocprim17ROCPRIM_400000_NS6detail17trampoline_kernelINS0_14default_configENS1_22reduce_config_selectorIlEEZNS1_11reduce_implILb1ES3_PlS7_lN6hipcub16HIPCUB_304000_NS6detail34convert_binary_result_type_wrapperINS9_3SumENS9_22TransformInputIteratorIb7NonZeroIdEPdlEElEEEE10hipError_tPvRmT1_T2_T3_mT4_P12ihipStream_tbEUlT_E1_NS1_11comp_targetILNS1_3genE4ELNS1_11target_archE910ELNS1_3gpuE8ELNS1_3repE0EEENS1_30default_config_static_selectorELNS0_4arch9wavefront6targetE0EEEvSM_
; %bb.0:
	.section	.rodata,"a",@progbits
	.p2align	6, 0x0
	.amdhsa_kernel _ZN7rocprim17ROCPRIM_400000_NS6detail17trampoline_kernelINS0_14default_configENS1_22reduce_config_selectorIlEEZNS1_11reduce_implILb1ES3_PlS7_lN6hipcub16HIPCUB_304000_NS6detail34convert_binary_result_type_wrapperINS9_3SumENS9_22TransformInputIteratorIb7NonZeroIdEPdlEElEEEE10hipError_tPvRmT1_T2_T3_mT4_P12ihipStream_tbEUlT_E1_NS1_11comp_targetILNS1_3genE4ELNS1_11target_archE910ELNS1_3gpuE8ELNS1_3repE0EEENS1_30default_config_static_selectorELNS0_4arch9wavefront6targetE0EEEvSM_
		.amdhsa_group_segment_fixed_size 0
		.amdhsa_private_segment_fixed_size 0
		.amdhsa_kernarg_size 48
		.amdhsa_user_sgpr_count 15
		.amdhsa_user_sgpr_dispatch_ptr 0
		.amdhsa_user_sgpr_queue_ptr 0
		.amdhsa_user_sgpr_kernarg_segment_ptr 1
		.amdhsa_user_sgpr_dispatch_id 0
		.amdhsa_user_sgpr_private_segment_size 0
		.amdhsa_wavefront_size32 1
		.amdhsa_uses_dynamic_stack 0
		.amdhsa_enable_private_segment 0
		.amdhsa_system_sgpr_workgroup_id_x 1
		.amdhsa_system_sgpr_workgroup_id_y 0
		.amdhsa_system_sgpr_workgroup_id_z 0
		.amdhsa_system_sgpr_workgroup_info 0
		.amdhsa_system_vgpr_workitem_id 0
		.amdhsa_next_free_vgpr 1
		.amdhsa_next_free_sgpr 1
		.amdhsa_reserve_vcc 0
		.amdhsa_float_round_mode_32 0
		.amdhsa_float_round_mode_16_64 0
		.amdhsa_float_denorm_mode_32 3
		.amdhsa_float_denorm_mode_16_64 3
		.amdhsa_dx10_clamp 1
		.amdhsa_ieee_mode 1
		.amdhsa_fp16_overflow 0
		.amdhsa_workgroup_processor_mode 1
		.amdhsa_memory_ordered 1
		.amdhsa_forward_progress 0
		.amdhsa_shared_vgpr_count 0
		.amdhsa_exception_fp_ieee_invalid_op 0
		.amdhsa_exception_fp_denorm_src 0
		.amdhsa_exception_fp_ieee_div_zero 0
		.amdhsa_exception_fp_ieee_overflow 0
		.amdhsa_exception_fp_ieee_underflow 0
		.amdhsa_exception_fp_ieee_inexact 0
		.amdhsa_exception_int_div_zero 0
	.end_amdhsa_kernel
	.section	.text._ZN7rocprim17ROCPRIM_400000_NS6detail17trampoline_kernelINS0_14default_configENS1_22reduce_config_selectorIlEEZNS1_11reduce_implILb1ES3_PlS7_lN6hipcub16HIPCUB_304000_NS6detail34convert_binary_result_type_wrapperINS9_3SumENS9_22TransformInputIteratorIb7NonZeroIdEPdlEElEEEE10hipError_tPvRmT1_T2_T3_mT4_P12ihipStream_tbEUlT_E1_NS1_11comp_targetILNS1_3genE4ELNS1_11target_archE910ELNS1_3gpuE8ELNS1_3repE0EEENS1_30default_config_static_selectorELNS0_4arch9wavefront6targetE0EEEvSM_,"axG",@progbits,_ZN7rocprim17ROCPRIM_400000_NS6detail17trampoline_kernelINS0_14default_configENS1_22reduce_config_selectorIlEEZNS1_11reduce_implILb1ES3_PlS7_lN6hipcub16HIPCUB_304000_NS6detail34convert_binary_result_type_wrapperINS9_3SumENS9_22TransformInputIteratorIb7NonZeroIdEPdlEElEEEE10hipError_tPvRmT1_T2_T3_mT4_P12ihipStream_tbEUlT_E1_NS1_11comp_targetILNS1_3genE4ELNS1_11target_archE910ELNS1_3gpuE8ELNS1_3repE0EEENS1_30default_config_static_selectorELNS0_4arch9wavefront6targetE0EEEvSM_,comdat
.Lfunc_end296:
	.size	_ZN7rocprim17ROCPRIM_400000_NS6detail17trampoline_kernelINS0_14default_configENS1_22reduce_config_selectorIlEEZNS1_11reduce_implILb1ES3_PlS7_lN6hipcub16HIPCUB_304000_NS6detail34convert_binary_result_type_wrapperINS9_3SumENS9_22TransformInputIteratorIb7NonZeroIdEPdlEElEEEE10hipError_tPvRmT1_T2_T3_mT4_P12ihipStream_tbEUlT_E1_NS1_11comp_targetILNS1_3genE4ELNS1_11target_archE910ELNS1_3gpuE8ELNS1_3repE0EEENS1_30default_config_static_selectorELNS0_4arch9wavefront6targetE0EEEvSM_, .Lfunc_end296-_ZN7rocprim17ROCPRIM_400000_NS6detail17trampoline_kernelINS0_14default_configENS1_22reduce_config_selectorIlEEZNS1_11reduce_implILb1ES3_PlS7_lN6hipcub16HIPCUB_304000_NS6detail34convert_binary_result_type_wrapperINS9_3SumENS9_22TransformInputIteratorIb7NonZeroIdEPdlEElEEEE10hipError_tPvRmT1_T2_T3_mT4_P12ihipStream_tbEUlT_E1_NS1_11comp_targetILNS1_3genE4ELNS1_11target_archE910ELNS1_3gpuE8ELNS1_3repE0EEENS1_30default_config_static_selectorELNS0_4arch9wavefront6targetE0EEEvSM_
                                        ; -- End function
	.section	.AMDGPU.csdata,"",@progbits
; Kernel info:
; codeLenInByte = 0
; NumSgprs: 0
; NumVgprs: 0
; ScratchSize: 0
; MemoryBound: 0
; FloatMode: 240
; IeeeMode: 1
; LDSByteSize: 0 bytes/workgroup (compile time only)
; SGPRBlocks: 0
; VGPRBlocks: 0
; NumSGPRsForWavesPerEU: 1
; NumVGPRsForWavesPerEU: 1
; Occupancy: 16
; WaveLimiterHint : 0
; COMPUTE_PGM_RSRC2:SCRATCH_EN: 0
; COMPUTE_PGM_RSRC2:USER_SGPR: 15
; COMPUTE_PGM_RSRC2:TRAP_HANDLER: 0
; COMPUTE_PGM_RSRC2:TGID_X_EN: 1
; COMPUTE_PGM_RSRC2:TGID_Y_EN: 0
; COMPUTE_PGM_RSRC2:TGID_Z_EN: 0
; COMPUTE_PGM_RSRC2:TIDIG_COMP_CNT: 0
	.section	.text._ZN7rocprim17ROCPRIM_400000_NS6detail17trampoline_kernelINS0_14default_configENS1_22reduce_config_selectorIlEEZNS1_11reduce_implILb1ES3_PlS7_lN6hipcub16HIPCUB_304000_NS6detail34convert_binary_result_type_wrapperINS9_3SumENS9_22TransformInputIteratorIb7NonZeroIdEPdlEElEEEE10hipError_tPvRmT1_T2_T3_mT4_P12ihipStream_tbEUlT_E1_NS1_11comp_targetILNS1_3genE3ELNS1_11target_archE908ELNS1_3gpuE7ELNS1_3repE0EEENS1_30default_config_static_selectorELNS0_4arch9wavefront6targetE0EEEvSM_,"axG",@progbits,_ZN7rocprim17ROCPRIM_400000_NS6detail17trampoline_kernelINS0_14default_configENS1_22reduce_config_selectorIlEEZNS1_11reduce_implILb1ES3_PlS7_lN6hipcub16HIPCUB_304000_NS6detail34convert_binary_result_type_wrapperINS9_3SumENS9_22TransformInputIteratorIb7NonZeroIdEPdlEElEEEE10hipError_tPvRmT1_T2_T3_mT4_P12ihipStream_tbEUlT_E1_NS1_11comp_targetILNS1_3genE3ELNS1_11target_archE908ELNS1_3gpuE7ELNS1_3repE0EEENS1_30default_config_static_selectorELNS0_4arch9wavefront6targetE0EEEvSM_,comdat
	.protected	_ZN7rocprim17ROCPRIM_400000_NS6detail17trampoline_kernelINS0_14default_configENS1_22reduce_config_selectorIlEEZNS1_11reduce_implILb1ES3_PlS7_lN6hipcub16HIPCUB_304000_NS6detail34convert_binary_result_type_wrapperINS9_3SumENS9_22TransformInputIteratorIb7NonZeroIdEPdlEElEEEE10hipError_tPvRmT1_T2_T3_mT4_P12ihipStream_tbEUlT_E1_NS1_11comp_targetILNS1_3genE3ELNS1_11target_archE908ELNS1_3gpuE7ELNS1_3repE0EEENS1_30default_config_static_selectorELNS0_4arch9wavefront6targetE0EEEvSM_ ; -- Begin function _ZN7rocprim17ROCPRIM_400000_NS6detail17trampoline_kernelINS0_14default_configENS1_22reduce_config_selectorIlEEZNS1_11reduce_implILb1ES3_PlS7_lN6hipcub16HIPCUB_304000_NS6detail34convert_binary_result_type_wrapperINS9_3SumENS9_22TransformInputIteratorIb7NonZeroIdEPdlEElEEEE10hipError_tPvRmT1_T2_T3_mT4_P12ihipStream_tbEUlT_E1_NS1_11comp_targetILNS1_3genE3ELNS1_11target_archE908ELNS1_3gpuE7ELNS1_3repE0EEENS1_30default_config_static_selectorELNS0_4arch9wavefront6targetE0EEEvSM_
	.globl	_ZN7rocprim17ROCPRIM_400000_NS6detail17trampoline_kernelINS0_14default_configENS1_22reduce_config_selectorIlEEZNS1_11reduce_implILb1ES3_PlS7_lN6hipcub16HIPCUB_304000_NS6detail34convert_binary_result_type_wrapperINS9_3SumENS9_22TransformInputIteratorIb7NonZeroIdEPdlEElEEEE10hipError_tPvRmT1_T2_T3_mT4_P12ihipStream_tbEUlT_E1_NS1_11comp_targetILNS1_3genE3ELNS1_11target_archE908ELNS1_3gpuE7ELNS1_3repE0EEENS1_30default_config_static_selectorELNS0_4arch9wavefront6targetE0EEEvSM_
	.p2align	8
	.type	_ZN7rocprim17ROCPRIM_400000_NS6detail17trampoline_kernelINS0_14default_configENS1_22reduce_config_selectorIlEEZNS1_11reduce_implILb1ES3_PlS7_lN6hipcub16HIPCUB_304000_NS6detail34convert_binary_result_type_wrapperINS9_3SumENS9_22TransformInputIteratorIb7NonZeroIdEPdlEElEEEE10hipError_tPvRmT1_T2_T3_mT4_P12ihipStream_tbEUlT_E1_NS1_11comp_targetILNS1_3genE3ELNS1_11target_archE908ELNS1_3gpuE7ELNS1_3repE0EEENS1_30default_config_static_selectorELNS0_4arch9wavefront6targetE0EEEvSM_,@function
_ZN7rocprim17ROCPRIM_400000_NS6detail17trampoline_kernelINS0_14default_configENS1_22reduce_config_selectorIlEEZNS1_11reduce_implILb1ES3_PlS7_lN6hipcub16HIPCUB_304000_NS6detail34convert_binary_result_type_wrapperINS9_3SumENS9_22TransformInputIteratorIb7NonZeroIdEPdlEElEEEE10hipError_tPvRmT1_T2_T3_mT4_P12ihipStream_tbEUlT_E1_NS1_11comp_targetILNS1_3genE3ELNS1_11target_archE908ELNS1_3gpuE7ELNS1_3repE0EEENS1_30default_config_static_selectorELNS0_4arch9wavefront6targetE0EEEvSM_: ; @_ZN7rocprim17ROCPRIM_400000_NS6detail17trampoline_kernelINS0_14default_configENS1_22reduce_config_selectorIlEEZNS1_11reduce_implILb1ES3_PlS7_lN6hipcub16HIPCUB_304000_NS6detail34convert_binary_result_type_wrapperINS9_3SumENS9_22TransformInputIteratorIb7NonZeroIdEPdlEElEEEE10hipError_tPvRmT1_T2_T3_mT4_P12ihipStream_tbEUlT_E1_NS1_11comp_targetILNS1_3genE3ELNS1_11target_archE908ELNS1_3gpuE7ELNS1_3repE0EEENS1_30default_config_static_selectorELNS0_4arch9wavefront6targetE0EEEvSM_
; %bb.0:
	.section	.rodata,"a",@progbits
	.p2align	6, 0x0
	.amdhsa_kernel _ZN7rocprim17ROCPRIM_400000_NS6detail17trampoline_kernelINS0_14default_configENS1_22reduce_config_selectorIlEEZNS1_11reduce_implILb1ES3_PlS7_lN6hipcub16HIPCUB_304000_NS6detail34convert_binary_result_type_wrapperINS9_3SumENS9_22TransformInputIteratorIb7NonZeroIdEPdlEElEEEE10hipError_tPvRmT1_T2_T3_mT4_P12ihipStream_tbEUlT_E1_NS1_11comp_targetILNS1_3genE3ELNS1_11target_archE908ELNS1_3gpuE7ELNS1_3repE0EEENS1_30default_config_static_selectorELNS0_4arch9wavefront6targetE0EEEvSM_
		.amdhsa_group_segment_fixed_size 0
		.amdhsa_private_segment_fixed_size 0
		.amdhsa_kernarg_size 48
		.amdhsa_user_sgpr_count 15
		.amdhsa_user_sgpr_dispatch_ptr 0
		.amdhsa_user_sgpr_queue_ptr 0
		.amdhsa_user_sgpr_kernarg_segment_ptr 1
		.amdhsa_user_sgpr_dispatch_id 0
		.amdhsa_user_sgpr_private_segment_size 0
		.amdhsa_wavefront_size32 1
		.amdhsa_uses_dynamic_stack 0
		.amdhsa_enable_private_segment 0
		.amdhsa_system_sgpr_workgroup_id_x 1
		.amdhsa_system_sgpr_workgroup_id_y 0
		.amdhsa_system_sgpr_workgroup_id_z 0
		.amdhsa_system_sgpr_workgroup_info 0
		.amdhsa_system_vgpr_workitem_id 0
		.amdhsa_next_free_vgpr 1
		.amdhsa_next_free_sgpr 1
		.amdhsa_reserve_vcc 0
		.amdhsa_float_round_mode_32 0
		.amdhsa_float_round_mode_16_64 0
		.amdhsa_float_denorm_mode_32 3
		.amdhsa_float_denorm_mode_16_64 3
		.amdhsa_dx10_clamp 1
		.amdhsa_ieee_mode 1
		.amdhsa_fp16_overflow 0
		.amdhsa_workgroup_processor_mode 1
		.amdhsa_memory_ordered 1
		.amdhsa_forward_progress 0
		.amdhsa_shared_vgpr_count 0
		.amdhsa_exception_fp_ieee_invalid_op 0
		.amdhsa_exception_fp_denorm_src 0
		.amdhsa_exception_fp_ieee_div_zero 0
		.amdhsa_exception_fp_ieee_overflow 0
		.amdhsa_exception_fp_ieee_underflow 0
		.amdhsa_exception_fp_ieee_inexact 0
		.amdhsa_exception_int_div_zero 0
	.end_amdhsa_kernel
	.section	.text._ZN7rocprim17ROCPRIM_400000_NS6detail17trampoline_kernelINS0_14default_configENS1_22reduce_config_selectorIlEEZNS1_11reduce_implILb1ES3_PlS7_lN6hipcub16HIPCUB_304000_NS6detail34convert_binary_result_type_wrapperINS9_3SumENS9_22TransformInputIteratorIb7NonZeroIdEPdlEElEEEE10hipError_tPvRmT1_T2_T3_mT4_P12ihipStream_tbEUlT_E1_NS1_11comp_targetILNS1_3genE3ELNS1_11target_archE908ELNS1_3gpuE7ELNS1_3repE0EEENS1_30default_config_static_selectorELNS0_4arch9wavefront6targetE0EEEvSM_,"axG",@progbits,_ZN7rocprim17ROCPRIM_400000_NS6detail17trampoline_kernelINS0_14default_configENS1_22reduce_config_selectorIlEEZNS1_11reduce_implILb1ES3_PlS7_lN6hipcub16HIPCUB_304000_NS6detail34convert_binary_result_type_wrapperINS9_3SumENS9_22TransformInputIteratorIb7NonZeroIdEPdlEElEEEE10hipError_tPvRmT1_T2_T3_mT4_P12ihipStream_tbEUlT_E1_NS1_11comp_targetILNS1_3genE3ELNS1_11target_archE908ELNS1_3gpuE7ELNS1_3repE0EEENS1_30default_config_static_selectorELNS0_4arch9wavefront6targetE0EEEvSM_,comdat
.Lfunc_end297:
	.size	_ZN7rocprim17ROCPRIM_400000_NS6detail17trampoline_kernelINS0_14default_configENS1_22reduce_config_selectorIlEEZNS1_11reduce_implILb1ES3_PlS7_lN6hipcub16HIPCUB_304000_NS6detail34convert_binary_result_type_wrapperINS9_3SumENS9_22TransformInputIteratorIb7NonZeroIdEPdlEElEEEE10hipError_tPvRmT1_T2_T3_mT4_P12ihipStream_tbEUlT_E1_NS1_11comp_targetILNS1_3genE3ELNS1_11target_archE908ELNS1_3gpuE7ELNS1_3repE0EEENS1_30default_config_static_selectorELNS0_4arch9wavefront6targetE0EEEvSM_, .Lfunc_end297-_ZN7rocprim17ROCPRIM_400000_NS6detail17trampoline_kernelINS0_14default_configENS1_22reduce_config_selectorIlEEZNS1_11reduce_implILb1ES3_PlS7_lN6hipcub16HIPCUB_304000_NS6detail34convert_binary_result_type_wrapperINS9_3SumENS9_22TransformInputIteratorIb7NonZeroIdEPdlEElEEEE10hipError_tPvRmT1_T2_T3_mT4_P12ihipStream_tbEUlT_E1_NS1_11comp_targetILNS1_3genE3ELNS1_11target_archE908ELNS1_3gpuE7ELNS1_3repE0EEENS1_30default_config_static_selectorELNS0_4arch9wavefront6targetE0EEEvSM_
                                        ; -- End function
	.section	.AMDGPU.csdata,"",@progbits
; Kernel info:
; codeLenInByte = 0
; NumSgprs: 0
; NumVgprs: 0
; ScratchSize: 0
; MemoryBound: 0
; FloatMode: 240
; IeeeMode: 1
; LDSByteSize: 0 bytes/workgroup (compile time only)
; SGPRBlocks: 0
; VGPRBlocks: 0
; NumSGPRsForWavesPerEU: 1
; NumVGPRsForWavesPerEU: 1
; Occupancy: 16
; WaveLimiterHint : 0
; COMPUTE_PGM_RSRC2:SCRATCH_EN: 0
; COMPUTE_PGM_RSRC2:USER_SGPR: 15
; COMPUTE_PGM_RSRC2:TRAP_HANDLER: 0
; COMPUTE_PGM_RSRC2:TGID_X_EN: 1
; COMPUTE_PGM_RSRC2:TGID_Y_EN: 0
; COMPUTE_PGM_RSRC2:TGID_Z_EN: 0
; COMPUTE_PGM_RSRC2:TIDIG_COMP_CNT: 0
	.section	.text._ZN7rocprim17ROCPRIM_400000_NS6detail17trampoline_kernelINS0_14default_configENS1_22reduce_config_selectorIlEEZNS1_11reduce_implILb1ES3_PlS7_lN6hipcub16HIPCUB_304000_NS6detail34convert_binary_result_type_wrapperINS9_3SumENS9_22TransformInputIteratorIb7NonZeroIdEPdlEElEEEE10hipError_tPvRmT1_T2_T3_mT4_P12ihipStream_tbEUlT_E1_NS1_11comp_targetILNS1_3genE2ELNS1_11target_archE906ELNS1_3gpuE6ELNS1_3repE0EEENS1_30default_config_static_selectorELNS0_4arch9wavefront6targetE0EEEvSM_,"axG",@progbits,_ZN7rocprim17ROCPRIM_400000_NS6detail17trampoline_kernelINS0_14default_configENS1_22reduce_config_selectorIlEEZNS1_11reduce_implILb1ES3_PlS7_lN6hipcub16HIPCUB_304000_NS6detail34convert_binary_result_type_wrapperINS9_3SumENS9_22TransformInputIteratorIb7NonZeroIdEPdlEElEEEE10hipError_tPvRmT1_T2_T3_mT4_P12ihipStream_tbEUlT_E1_NS1_11comp_targetILNS1_3genE2ELNS1_11target_archE906ELNS1_3gpuE6ELNS1_3repE0EEENS1_30default_config_static_selectorELNS0_4arch9wavefront6targetE0EEEvSM_,comdat
	.protected	_ZN7rocprim17ROCPRIM_400000_NS6detail17trampoline_kernelINS0_14default_configENS1_22reduce_config_selectorIlEEZNS1_11reduce_implILb1ES3_PlS7_lN6hipcub16HIPCUB_304000_NS6detail34convert_binary_result_type_wrapperINS9_3SumENS9_22TransformInputIteratorIb7NonZeroIdEPdlEElEEEE10hipError_tPvRmT1_T2_T3_mT4_P12ihipStream_tbEUlT_E1_NS1_11comp_targetILNS1_3genE2ELNS1_11target_archE906ELNS1_3gpuE6ELNS1_3repE0EEENS1_30default_config_static_selectorELNS0_4arch9wavefront6targetE0EEEvSM_ ; -- Begin function _ZN7rocprim17ROCPRIM_400000_NS6detail17trampoline_kernelINS0_14default_configENS1_22reduce_config_selectorIlEEZNS1_11reduce_implILb1ES3_PlS7_lN6hipcub16HIPCUB_304000_NS6detail34convert_binary_result_type_wrapperINS9_3SumENS9_22TransformInputIteratorIb7NonZeroIdEPdlEElEEEE10hipError_tPvRmT1_T2_T3_mT4_P12ihipStream_tbEUlT_E1_NS1_11comp_targetILNS1_3genE2ELNS1_11target_archE906ELNS1_3gpuE6ELNS1_3repE0EEENS1_30default_config_static_selectorELNS0_4arch9wavefront6targetE0EEEvSM_
	.globl	_ZN7rocprim17ROCPRIM_400000_NS6detail17trampoline_kernelINS0_14default_configENS1_22reduce_config_selectorIlEEZNS1_11reduce_implILb1ES3_PlS7_lN6hipcub16HIPCUB_304000_NS6detail34convert_binary_result_type_wrapperINS9_3SumENS9_22TransformInputIteratorIb7NonZeroIdEPdlEElEEEE10hipError_tPvRmT1_T2_T3_mT4_P12ihipStream_tbEUlT_E1_NS1_11comp_targetILNS1_3genE2ELNS1_11target_archE906ELNS1_3gpuE6ELNS1_3repE0EEENS1_30default_config_static_selectorELNS0_4arch9wavefront6targetE0EEEvSM_
	.p2align	8
	.type	_ZN7rocprim17ROCPRIM_400000_NS6detail17trampoline_kernelINS0_14default_configENS1_22reduce_config_selectorIlEEZNS1_11reduce_implILb1ES3_PlS7_lN6hipcub16HIPCUB_304000_NS6detail34convert_binary_result_type_wrapperINS9_3SumENS9_22TransformInputIteratorIb7NonZeroIdEPdlEElEEEE10hipError_tPvRmT1_T2_T3_mT4_P12ihipStream_tbEUlT_E1_NS1_11comp_targetILNS1_3genE2ELNS1_11target_archE906ELNS1_3gpuE6ELNS1_3repE0EEENS1_30default_config_static_selectorELNS0_4arch9wavefront6targetE0EEEvSM_,@function
_ZN7rocprim17ROCPRIM_400000_NS6detail17trampoline_kernelINS0_14default_configENS1_22reduce_config_selectorIlEEZNS1_11reduce_implILb1ES3_PlS7_lN6hipcub16HIPCUB_304000_NS6detail34convert_binary_result_type_wrapperINS9_3SumENS9_22TransformInputIteratorIb7NonZeroIdEPdlEElEEEE10hipError_tPvRmT1_T2_T3_mT4_P12ihipStream_tbEUlT_E1_NS1_11comp_targetILNS1_3genE2ELNS1_11target_archE906ELNS1_3gpuE6ELNS1_3repE0EEENS1_30default_config_static_selectorELNS0_4arch9wavefront6targetE0EEEvSM_: ; @_ZN7rocprim17ROCPRIM_400000_NS6detail17trampoline_kernelINS0_14default_configENS1_22reduce_config_selectorIlEEZNS1_11reduce_implILb1ES3_PlS7_lN6hipcub16HIPCUB_304000_NS6detail34convert_binary_result_type_wrapperINS9_3SumENS9_22TransformInputIteratorIb7NonZeroIdEPdlEElEEEE10hipError_tPvRmT1_T2_T3_mT4_P12ihipStream_tbEUlT_E1_NS1_11comp_targetILNS1_3genE2ELNS1_11target_archE906ELNS1_3gpuE6ELNS1_3repE0EEENS1_30default_config_static_selectorELNS0_4arch9wavefront6targetE0EEEvSM_
; %bb.0:
	.section	.rodata,"a",@progbits
	.p2align	6, 0x0
	.amdhsa_kernel _ZN7rocprim17ROCPRIM_400000_NS6detail17trampoline_kernelINS0_14default_configENS1_22reduce_config_selectorIlEEZNS1_11reduce_implILb1ES3_PlS7_lN6hipcub16HIPCUB_304000_NS6detail34convert_binary_result_type_wrapperINS9_3SumENS9_22TransformInputIteratorIb7NonZeroIdEPdlEElEEEE10hipError_tPvRmT1_T2_T3_mT4_P12ihipStream_tbEUlT_E1_NS1_11comp_targetILNS1_3genE2ELNS1_11target_archE906ELNS1_3gpuE6ELNS1_3repE0EEENS1_30default_config_static_selectorELNS0_4arch9wavefront6targetE0EEEvSM_
		.amdhsa_group_segment_fixed_size 0
		.amdhsa_private_segment_fixed_size 0
		.amdhsa_kernarg_size 48
		.amdhsa_user_sgpr_count 15
		.amdhsa_user_sgpr_dispatch_ptr 0
		.amdhsa_user_sgpr_queue_ptr 0
		.amdhsa_user_sgpr_kernarg_segment_ptr 1
		.amdhsa_user_sgpr_dispatch_id 0
		.amdhsa_user_sgpr_private_segment_size 0
		.amdhsa_wavefront_size32 1
		.amdhsa_uses_dynamic_stack 0
		.amdhsa_enable_private_segment 0
		.amdhsa_system_sgpr_workgroup_id_x 1
		.amdhsa_system_sgpr_workgroup_id_y 0
		.amdhsa_system_sgpr_workgroup_id_z 0
		.amdhsa_system_sgpr_workgroup_info 0
		.amdhsa_system_vgpr_workitem_id 0
		.amdhsa_next_free_vgpr 1
		.amdhsa_next_free_sgpr 1
		.amdhsa_reserve_vcc 0
		.amdhsa_float_round_mode_32 0
		.amdhsa_float_round_mode_16_64 0
		.amdhsa_float_denorm_mode_32 3
		.amdhsa_float_denorm_mode_16_64 3
		.amdhsa_dx10_clamp 1
		.amdhsa_ieee_mode 1
		.amdhsa_fp16_overflow 0
		.amdhsa_workgroup_processor_mode 1
		.amdhsa_memory_ordered 1
		.amdhsa_forward_progress 0
		.amdhsa_shared_vgpr_count 0
		.amdhsa_exception_fp_ieee_invalid_op 0
		.amdhsa_exception_fp_denorm_src 0
		.amdhsa_exception_fp_ieee_div_zero 0
		.amdhsa_exception_fp_ieee_overflow 0
		.amdhsa_exception_fp_ieee_underflow 0
		.amdhsa_exception_fp_ieee_inexact 0
		.amdhsa_exception_int_div_zero 0
	.end_amdhsa_kernel
	.section	.text._ZN7rocprim17ROCPRIM_400000_NS6detail17trampoline_kernelINS0_14default_configENS1_22reduce_config_selectorIlEEZNS1_11reduce_implILb1ES3_PlS7_lN6hipcub16HIPCUB_304000_NS6detail34convert_binary_result_type_wrapperINS9_3SumENS9_22TransformInputIteratorIb7NonZeroIdEPdlEElEEEE10hipError_tPvRmT1_T2_T3_mT4_P12ihipStream_tbEUlT_E1_NS1_11comp_targetILNS1_3genE2ELNS1_11target_archE906ELNS1_3gpuE6ELNS1_3repE0EEENS1_30default_config_static_selectorELNS0_4arch9wavefront6targetE0EEEvSM_,"axG",@progbits,_ZN7rocprim17ROCPRIM_400000_NS6detail17trampoline_kernelINS0_14default_configENS1_22reduce_config_selectorIlEEZNS1_11reduce_implILb1ES3_PlS7_lN6hipcub16HIPCUB_304000_NS6detail34convert_binary_result_type_wrapperINS9_3SumENS9_22TransformInputIteratorIb7NonZeroIdEPdlEElEEEE10hipError_tPvRmT1_T2_T3_mT4_P12ihipStream_tbEUlT_E1_NS1_11comp_targetILNS1_3genE2ELNS1_11target_archE906ELNS1_3gpuE6ELNS1_3repE0EEENS1_30default_config_static_selectorELNS0_4arch9wavefront6targetE0EEEvSM_,comdat
.Lfunc_end298:
	.size	_ZN7rocprim17ROCPRIM_400000_NS6detail17trampoline_kernelINS0_14default_configENS1_22reduce_config_selectorIlEEZNS1_11reduce_implILb1ES3_PlS7_lN6hipcub16HIPCUB_304000_NS6detail34convert_binary_result_type_wrapperINS9_3SumENS9_22TransformInputIteratorIb7NonZeroIdEPdlEElEEEE10hipError_tPvRmT1_T2_T3_mT4_P12ihipStream_tbEUlT_E1_NS1_11comp_targetILNS1_3genE2ELNS1_11target_archE906ELNS1_3gpuE6ELNS1_3repE0EEENS1_30default_config_static_selectorELNS0_4arch9wavefront6targetE0EEEvSM_, .Lfunc_end298-_ZN7rocprim17ROCPRIM_400000_NS6detail17trampoline_kernelINS0_14default_configENS1_22reduce_config_selectorIlEEZNS1_11reduce_implILb1ES3_PlS7_lN6hipcub16HIPCUB_304000_NS6detail34convert_binary_result_type_wrapperINS9_3SumENS9_22TransformInputIteratorIb7NonZeroIdEPdlEElEEEE10hipError_tPvRmT1_T2_T3_mT4_P12ihipStream_tbEUlT_E1_NS1_11comp_targetILNS1_3genE2ELNS1_11target_archE906ELNS1_3gpuE6ELNS1_3repE0EEENS1_30default_config_static_selectorELNS0_4arch9wavefront6targetE0EEEvSM_
                                        ; -- End function
	.section	.AMDGPU.csdata,"",@progbits
; Kernel info:
; codeLenInByte = 0
; NumSgprs: 0
; NumVgprs: 0
; ScratchSize: 0
; MemoryBound: 0
; FloatMode: 240
; IeeeMode: 1
; LDSByteSize: 0 bytes/workgroup (compile time only)
; SGPRBlocks: 0
; VGPRBlocks: 0
; NumSGPRsForWavesPerEU: 1
; NumVGPRsForWavesPerEU: 1
; Occupancy: 16
; WaveLimiterHint : 0
; COMPUTE_PGM_RSRC2:SCRATCH_EN: 0
; COMPUTE_PGM_RSRC2:USER_SGPR: 15
; COMPUTE_PGM_RSRC2:TRAP_HANDLER: 0
; COMPUTE_PGM_RSRC2:TGID_X_EN: 1
; COMPUTE_PGM_RSRC2:TGID_Y_EN: 0
; COMPUTE_PGM_RSRC2:TGID_Z_EN: 0
; COMPUTE_PGM_RSRC2:TIDIG_COMP_CNT: 0
	.section	.text._ZN7rocprim17ROCPRIM_400000_NS6detail17trampoline_kernelINS0_14default_configENS1_22reduce_config_selectorIlEEZNS1_11reduce_implILb1ES3_PlS7_lN6hipcub16HIPCUB_304000_NS6detail34convert_binary_result_type_wrapperINS9_3SumENS9_22TransformInputIteratorIb7NonZeroIdEPdlEElEEEE10hipError_tPvRmT1_T2_T3_mT4_P12ihipStream_tbEUlT_E1_NS1_11comp_targetILNS1_3genE10ELNS1_11target_archE1201ELNS1_3gpuE5ELNS1_3repE0EEENS1_30default_config_static_selectorELNS0_4arch9wavefront6targetE0EEEvSM_,"axG",@progbits,_ZN7rocprim17ROCPRIM_400000_NS6detail17trampoline_kernelINS0_14default_configENS1_22reduce_config_selectorIlEEZNS1_11reduce_implILb1ES3_PlS7_lN6hipcub16HIPCUB_304000_NS6detail34convert_binary_result_type_wrapperINS9_3SumENS9_22TransformInputIteratorIb7NonZeroIdEPdlEElEEEE10hipError_tPvRmT1_T2_T3_mT4_P12ihipStream_tbEUlT_E1_NS1_11comp_targetILNS1_3genE10ELNS1_11target_archE1201ELNS1_3gpuE5ELNS1_3repE0EEENS1_30default_config_static_selectorELNS0_4arch9wavefront6targetE0EEEvSM_,comdat
	.protected	_ZN7rocprim17ROCPRIM_400000_NS6detail17trampoline_kernelINS0_14default_configENS1_22reduce_config_selectorIlEEZNS1_11reduce_implILb1ES3_PlS7_lN6hipcub16HIPCUB_304000_NS6detail34convert_binary_result_type_wrapperINS9_3SumENS9_22TransformInputIteratorIb7NonZeroIdEPdlEElEEEE10hipError_tPvRmT1_T2_T3_mT4_P12ihipStream_tbEUlT_E1_NS1_11comp_targetILNS1_3genE10ELNS1_11target_archE1201ELNS1_3gpuE5ELNS1_3repE0EEENS1_30default_config_static_selectorELNS0_4arch9wavefront6targetE0EEEvSM_ ; -- Begin function _ZN7rocprim17ROCPRIM_400000_NS6detail17trampoline_kernelINS0_14default_configENS1_22reduce_config_selectorIlEEZNS1_11reduce_implILb1ES3_PlS7_lN6hipcub16HIPCUB_304000_NS6detail34convert_binary_result_type_wrapperINS9_3SumENS9_22TransformInputIteratorIb7NonZeroIdEPdlEElEEEE10hipError_tPvRmT1_T2_T3_mT4_P12ihipStream_tbEUlT_E1_NS1_11comp_targetILNS1_3genE10ELNS1_11target_archE1201ELNS1_3gpuE5ELNS1_3repE0EEENS1_30default_config_static_selectorELNS0_4arch9wavefront6targetE0EEEvSM_
	.globl	_ZN7rocprim17ROCPRIM_400000_NS6detail17trampoline_kernelINS0_14default_configENS1_22reduce_config_selectorIlEEZNS1_11reduce_implILb1ES3_PlS7_lN6hipcub16HIPCUB_304000_NS6detail34convert_binary_result_type_wrapperINS9_3SumENS9_22TransformInputIteratorIb7NonZeroIdEPdlEElEEEE10hipError_tPvRmT1_T2_T3_mT4_P12ihipStream_tbEUlT_E1_NS1_11comp_targetILNS1_3genE10ELNS1_11target_archE1201ELNS1_3gpuE5ELNS1_3repE0EEENS1_30default_config_static_selectorELNS0_4arch9wavefront6targetE0EEEvSM_
	.p2align	8
	.type	_ZN7rocprim17ROCPRIM_400000_NS6detail17trampoline_kernelINS0_14default_configENS1_22reduce_config_selectorIlEEZNS1_11reduce_implILb1ES3_PlS7_lN6hipcub16HIPCUB_304000_NS6detail34convert_binary_result_type_wrapperINS9_3SumENS9_22TransformInputIteratorIb7NonZeroIdEPdlEElEEEE10hipError_tPvRmT1_T2_T3_mT4_P12ihipStream_tbEUlT_E1_NS1_11comp_targetILNS1_3genE10ELNS1_11target_archE1201ELNS1_3gpuE5ELNS1_3repE0EEENS1_30default_config_static_selectorELNS0_4arch9wavefront6targetE0EEEvSM_,@function
_ZN7rocprim17ROCPRIM_400000_NS6detail17trampoline_kernelINS0_14default_configENS1_22reduce_config_selectorIlEEZNS1_11reduce_implILb1ES3_PlS7_lN6hipcub16HIPCUB_304000_NS6detail34convert_binary_result_type_wrapperINS9_3SumENS9_22TransformInputIteratorIb7NonZeroIdEPdlEElEEEE10hipError_tPvRmT1_T2_T3_mT4_P12ihipStream_tbEUlT_E1_NS1_11comp_targetILNS1_3genE10ELNS1_11target_archE1201ELNS1_3gpuE5ELNS1_3repE0EEENS1_30default_config_static_selectorELNS0_4arch9wavefront6targetE0EEEvSM_: ; @_ZN7rocprim17ROCPRIM_400000_NS6detail17trampoline_kernelINS0_14default_configENS1_22reduce_config_selectorIlEEZNS1_11reduce_implILb1ES3_PlS7_lN6hipcub16HIPCUB_304000_NS6detail34convert_binary_result_type_wrapperINS9_3SumENS9_22TransformInputIteratorIb7NonZeroIdEPdlEElEEEE10hipError_tPvRmT1_T2_T3_mT4_P12ihipStream_tbEUlT_E1_NS1_11comp_targetILNS1_3genE10ELNS1_11target_archE1201ELNS1_3gpuE5ELNS1_3repE0EEENS1_30default_config_static_selectorELNS0_4arch9wavefront6targetE0EEEvSM_
; %bb.0:
	.section	.rodata,"a",@progbits
	.p2align	6, 0x0
	.amdhsa_kernel _ZN7rocprim17ROCPRIM_400000_NS6detail17trampoline_kernelINS0_14default_configENS1_22reduce_config_selectorIlEEZNS1_11reduce_implILb1ES3_PlS7_lN6hipcub16HIPCUB_304000_NS6detail34convert_binary_result_type_wrapperINS9_3SumENS9_22TransformInputIteratorIb7NonZeroIdEPdlEElEEEE10hipError_tPvRmT1_T2_T3_mT4_P12ihipStream_tbEUlT_E1_NS1_11comp_targetILNS1_3genE10ELNS1_11target_archE1201ELNS1_3gpuE5ELNS1_3repE0EEENS1_30default_config_static_selectorELNS0_4arch9wavefront6targetE0EEEvSM_
		.amdhsa_group_segment_fixed_size 0
		.amdhsa_private_segment_fixed_size 0
		.amdhsa_kernarg_size 48
		.amdhsa_user_sgpr_count 15
		.amdhsa_user_sgpr_dispatch_ptr 0
		.amdhsa_user_sgpr_queue_ptr 0
		.amdhsa_user_sgpr_kernarg_segment_ptr 1
		.amdhsa_user_sgpr_dispatch_id 0
		.amdhsa_user_sgpr_private_segment_size 0
		.amdhsa_wavefront_size32 1
		.amdhsa_uses_dynamic_stack 0
		.amdhsa_enable_private_segment 0
		.amdhsa_system_sgpr_workgroup_id_x 1
		.amdhsa_system_sgpr_workgroup_id_y 0
		.amdhsa_system_sgpr_workgroup_id_z 0
		.amdhsa_system_sgpr_workgroup_info 0
		.amdhsa_system_vgpr_workitem_id 0
		.amdhsa_next_free_vgpr 1
		.amdhsa_next_free_sgpr 1
		.amdhsa_reserve_vcc 0
		.amdhsa_float_round_mode_32 0
		.amdhsa_float_round_mode_16_64 0
		.amdhsa_float_denorm_mode_32 3
		.amdhsa_float_denorm_mode_16_64 3
		.amdhsa_dx10_clamp 1
		.amdhsa_ieee_mode 1
		.amdhsa_fp16_overflow 0
		.amdhsa_workgroup_processor_mode 1
		.amdhsa_memory_ordered 1
		.amdhsa_forward_progress 0
		.amdhsa_shared_vgpr_count 0
		.amdhsa_exception_fp_ieee_invalid_op 0
		.amdhsa_exception_fp_denorm_src 0
		.amdhsa_exception_fp_ieee_div_zero 0
		.amdhsa_exception_fp_ieee_overflow 0
		.amdhsa_exception_fp_ieee_underflow 0
		.amdhsa_exception_fp_ieee_inexact 0
		.amdhsa_exception_int_div_zero 0
	.end_amdhsa_kernel
	.section	.text._ZN7rocprim17ROCPRIM_400000_NS6detail17trampoline_kernelINS0_14default_configENS1_22reduce_config_selectorIlEEZNS1_11reduce_implILb1ES3_PlS7_lN6hipcub16HIPCUB_304000_NS6detail34convert_binary_result_type_wrapperINS9_3SumENS9_22TransformInputIteratorIb7NonZeroIdEPdlEElEEEE10hipError_tPvRmT1_T2_T3_mT4_P12ihipStream_tbEUlT_E1_NS1_11comp_targetILNS1_3genE10ELNS1_11target_archE1201ELNS1_3gpuE5ELNS1_3repE0EEENS1_30default_config_static_selectorELNS0_4arch9wavefront6targetE0EEEvSM_,"axG",@progbits,_ZN7rocprim17ROCPRIM_400000_NS6detail17trampoline_kernelINS0_14default_configENS1_22reduce_config_selectorIlEEZNS1_11reduce_implILb1ES3_PlS7_lN6hipcub16HIPCUB_304000_NS6detail34convert_binary_result_type_wrapperINS9_3SumENS9_22TransformInputIteratorIb7NonZeroIdEPdlEElEEEE10hipError_tPvRmT1_T2_T3_mT4_P12ihipStream_tbEUlT_E1_NS1_11comp_targetILNS1_3genE10ELNS1_11target_archE1201ELNS1_3gpuE5ELNS1_3repE0EEENS1_30default_config_static_selectorELNS0_4arch9wavefront6targetE0EEEvSM_,comdat
.Lfunc_end299:
	.size	_ZN7rocprim17ROCPRIM_400000_NS6detail17trampoline_kernelINS0_14default_configENS1_22reduce_config_selectorIlEEZNS1_11reduce_implILb1ES3_PlS7_lN6hipcub16HIPCUB_304000_NS6detail34convert_binary_result_type_wrapperINS9_3SumENS9_22TransformInputIteratorIb7NonZeroIdEPdlEElEEEE10hipError_tPvRmT1_T2_T3_mT4_P12ihipStream_tbEUlT_E1_NS1_11comp_targetILNS1_3genE10ELNS1_11target_archE1201ELNS1_3gpuE5ELNS1_3repE0EEENS1_30default_config_static_selectorELNS0_4arch9wavefront6targetE0EEEvSM_, .Lfunc_end299-_ZN7rocprim17ROCPRIM_400000_NS6detail17trampoline_kernelINS0_14default_configENS1_22reduce_config_selectorIlEEZNS1_11reduce_implILb1ES3_PlS7_lN6hipcub16HIPCUB_304000_NS6detail34convert_binary_result_type_wrapperINS9_3SumENS9_22TransformInputIteratorIb7NonZeroIdEPdlEElEEEE10hipError_tPvRmT1_T2_T3_mT4_P12ihipStream_tbEUlT_E1_NS1_11comp_targetILNS1_3genE10ELNS1_11target_archE1201ELNS1_3gpuE5ELNS1_3repE0EEENS1_30default_config_static_selectorELNS0_4arch9wavefront6targetE0EEEvSM_
                                        ; -- End function
	.section	.AMDGPU.csdata,"",@progbits
; Kernel info:
; codeLenInByte = 0
; NumSgprs: 0
; NumVgprs: 0
; ScratchSize: 0
; MemoryBound: 0
; FloatMode: 240
; IeeeMode: 1
; LDSByteSize: 0 bytes/workgroup (compile time only)
; SGPRBlocks: 0
; VGPRBlocks: 0
; NumSGPRsForWavesPerEU: 1
; NumVGPRsForWavesPerEU: 1
; Occupancy: 16
; WaveLimiterHint : 0
; COMPUTE_PGM_RSRC2:SCRATCH_EN: 0
; COMPUTE_PGM_RSRC2:USER_SGPR: 15
; COMPUTE_PGM_RSRC2:TRAP_HANDLER: 0
; COMPUTE_PGM_RSRC2:TGID_X_EN: 1
; COMPUTE_PGM_RSRC2:TGID_Y_EN: 0
; COMPUTE_PGM_RSRC2:TGID_Z_EN: 0
; COMPUTE_PGM_RSRC2:TIDIG_COMP_CNT: 0
	.section	.text._ZN7rocprim17ROCPRIM_400000_NS6detail17trampoline_kernelINS0_14default_configENS1_22reduce_config_selectorIlEEZNS1_11reduce_implILb1ES3_PlS7_lN6hipcub16HIPCUB_304000_NS6detail34convert_binary_result_type_wrapperINS9_3SumENS9_22TransformInputIteratorIb7NonZeroIdEPdlEElEEEE10hipError_tPvRmT1_T2_T3_mT4_P12ihipStream_tbEUlT_E1_NS1_11comp_targetILNS1_3genE10ELNS1_11target_archE1200ELNS1_3gpuE4ELNS1_3repE0EEENS1_30default_config_static_selectorELNS0_4arch9wavefront6targetE0EEEvSM_,"axG",@progbits,_ZN7rocprim17ROCPRIM_400000_NS6detail17trampoline_kernelINS0_14default_configENS1_22reduce_config_selectorIlEEZNS1_11reduce_implILb1ES3_PlS7_lN6hipcub16HIPCUB_304000_NS6detail34convert_binary_result_type_wrapperINS9_3SumENS9_22TransformInputIteratorIb7NonZeroIdEPdlEElEEEE10hipError_tPvRmT1_T2_T3_mT4_P12ihipStream_tbEUlT_E1_NS1_11comp_targetILNS1_3genE10ELNS1_11target_archE1200ELNS1_3gpuE4ELNS1_3repE0EEENS1_30default_config_static_selectorELNS0_4arch9wavefront6targetE0EEEvSM_,comdat
	.protected	_ZN7rocprim17ROCPRIM_400000_NS6detail17trampoline_kernelINS0_14default_configENS1_22reduce_config_selectorIlEEZNS1_11reduce_implILb1ES3_PlS7_lN6hipcub16HIPCUB_304000_NS6detail34convert_binary_result_type_wrapperINS9_3SumENS9_22TransformInputIteratorIb7NonZeroIdEPdlEElEEEE10hipError_tPvRmT1_T2_T3_mT4_P12ihipStream_tbEUlT_E1_NS1_11comp_targetILNS1_3genE10ELNS1_11target_archE1200ELNS1_3gpuE4ELNS1_3repE0EEENS1_30default_config_static_selectorELNS0_4arch9wavefront6targetE0EEEvSM_ ; -- Begin function _ZN7rocprim17ROCPRIM_400000_NS6detail17trampoline_kernelINS0_14default_configENS1_22reduce_config_selectorIlEEZNS1_11reduce_implILb1ES3_PlS7_lN6hipcub16HIPCUB_304000_NS6detail34convert_binary_result_type_wrapperINS9_3SumENS9_22TransformInputIteratorIb7NonZeroIdEPdlEElEEEE10hipError_tPvRmT1_T2_T3_mT4_P12ihipStream_tbEUlT_E1_NS1_11comp_targetILNS1_3genE10ELNS1_11target_archE1200ELNS1_3gpuE4ELNS1_3repE0EEENS1_30default_config_static_selectorELNS0_4arch9wavefront6targetE0EEEvSM_
	.globl	_ZN7rocprim17ROCPRIM_400000_NS6detail17trampoline_kernelINS0_14default_configENS1_22reduce_config_selectorIlEEZNS1_11reduce_implILb1ES3_PlS7_lN6hipcub16HIPCUB_304000_NS6detail34convert_binary_result_type_wrapperINS9_3SumENS9_22TransformInputIteratorIb7NonZeroIdEPdlEElEEEE10hipError_tPvRmT1_T2_T3_mT4_P12ihipStream_tbEUlT_E1_NS1_11comp_targetILNS1_3genE10ELNS1_11target_archE1200ELNS1_3gpuE4ELNS1_3repE0EEENS1_30default_config_static_selectorELNS0_4arch9wavefront6targetE0EEEvSM_
	.p2align	8
	.type	_ZN7rocprim17ROCPRIM_400000_NS6detail17trampoline_kernelINS0_14default_configENS1_22reduce_config_selectorIlEEZNS1_11reduce_implILb1ES3_PlS7_lN6hipcub16HIPCUB_304000_NS6detail34convert_binary_result_type_wrapperINS9_3SumENS9_22TransformInputIteratorIb7NonZeroIdEPdlEElEEEE10hipError_tPvRmT1_T2_T3_mT4_P12ihipStream_tbEUlT_E1_NS1_11comp_targetILNS1_3genE10ELNS1_11target_archE1200ELNS1_3gpuE4ELNS1_3repE0EEENS1_30default_config_static_selectorELNS0_4arch9wavefront6targetE0EEEvSM_,@function
_ZN7rocprim17ROCPRIM_400000_NS6detail17trampoline_kernelINS0_14default_configENS1_22reduce_config_selectorIlEEZNS1_11reduce_implILb1ES3_PlS7_lN6hipcub16HIPCUB_304000_NS6detail34convert_binary_result_type_wrapperINS9_3SumENS9_22TransformInputIteratorIb7NonZeroIdEPdlEElEEEE10hipError_tPvRmT1_T2_T3_mT4_P12ihipStream_tbEUlT_E1_NS1_11comp_targetILNS1_3genE10ELNS1_11target_archE1200ELNS1_3gpuE4ELNS1_3repE0EEENS1_30default_config_static_selectorELNS0_4arch9wavefront6targetE0EEEvSM_: ; @_ZN7rocprim17ROCPRIM_400000_NS6detail17trampoline_kernelINS0_14default_configENS1_22reduce_config_selectorIlEEZNS1_11reduce_implILb1ES3_PlS7_lN6hipcub16HIPCUB_304000_NS6detail34convert_binary_result_type_wrapperINS9_3SumENS9_22TransformInputIteratorIb7NonZeroIdEPdlEElEEEE10hipError_tPvRmT1_T2_T3_mT4_P12ihipStream_tbEUlT_E1_NS1_11comp_targetILNS1_3genE10ELNS1_11target_archE1200ELNS1_3gpuE4ELNS1_3repE0EEENS1_30default_config_static_selectorELNS0_4arch9wavefront6targetE0EEEvSM_
; %bb.0:
	.section	.rodata,"a",@progbits
	.p2align	6, 0x0
	.amdhsa_kernel _ZN7rocprim17ROCPRIM_400000_NS6detail17trampoline_kernelINS0_14default_configENS1_22reduce_config_selectorIlEEZNS1_11reduce_implILb1ES3_PlS7_lN6hipcub16HIPCUB_304000_NS6detail34convert_binary_result_type_wrapperINS9_3SumENS9_22TransformInputIteratorIb7NonZeroIdEPdlEElEEEE10hipError_tPvRmT1_T2_T3_mT4_P12ihipStream_tbEUlT_E1_NS1_11comp_targetILNS1_3genE10ELNS1_11target_archE1200ELNS1_3gpuE4ELNS1_3repE0EEENS1_30default_config_static_selectorELNS0_4arch9wavefront6targetE0EEEvSM_
		.amdhsa_group_segment_fixed_size 0
		.amdhsa_private_segment_fixed_size 0
		.amdhsa_kernarg_size 48
		.amdhsa_user_sgpr_count 15
		.amdhsa_user_sgpr_dispatch_ptr 0
		.amdhsa_user_sgpr_queue_ptr 0
		.amdhsa_user_sgpr_kernarg_segment_ptr 1
		.amdhsa_user_sgpr_dispatch_id 0
		.amdhsa_user_sgpr_private_segment_size 0
		.amdhsa_wavefront_size32 1
		.amdhsa_uses_dynamic_stack 0
		.amdhsa_enable_private_segment 0
		.amdhsa_system_sgpr_workgroup_id_x 1
		.amdhsa_system_sgpr_workgroup_id_y 0
		.amdhsa_system_sgpr_workgroup_id_z 0
		.amdhsa_system_sgpr_workgroup_info 0
		.amdhsa_system_vgpr_workitem_id 0
		.amdhsa_next_free_vgpr 1
		.amdhsa_next_free_sgpr 1
		.amdhsa_reserve_vcc 0
		.amdhsa_float_round_mode_32 0
		.amdhsa_float_round_mode_16_64 0
		.amdhsa_float_denorm_mode_32 3
		.amdhsa_float_denorm_mode_16_64 3
		.amdhsa_dx10_clamp 1
		.amdhsa_ieee_mode 1
		.amdhsa_fp16_overflow 0
		.amdhsa_workgroup_processor_mode 1
		.amdhsa_memory_ordered 1
		.amdhsa_forward_progress 0
		.amdhsa_shared_vgpr_count 0
		.amdhsa_exception_fp_ieee_invalid_op 0
		.amdhsa_exception_fp_denorm_src 0
		.amdhsa_exception_fp_ieee_div_zero 0
		.amdhsa_exception_fp_ieee_overflow 0
		.amdhsa_exception_fp_ieee_underflow 0
		.amdhsa_exception_fp_ieee_inexact 0
		.amdhsa_exception_int_div_zero 0
	.end_amdhsa_kernel
	.section	.text._ZN7rocprim17ROCPRIM_400000_NS6detail17trampoline_kernelINS0_14default_configENS1_22reduce_config_selectorIlEEZNS1_11reduce_implILb1ES3_PlS7_lN6hipcub16HIPCUB_304000_NS6detail34convert_binary_result_type_wrapperINS9_3SumENS9_22TransformInputIteratorIb7NonZeroIdEPdlEElEEEE10hipError_tPvRmT1_T2_T3_mT4_P12ihipStream_tbEUlT_E1_NS1_11comp_targetILNS1_3genE10ELNS1_11target_archE1200ELNS1_3gpuE4ELNS1_3repE0EEENS1_30default_config_static_selectorELNS0_4arch9wavefront6targetE0EEEvSM_,"axG",@progbits,_ZN7rocprim17ROCPRIM_400000_NS6detail17trampoline_kernelINS0_14default_configENS1_22reduce_config_selectorIlEEZNS1_11reduce_implILb1ES3_PlS7_lN6hipcub16HIPCUB_304000_NS6detail34convert_binary_result_type_wrapperINS9_3SumENS9_22TransformInputIteratorIb7NonZeroIdEPdlEElEEEE10hipError_tPvRmT1_T2_T3_mT4_P12ihipStream_tbEUlT_E1_NS1_11comp_targetILNS1_3genE10ELNS1_11target_archE1200ELNS1_3gpuE4ELNS1_3repE0EEENS1_30default_config_static_selectorELNS0_4arch9wavefront6targetE0EEEvSM_,comdat
.Lfunc_end300:
	.size	_ZN7rocprim17ROCPRIM_400000_NS6detail17trampoline_kernelINS0_14default_configENS1_22reduce_config_selectorIlEEZNS1_11reduce_implILb1ES3_PlS7_lN6hipcub16HIPCUB_304000_NS6detail34convert_binary_result_type_wrapperINS9_3SumENS9_22TransformInputIteratorIb7NonZeroIdEPdlEElEEEE10hipError_tPvRmT1_T2_T3_mT4_P12ihipStream_tbEUlT_E1_NS1_11comp_targetILNS1_3genE10ELNS1_11target_archE1200ELNS1_3gpuE4ELNS1_3repE0EEENS1_30default_config_static_selectorELNS0_4arch9wavefront6targetE0EEEvSM_, .Lfunc_end300-_ZN7rocprim17ROCPRIM_400000_NS6detail17trampoline_kernelINS0_14default_configENS1_22reduce_config_selectorIlEEZNS1_11reduce_implILb1ES3_PlS7_lN6hipcub16HIPCUB_304000_NS6detail34convert_binary_result_type_wrapperINS9_3SumENS9_22TransformInputIteratorIb7NonZeroIdEPdlEElEEEE10hipError_tPvRmT1_T2_T3_mT4_P12ihipStream_tbEUlT_E1_NS1_11comp_targetILNS1_3genE10ELNS1_11target_archE1200ELNS1_3gpuE4ELNS1_3repE0EEENS1_30default_config_static_selectorELNS0_4arch9wavefront6targetE0EEEvSM_
                                        ; -- End function
	.section	.AMDGPU.csdata,"",@progbits
; Kernel info:
; codeLenInByte = 0
; NumSgprs: 0
; NumVgprs: 0
; ScratchSize: 0
; MemoryBound: 0
; FloatMode: 240
; IeeeMode: 1
; LDSByteSize: 0 bytes/workgroup (compile time only)
; SGPRBlocks: 0
; VGPRBlocks: 0
; NumSGPRsForWavesPerEU: 1
; NumVGPRsForWavesPerEU: 1
; Occupancy: 16
; WaveLimiterHint : 0
; COMPUTE_PGM_RSRC2:SCRATCH_EN: 0
; COMPUTE_PGM_RSRC2:USER_SGPR: 15
; COMPUTE_PGM_RSRC2:TRAP_HANDLER: 0
; COMPUTE_PGM_RSRC2:TGID_X_EN: 1
; COMPUTE_PGM_RSRC2:TGID_Y_EN: 0
; COMPUTE_PGM_RSRC2:TGID_Z_EN: 0
; COMPUTE_PGM_RSRC2:TIDIG_COMP_CNT: 0
	.section	.text._ZN7rocprim17ROCPRIM_400000_NS6detail17trampoline_kernelINS0_14default_configENS1_22reduce_config_selectorIlEEZNS1_11reduce_implILb1ES3_PlS7_lN6hipcub16HIPCUB_304000_NS6detail34convert_binary_result_type_wrapperINS9_3SumENS9_22TransformInputIteratorIb7NonZeroIdEPdlEElEEEE10hipError_tPvRmT1_T2_T3_mT4_P12ihipStream_tbEUlT_E1_NS1_11comp_targetILNS1_3genE9ELNS1_11target_archE1100ELNS1_3gpuE3ELNS1_3repE0EEENS1_30default_config_static_selectorELNS0_4arch9wavefront6targetE0EEEvSM_,"axG",@progbits,_ZN7rocprim17ROCPRIM_400000_NS6detail17trampoline_kernelINS0_14default_configENS1_22reduce_config_selectorIlEEZNS1_11reduce_implILb1ES3_PlS7_lN6hipcub16HIPCUB_304000_NS6detail34convert_binary_result_type_wrapperINS9_3SumENS9_22TransformInputIteratorIb7NonZeroIdEPdlEElEEEE10hipError_tPvRmT1_T2_T3_mT4_P12ihipStream_tbEUlT_E1_NS1_11comp_targetILNS1_3genE9ELNS1_11target_archE1100ELNS1_3gpuE3ELNS1_3repE0EEENS1_30default_config_static_selectorELNS0_4arch9wavefront6targetE0EEEvSM_,comdat
	.protected	_ZN7rocprim17ROCPRIM_400000_NS6detail17trampoline_kernelINS0_14default_configENS1_22reduce_config_selectorIlEEZNS1_11reduce_implILb1ES3_PlS7_lN6hipcub16HIPCUB_304000_NS6detail34convert_binary_result_type_wrapperINS9_3SumENS9_22TransformInputIteratorIb7NonZeroIdEPdlEElEEEE10hipError_tPvRmT1_T2_T3_mT4_P12ihipStream_tbEUlT_E1_NS1_11comp_targetILNS1_3genE9ELNS1_11target_archE1100ELNS1_3gpuE3ELNS1_3repE0EEENS1_30default_config_static_selectorELNS0_4arch9wavefront6targetE0EEEvSM_ ; -- Begin function _ZN7rocprim17ROCPRIM_400000_NS6detail17trampoline_kernelINS0_14default_configENS1_22reduce_config_selectorIlEEZNS1_11reduce_implILb1ES3_PlS7_lN6hipcub16HIPCUB_304000_NS6detail34convert_binary_result_type_wrapperINS9_3SumENS9_22TransformInputIteratorIb7NonZeroIdEPdlEElEEEE10hipError_tPvRmT1_T2_T3_mT4_P12ihipStream_tbEUlT_E1_NS1_11comp_targetILNS1_3genE9ELNS1_11target_archE1100ELNS1_3gpuE3ELNS1_3repE0EEENS1_30default_config_static_selectorELNS0_4arch9wavefront6targetE0EEEvSM_
	.globl	_ZN7rocprim17ROCPRIM_400000_NS6detail17trampoline_kernelINS0_14default_configENS1_22reduce_config_selectorIlEEZNS1_11reduce_implILb1ES3_PlS7_lN6hipcub16HIPCUB_304000_NS6detail34convert_binary_result_type_wrapperINS9_3SumENS9_22TransformInputIteratorIb7NonZeroIdEPdlEElEEEE10hipError_tPvRmT1_T2_T3_mT4_P12ihipStream_tbEUlT_E1_NS1_11comp_targetILNS1_3genE9ELNS1_11target_archE1100ELNS1_3gpuE3ELNS1_3repE0EEENS1_30default_config_static_selectorELNS0_4arch9wavefront6targetE0EEEvSM_
	.p2align	8
	.type	_ZN7rocprim17ROCPRIM_400000_NS6detail17trampoline_kernelINS0_14default_configENS1_22reduce_config_selectorIlEEZNS1_11reduce_implILb1ES3_PlS7_lN6hipcub16HIPCUB_304000_NS6detail34convert_binary_result_type_wrapperINS9_3SumENS9_22TransformInputIteratorIb7NonZeroIdEPdlEElEEEE10hipError_tPvRmT1_T2_T3_mT4_P12ihipStream_tbEUlT_E1_NS1_11comp_targetILNS1_3genE9ELNS1_11target_archE1100ELNS1_3gpuE3ELNS1_3repE0EEENS1_30default_config_static_selectorELNS0_4arch9wavefront6targetE0EEEvSM_,@function
_ZN7rocprim17ROCPRIM_400000_NS6detail17trampoline_kernelINS0_14default_configENS1_22reduce_config_selectorIlEEZNS1_11reduce_implILb1ES3_PlS7_lN6hipcub16HIPCUB_304000_NS6detail34convert_binary_result_type_wrapperINS9_3SumENS9_22TransformInputIteratorIb7NonZeroIdEPdlEElEEEE10hipError_tPvRmT1_T2_T3_mT4_P12ihipStream_tbEUlT_E1_NS1_11comp_targetILNS1_3genE9ELNS1_11target_archE1100ELNS1_3gpuE3ELNS1_3repE0EEENS1_30default_config_static_selectorELNS0_4arch9wavefront6targetE0EEEvSM_: ; @_ZN7rocprim17ROCPRIM_400000_NS6detail17trampoline_kernelINS0_14default_configENS1_22reduce_config_selectorIlEEZNS1_11reduce_implILb1ES3_PlS7_lN6hipcub16HIPCUB_304000_NS6detail34convert_binary_result_type_wrapperINS9_3SumENS9_22TransformInputIteratorIb7NonZeroIdEPdlEElEEEE10hipError_tPvRmT1_T2_T3_mT4_P12ihipStream_tbEUlT_E1_NS1_11comp_targetILNS1_3genE9ELNS1_11target_archE1100ELNS1_3gpuE3ELNS1_3repE0EEENS1_30default_config_static_selectorELNS0_4arch9wavefront6targetE0EEEvSM_
; %bb.0:
	s_clause 0x1
	s_load_b32 s26, s[0:1], 0x4
	s_load_b256 s[16:23], s[0:1], 0x8
	s_mov_b32 s14, s15
	s_waitcnt lgkmcnt(0)
	s_cmp_lt_i32 s26, 4
	s_cbranch_scc1 .LBB301_11
; %bb.1:
	s_cmp_gt_i32 s26, 7
	s_cbranch_scc0 .LBB301_12
; %bb.2:
	s_cmp_gt_i32 s26, 15
	s_cbranch_scc0 .LBB301_13
; %bb.3:
	s_mov_b32 s27, 0
	s_cmp_eq_u32 s26, 16
	s_mov_b32 s0, 0
                                        ; implicit-def: $vgpr1_vgpr2
	s_cbranch_scc0 .LBB301_14
; %bb.4:
	s_mov_b32 s15, 0
	s_lshl_b32 s0, s14, 12
	s_mov_b32 s1, s15
	s_lshr_b64 s[4:5], s[18:19], 12
	s_lshl_b64 s[2:3], s[0:1], 3
	s_delay_alu instid0(SALU_CYCLE_1)
	s_add_u32 s24, s16, s2
	s_addc_u32 s25, s17, s3
	s_cmp_lg_u64 s[4:5], s[14:15]
	s_cbranch_scc0 .LBB301_22
; %bb.5:
	v_lshlrev_b32_e32 v3, 3, v0
	s_delay_alu instid0(VALU_DEP_1) | instskip(NEXT) | instid1(VALU_DEP_1)
	v_add_co_u32 v29, s1, s24, v3
	v_add_co_ci_u32_e64 v30, null, s25, 0, s1
	s_clause 0x1
	global_load_b64 v[1:2], v3, s[24:25]
	global_load_b64 v[3:4], v3, s[24:25] offset:2048
	v_add_co_u32 v5, vcc_lo, v29, 0x2000
	v_add_co_ci_u32_e32 v6, vcc_lo, 0, v30, vcc_lo
	v_add_co_u32 v7, vcc_lo, 0x1000, v29
	v_add_co_ci_u32_e32 v8, vcc_lo, 0, v30, vcc_lo
	v_add_co_u32 v11, vcc_lo, 0x2000, v29
	s_clause 0x1
	global_load_b64 v[9:10], v[5:6], off offset:-4096
	global_load_b64 v[7:8], v[7:8], off offset:2048
	v_add_co_ci_u32_e32 v12, vcc_lo, 0, v30, vcc_lo
	global_load_b64 v[5:6], v[5:6], off
	v_add_co_u32 v13, vcc_lo, v29, 0x4000
	global_load_b64 v[11:12], v[11:12], off offset:2048
	v_add_co_ci_u32_e32 v14, vcc_lo, 0, v30, vcc_lo
	v_add_co_u32 v15, vcc_lo, 0x3000, v29
	v_add_co_ci_u32_e32 v16, vcc_lo, 0, v30, vcc_lo
	s_clause 0x1
	global_load_b64 v[17:18], v[13:14], off offset:-4096
	global_load_b64 v[15:16], v[15:16], off offset:2048
	v_add_co_u32 v19, vcc_lo, 0x4000, v29
	v_add_co_ci_u32_e32 v20, vcc_lo, 0, v30, vcc_lo
	global_load_b64 v[13:14], v[13:14], off
	v_add_co_u32 v21, vcc_lo, v29, 0x6000
	global_load_b64 v[19:20], v[19:20], off offset:2048
	v_add_co_ci_u32_e32 v22, vcc_lo, 0, v30, vcc_lo
	v_add_co_u32 v23, vcc_lo, 0x5000, v29
	v_add_co_ci_u32_e32 v24, vcc_lo, 0, v30, vcc_lo
	s_clause 0x1
	global_load_b64 v[25:26], v[21:22], off offset:-4096
	global_load_b64 v[23:24], v[23:24], off offset:2048
	v_add_co_u32 v27, vcc_lo, 0x6000, v29
	v_add_co_ci_u32_e32 v28, vcc_lo, 0, v30, vcc_lo
	global_load_b64 v[21:22], v[21:22], off
	v_add_co_u32 v29, vcc_lo, 0x7000, v29
	v_add_co_ci_u32_e32 v30, vcc_lo, 0, v30, vcc_lo
	s_clause 0x2
	global_load_b64 v[27:28], v[27:28], off offset:2048
	global_load_b64 v[31:32], v[29:30], off
	global_load_b64 v[29:30], v[29:30], off offset:2048
	s_mov_b32 s1, exec_lo
	s_waitcnt vmcnt(14)
	v_add_co_u32 v1, vcc_lo, v3, v1
	v_add_co_ci_u32_e32 v2, vcc_lo, v4, v2, vcc_lo
	s_waitcnt vmcnt(13)
	s_delay_alu instid0(VALU_DEP_2) | instskip(NEXT) | instid1(VALU_DEP_2)
	v_add_co_u32 v1, vcc_lo, v1, v9
	v_add_co_ci_u32_e32 v2, vcc_lo, v2, v10, vcc_lo
	s_waitcnt vmcnt(12)
	s_delay_alu instid0(VALU_DEP_2) | instskip(NEXT) | instid1(VALU_DEP_2)
	;; [unrolled: 4-line block ×14, first 2 shown]
	v_add_co_u32 v1, vcc_lo, v1, v29
	v_add_co_ci_u32_e32 v2, vcc_lo, v2, v30, vcc_lo
	s_delay_alu instid0(VALU_DEP_2) | instskip(NEXT) | instid1(VALU_DEP_1)
	v_mov_b32_dpp v3, v1 quad_perm:[1,0,3,2] row_mask:0xf bank_mask:0xf
	v_add_co_u32 v1, vcc_lo, v1, v3
	s_delay_alu instid0(VALU_DEP_3) | instskip(SKIP_1) | instid1(VALU_DEP_3)
	v_mov_b32_dpp v3, v2 quad_perm:[1,0,3,2] row_mask:0xf bank_mask:0xf
	v_add_co_ci_u32_e32 v2, vcc_lo, 0, v2, vcc_lo
	v_mov_b32_dpp v4, v1 quad_perm:[2,3,0,1] row_mask:0xf bank_mask:0xf
	v_add_co_u32 v1, vcc_lo, 0, v1
	s_delay_alu instid0(VALU_DEP_3) | instskip(NEXT) | instid1(VALU_DEP_2)
	v_add_co_ci_u32_e32 v2, vcc_lo, v3, v2, vcc_lo
	v_add_co_u32 v1, vcc_lo, v1, v4
	s_delay_alu instid0(VALU_DEP_2) | instskip(SKIP_1) | instid1(VALU_DEP_3)
	v_mov_b32_dpp v3, v2 quad_perm:[2,3,0,1] row_mask:0xf bank_mask:0xf
	v_add_co_ci_u32_e32 v2, vcc_lo, 0, v2, vcc_lo
	v_mov_b32_dpp v4, v1 row_ror:4 row_mask:0xf bank_mask:0xf
	v_add_co_u32 v1, vcc_lo, v1, 0
	s_delay_alu instid0(VALU_DEP_3) | instskip(NEXT) | instid1(VALU_DEP_2)
	v_add_co_ci_u32_e32 v2, vcc_lo, v2, v3, vcc_lo
	v_add_co_u32 v1, vcc_lo, v1, v4
	s_delay_alu instid0(VALU_DEP_2) | instskip(SKIP_1) | instid1(VALU_DEP_3)
	v_mov_b32_dpp v3, v2 row_ror:4 row_mask:0xf bank_mask:0xf
	v_add_co_ci_u32_e32 v2, vcc_lo, 0, v2, vcc_lo
	v_mov_b32_dpp v4, v1 row_ror:8 row_mask:0xf bank_mask:0xf
	v_add_co_u32 v1, vcc_lo, v1, 0
	s_delay_alu instid0(VALU_DEP_3) | instskip(NEXT) | instid1(VALU_DEP_2)
	v_add_co_ci_u32_e32 v2, vcc_lo, v2, v3, vcc_lo
	v_add_co_u32 v1, vcc_lo, v1, v4
	s_delay_alu instid0(VALU_DEP_2)
	v_mov_b32_dpp v3, v2 row_ror:8 row_mask:0xf bank_mask:0xf
	v_add_co_ci_u32_e32 v2, vcc_lo, 0, v2, vcc_lo
	ds_swizzle_b32 v4, v1 offset:swizzle(BROADCAST,32,15)
	v_add_co_u32 v1, vcc_lo, v1, 0
	v_add_co_ci_u32_e32 v2, vcc_lo, v2, v3, vcc_lo
	ds_swizzle_b32 v3, v2 offset:swizzle(BROADCAST,32,15)
	s_waitcnt lgkmcnt(1)
	v_add_co_u32 v1, vcc_lo, v1, v4
	v_add_co_ci_u32_e32 v2, vcc_lo, 0, v2, vcc_lo
	v_mov_b32_e32 v4, 0
	s_waitcnt lgkmcnt(0)
	s_delay_alu instid0(VALU_DEP_2)
	v_add_nc_u32_e32 v2, v3, v2
	ds_bpermute_b32 v1, v4, v1 offset:124
	v_mbcnt_lo_u32_b32 v3, -1, 0
	ds_bpermute_b32 v2, v4, v2 offset:124
	v_cmpx_eq_u32_e32 0, v3
	s_cbranch_execz .LBB301_7
; %bb.6:
	v_lshrrev_b32_e32 v4, 2, v0
	s_delay_alu instid0(VALU_DEP_1)
	v_and_b32_e32 v4, 56, v4
	s_waitcnt lgkmcnt(0)
	ds_store_b64 v4, v[1:2]
.LBB301_7:
	s_or_b32 exec_lo, exec_lo, s1
	s_delay_alu instid0(SALU_CYCLE_1)
	s_mov_b32 s1, exec_lo
	s_waitcnt lgkmcnt(0)
	s_barrier
	buffer_gl0_inv
	v_cmpx_gt_u32_e32 32, v0
	s_cbranch_execz .LBB301_9
; %bb.8:
	v_and_b32_e32 v4, 7, v3
	s_delay_alu instid0(VALU_DEP_1) | instskip(SKIP_4) | instid1(VALU_DEP_2)
	v_lshlrev_b32_e32 v1, 3, v4
	v_cmp_ne_u32_e32 vcc_lo, 7, v4
	ds_load_b64 v[1:2], v1
	v_add_co_ci_u32_e32 v5, vcc_lo, 0, v3, vcc_lo
	v_cmp_gt_u32_e32 vcc_lo, 6, v4
	v_lshlrev_b32_e32 v5, 2, v5
	v_cndmask_b32_e64 v7, 0, 1, vcc_lo
	s_delay_alu instid0(VALU_DEP_1) | instskip(NEXT) | instid1(VALU_DEP_1)
	v_lshlrev_b32_e32 v7, 1, v7
	v_add_lshl_u32 v7, v7, v3, 2
	s_waitcnt lgkmcnt(0)
	ds_bpermute_b32 v6, v5, v1
	ds_bpermute_b32 v5, v5, v2
	s_waitcnt lgkmcnt(1)
	v_add_co_u32 v1, vcc_lo, v1, v6
	v_add_co_ci_u32_e32 v2, vcc_lo, 0, v2, vcc_lo
	ds_bpermute_b32 v6, v7, v1
	v_add_co_u32 v1, vcc_lo, 0, v1
	s_waitcnt lgkmcnt(1)
	v_add_co_ci_u32_e32 v2, vcc_lo, v5, v2, vcc_lo
	v_cmp_gt_u32_e32 vcc_lo, 4, v4
	ds_bpermute_b32 v5, v7, v2
	v_cndmask_b32_e64 v4, 0, 1, vcc_lo
	s_delay_alu instid0(VALU_DEP_1) | instskip(NEXT) | instid1(VALU_DEP_1)
	v_lshlrev_b32_e32 v4, 2, v4
	v_add_lshl_u32 v3, v4, v3, 2
	s_waitcnt lgkmcnt(1)
	v_add_co_u32 v1, vcc_lo, v1, v6
	v_add_co_ci_u32_e32 v2, vcc_lo, 0, v2, vcc_lo
	ds_bpermute_b32 v4, v3, v1
	v_add_co_u32 v1, vcc_lo, v1, 0
	s_waitcnt lgkmcnt(1)
	v_add_co_ci_u32_e32 v2, vcc_lo, v2, v5, vcc_lo
	ds_bpermute_b32 v3, v3, v2
	s_waitcnt lgkmcnt(1)
	v_add_co_u32 v1, vcc_lo, v1, v4
	v_add_co_ci_u32_e32 v2, vcc_lo, 0, v2, vcc_lo
	s_delay_alu instid0(VALU_DEP_2) | instskip(SKIP_1) | instid1(VALU_DEP_2)
	v_add_co_u32 v1, vcc_lo, v1, 0
	s_waitcnt lgkmcnt(0)
	v_add_co_ci_u32_e32 v2, vcc_lo, v2, v3, vcc_lo
.LBB301_9:
	s_or_b32 exec_lo, exec_lo, s1
.LBB301_10:
	v_cmp_eq_u32_e64 s0, 0, v0
	s_and_b32 vcc_lo, exec_lo, s27
	s_cbranch_vccnz .LBB301_15
	s_branch .LBB301_116
.LBB301_11:
	s_mov_b32 s0, 0
                                        ; implicit-def: $vgpr1_vgpr2
	s_cbranch_execnz .LBB301_156
	s_branch .LBB301_201
.LBB301_12:
	s_mov_b32 s0, 0
                                        ; implicit-def: $vgpr1_vgpr2
	s_cbranch_execnz .LBB301_117
	s_branch .LBB301_155
.LBB301_13:
	s_mov_b32 s27, -1
	s_mov_b32 s0, 0
                                        ; implicit-def: $vgpr1_vgpr2
.LBB301_14:
	s_and_b32 vcc_lo, exec_lo, s27
	s_cbranch_vccz .LBB301_116
.LBB301_15:
	s_cmp_eq_u32 s26, 8
                                        ; implicit-def: $vgpr1_vgpr2
	s_cbranch_scc0 .LBB301_116
; %bb.16:
	s_mov_b32 s15, 0
	s_lshl_b32 s0, s14, 11
	s_mov_b32 s1, s15
	s_lshr_b64 s[4:5], s[18:19], 11
	s_lshl_b64 s[2:3], s[0:1], 3
	s_delay_alu instid0(SALU_CYCLE_1)
	s_add_u32 s6, s16, s2
	s_addc_u32 s7, s17, s3
	s_cmp_lg_u64 s[4:5], s[14:15]
	s_cbranch_scc0 .LBB301_76
; %bb.17:
	s_waitcnt lgkmcnt(0)
	v_lshlrev_b32_e32 v3, 3, v0
	s_delay_alu instid0(VALU_DEP_1) | instskip(NEXT) | instid1(VALU_DEP_1)
	v_add_co_u32 v13, s1, s6, v3
	v_add_co_ci_u32_e64 v14, null, s7, 0, s1
	s_clause 0x1
	global_load_b64 v[1:2], v3, s[6:7]
	global_load_b64 v[3:4], v3, s[6:7] offset:2048
	v_add_co_u32 v5, vcc_lo, v13, 0x2000
	v_add_co_ci_u32_e32 v6, vcc_lo, 0, v14, vcc_lo
	v_add_co_u32 v7, vcc_lo, 0x1000, v13
	v_add_co_ci_u32_e32 v8, vcc_lo, 0, v14, vcc_lo
	v_add_co_u32 v11, vcc_lo, 0x2000, v13
	s_clause 0x1
	global_load_b64 v[9:10], v[5:6], off offset:-4096
	global_load_b64 v[7:8], v[7:8], off offset:2048
	v_add_co_ci_u32_e32 v12, vcc_lo, 0, v14, vcc_lo
	global_load_b64 v[5:6], v[5:6], off
	v_add_co_u32 v13, vcc_lo, 0x3000, v13
	v_add_co_ci_u32_e32 v14, vcc_lo, 0, v14, vcc_lo
	s_clause 0x2
	global_load_b64 v[11:12], v[11:12], off offset:2048
	global_load_b64 v[15:16], v[13:14], off
	global_load_b64 v[13:14], v[13:14], off offset:2048
	s_mov_b32 s1, exec_lo
	s_waitcnt vmcnt(6)
	v_add_co_u32 v1, vcc_lo, v3, v1
	v_add_co_ci_u32_e32 v2, vcc_lo, v4, v2, vcc_lo
	s_waitcnt vmcnt(5)
	s_delay_alu instid0(VALU_DEP_2) | instskip(NEXT) | instid1(VALU_DEP_2)
	v_add_co_u32 v1, vcc_lo, v1, v9
	v_add_co_ci_u32_e32 v2, vcc_lo, v2, v10, vcc_lo
	s_waitcnt vmcnt(4)
	s_delay_alu instid0(VALU_DEP_2) | instskip(NEXT) | instid1(VALU_DEP_2)
	;; [unrolled: 4-line block ×6, first 2 shown]
	v_add_co_u32 v1, vcc_lo, v1, v13
	v_add_co_ci_u32_e32 v2, vcc_lo, v2, v14, vcc_lo
	s_delay_alu instid0(VALU_DEP_2) | instskip(NEXT) | instid1(VALU_DEP_1)
	v_mov_b32_dpp v3, v1 quad_perm:[1,0,3,2] row_mask:0xf bank_mask:0xf
	v_add_co_u32 v1, vcc_lo, v1, v3
	s_delay_alu instid0(VALU_DEP_3) | instskip(SKIP_1) | instid1(VALU_DEP_3)
	v_mov_b32_dpp v3, v2 quad_perm:[1,0,3,2] row_mask:0xf bank_mask:0xf
	v_add_co_ci_u32_e32 v2, vcc_lo, 0, v2, vcc_lo
	v_mov_b32_dpp v4, v1 quad_perm:[2,3,0,1] row_mask:0xf bank_mask:0xf
	v_add_co_u32 v1, vcc_lo, 0, v1
	s_delay_alu instid0(VALU_DEP_3) | instskip(NEXT) | instid1(VALU_DEP_2)
	v_add_co_ci_u32_e32 v2, vcc_lo, v3, v2, vcc_lo
	v_add_co_u32 v1, vcc_lo, v1, v4
	s_delay_alu instid0(VALU_DEP_2) | instskip(SKIP_1) | instid1(VALU_DEP_3)
	v_mov_b32_dpp v3, v2 quad_perm:[2,3,0,1] row_mask:0xf bank_mask:0xf
	v_add_co_ci_u32_e32 v2, vcc_lo, 0, v2, vcc_lo
	v_mov_b32_dpp v4, v1 row_ror:4 row_mask:0xf bank_mask:0xf
	v_add_co_u32 v1, vcc_lo, v1, 0
	s_delay_alu instid0(VALU_DEP_3) | instskip(NEXT) | instid1(VALU_DEP_2)
	v_add_co_ci_u32_e32 v2, vcc_lo, v2, v3, vcc_lo
	v_add_co_u32 v1, vcc_lo, v1, v4
	s_delay_alu instid0(VALU_DEP_2) | instskip(SKIP_1) | instid1(VALU_DEP_3)
	v_mov_b32_dpp v3, v2 row_ror:4 row_mask:0xf bank_mask:0xf
	v_add_co_ci_u32_e32 v2, vcc_lo, 0, v2, vcc_lo
	v_mov_b32_dpp v4, v1 row_ror:8 row_mask:0xf bank_mask:0xf
	v_add_co_u32 v1, vcc_lo, v1, 0
	s_delay_alu instid0(VALU_DEP_3) | instskip(NEXT) | instid1(VALU_DEP_2)
	v_add_co_ci_u32_e32 v2, vcc_lo, v2, v3, vcc_lo
	v_add_co_u32 v1, vcc_lo, v1, v4
	s_delay_alu instid0(VALU_DEP_2)
	v_mov_b32_dpp v3, v2 row_ror:8 row_mask:0xf bank_mask:0xf
	v_add_co_ci_u32_e32 v2, vcc_lo, 0, v2, vcc_lo
	ds_swizzle_b32 v4, v1 offset:swizzle(BROADCAST,32,15)
	v_add_co_u32 v1, vcc_lo, v1, 0
	v_add_co_ci_u32_e32 v2, vcc_lo, v2, v3, vcc_lo
	ds_swizzle_b32 v3, v2 offset:swizzle(BROADCAST,32,15)
	s_waitcnt lgkmcnt(1)
	v_add_co_u32 v1, vcc_lo, v1, v4
	v_mov_b32_e32 v4, 0
	v_add_co_ci_u32_e32 v2, vcc_lo, 0, v2, vcc_lo
	ds_bpermute_b32 v1, v4, v1 offset:124
	s_waitcnt lgkmcnt(1)
	v_add_nc_u32_e32 v2, v3, v2
	v_mbcnt_lo_u32_b32 v3, -1, 0
	ds_bpermute_b32 v2, v4, v2 offset:124
	v_cmpx_eq_u32_e32 0, v3
	s_cbranch_execz .LBB301_19
; %bb.18:
	v_lshrrev_b32_e32 v4, 2, v0
	s_delay_alu instid0(VALU_DEP_1)
	v_and_b32_e32 v4, 56, v4
	s_waitcnt lgkmcnt(0)
	ds_store_b64 v4, v[1:2] offset:256
.LBB301_19:
	s_or_b32 exec_lo, exec_lo, s1
	s_delay_alu instid0(SALU_CYCLE_1)
	s_mov_b32 s1, exec_lo
	s_waitcnt lgkmcnt(0)
	s_barrier
	buffer_gl0_inv
	v_cmpx_gt_u32_e32 32, v0
	s_cbranch_execz .LBB301_21
; %bb.20:
	v_and_b32_e32 v4, 7, v3
	s_delay_alu instid0(VALU_DEP_1) | instskip(SKIP_4) | instid1(VALU_DEP_2)
	v_lshlrev_b32_e32 v1, 3, v4
	v_cmp_ne_u32_e32 vcc_lo, 7, v4
	ds_load_b64 v[1:2], v1 offset:256
	v_add_co_ci_u32_e32 v5, vcc_lo, 0, v3, vcc_lo
	v_cmp_gt_u32_e32 vcc_lo, 6, v4
	v_lshlrev_b32_e32 v5, 2, v5
	v_cndmask_b32_e64 v7, 0, 1, vcc_lo
	s_delay_alu instid0(VALU_DEP_1) | instskip(NEXT) | instid1(VALU_DEP_1)
	v_lshlrev_b32_e32 v7, 1, v7
	v_add_lshl_u32 v7, v7, v3, 2
	s_waitcnt lgkmcnt(0)
	ds_bpermute_b32 v6, v5, v1
	ds_bpermute_b32 v5, v5, v2
	s_waitcnt lgkmcnt(1)
	v_add_co_u32 v1, vcc_lo, v1, v6
	v_add_co_ci_u32_e32 v2, vcc_lo, 0, v2, vcc_lo
	ds_bpermute_b32 v6, v7, v1
	v_add_co_u32 v1, vcc_lo, 0, v1
	s_waitcnt lgkmcnt(1)
	v_add_co_ci_u32_e32 v2, vcc_lo, v5, v2, vcc_lo
	v_cmp_gt_u32_e32 vcc_lo, 4, v4
	ds_bpermute_b32 v5, v7, v2
	v_cndmask_b32_e64 v4, 0, 1, vcc_lo
	s_delay_alu instid0(VALU_DEP_1) | instskip(NEXT) | instid1(VALU_DEP_1)
	v_lshlrev_b32_e32 v4, 2, v4
	v_add_lshl_u32 v3, v4, v3, 2
	s_waitcnt lgkmcnt(1)
	v_add_co_u32 v1, vcc_lo, v1, v6
	v_add_co_ci_u32_e32 v2, vcc_lo, 0, v2, vcc_lo
	ds_bpermute_b32 v4, v3, v1
	v_add_co_u32 v1, vcc_lo, v1, 0
	s_waitcnt lgkmcnt(1)
	v_add_co_ci_u32_e32 v2, vcc_lo, v2, v5, vcc_lo
	ds_bpermute_b32 v3, v3, v2
	s_waitcnt lgkmcnt(1)
	v_add_co_u32 v1, vcc_lo, v1, v4
	v_add_co_ci_u32_e32 v2, vcc_lo, 0, v2, vcc_lo
	s_delay_alu instid0(VALU_DEP_2) | instskip(SKIP_1) | instid1(VALU_DEP_2)
	v_add_co_u32 v1, vcc_lo, v1, 0
	s_waitcnt lgkmcnt(0)
	v_add_co_ci_u32_e32 v2, vcc_lo, v2, v3, vcc_lo
.LBB301_21:
	s_or_b32 exec_lo, exec_lo, s1
	s_mov_b32 s1, 0
	s_branch .LBB301_77
.LBB301_22:
                                        ; implicit-def: $vgpr1_vgpr2
	s_cbranch_execz .LBB301_10
; %bb.23:
	s_sub_i32 s28, s18, s0
	s_mov_b32 s0, exec_lo
                                        ; implicit-def: $vgpr1_vgpr2_vgpr3_vgpr4_vgpr5_vgpr6_vgpr7_vgpr8_vgpr9_vgpr10_vgpr11_vgpr12_vgpr13_vgpr14_vgpr15_vgpr16_vgpr17_vgpr18_vgpr19_vgpr20_vgpr21_vgpr22_vgpr23_vgpr24_vgpr25_vgpr26_vgpr27_vgpr28_vgpr29_vgpr30_vgpr31_vgpr32
	v_cmpx_gt_u32_e64 s28, v0
	s_cbranch_execz .LBB301_25
; %bb.24:
	v_lshlrev_b32_e32 v1, 3, v0
	global_load_b64 v[1:2], v1, s[24:25]
.LBB301_25:
	s_or_b32 exec_lo, exec_lo, s0
	v_or_b32_e32 v33, 0x100, v0
	s_delay_alu instid0(VALU_DEP_1)
	v_cmp_gt_u32_e32 vcc_lo, s28, v33
	s_and_saveexec_b32 s0, vcc_lo
	s_cbranch_execz .LBB301_27
; %bb.26:
	v_lshlrev_b32_e32 v3, 3, v0
	global_load_b64 v[3:4], v3, s[24:25] offset:2048
.LBB301_27:
	s_or_b32 exec_lo, exec_lo, s0
	v_or_b32_e32 v33, 0x200, v0
	s_delay_alu instid0(VALU_DEP_1) | instskip(NEXT) | instid1(VALU_DEP_1)
	v_cmp_gt_u32_e64 s0, s28, v33
	s_and_saveexec_b32 s1, s0
	s_cbranch_execz .LBB301_29
; %bb.28:
	v_lshlrev_b32_e32 v5, 3, v33
	global_load_b64 v[5:6], v5, s[24:25]
.LBB301_29:
	s_or_b32 exec_lo, exec_lo, s1
	v_or_b32_e32 v33, 0x300, v0
	s_delay_alu instid0(VALU_DEP_1) | instskip(NEXT) | instid1(VALU_DEP_1)
	v_cmp_gt_u32_e64 s1, s28, v33
	s_and_saveexec_b32 s2, s1
	s_cbranch_execz .LBB301_31
; %bb.30:
	v_lshlrev_b32_e32 v7, 3, v33
	global_load_b64 v[7:8], v7, s[24:25]
.LBB301_31:
	;; [unrolled: 10-line block ×14, first 2 shown]
	s_or_b32 exec_lo, exec_lo, s29
	s_waitcnt vmcnt(0)
	v_dual_cndmask_b32 v3, 0, v3 :: v_dual_cndmask_b32 v4, 0, v4
	v_cndmask_b32_e64 v5, 0, v5, s0
	v_cndmask_b32_e64 v6, 0, v6, s0
	s_min_u32 s0, s28, 0x100
	s_delay_alu instid0(VALU_DEP_3) | instskip(SKIP_2) | instid1(VALU_DEP_3)
	v_add_co_u32 v1, vcc_lo, v3, v1
	v_add_co_ci_u32_e32 v2, vcc_lo, v4, v2, vcc_lo
	v_cndmask_b32_e64 v3, 0, v7, s1
	v_add_co_u32 v1, vcc_lo, v1, v5
	s_delay_alu instid0(VALU_DEP_3) | instskip(SKIP_2) | instid1(VALU_DEP_4)
	v_add_co_ci_u32_e32 v2, vcc_lo, v2, v6, vcc_lo
	v_cndmask_b32_e64 v4, 0, v8, s1
	v_cndmask_b32_e64 v5, 0, v9, s2
	v_add_co_u32 v1, vcc_lo, v1, v3
	v_cndmask_b32_e64 v3, 0, v10, s2
	s_delay_alu instid0(VALU_DEP_4) | instskip(SKIP_1) | instid1(VALU_DEP_4)
	v_add_co_ci_u32_e32 v2, vcc_lo, v2, v4, vcc_lo
	v_cndmask_b32_e64 v4, 0, v11, s3
	v_add_co_u32 v1, vcc_lo, v1, v5
	s_delay_alu instid0(VALU_DEP_3) | instskip(SKIP_2) | instid1(VALU_DEP_4)
	v_add_co_ci_u32_e32 v2, vcc_lo, v2, v3, vcc_lo
	v_cndmask_b32_e64 v3, 0, v12, s3
	v_cndmask_b32_e64 v5, 0, v13, s4
	v_add_co_u32 v1, vcc_lo, v1, v4
	v_cndmask_b32_e64 v4, 0, v15, s5
	s_delay_alu instid0(VALU_DEP_4) | instskip(SKIP_1) | instid1(VALU_DEP_4)
	v_add_co_ci_u32_e32 v2, vcc_lo, v2, v3, vcc_lo
	v_cndmask_b32_e64 v3, 0, v14, s4
	v_add_co_u32 v1, vcc_lo, v1, v5
	v_cndmask_b32_e64 v5, 0, v17, s6
	v_cndmask_b32_e64 v6, 0, v31, s13
	s_delay_alu instid0(VALU_DEP_4) | instskip(SKIP_3) | instid1(VALU_DEP_3)
	v_add_co_ci_u32_e32 v2, vcc_lo, v2, v3, vcc_lo
	v_cndmask_b32_e64 v3, 0, v16, s5
	v_add_co_u32 v1, vcc_lo, v1, v4
	v_cndmask_b32_e64 v4, 0, v19, s7
	v_add_co_ci_u32_e32 v2, vcc_lo, v2, v3, vcc_lo
	v_cndmask_b32_e64 v3, 0, v18, s6
	s_delay_alu instid0(VALU_DEP_4) | instskip(SKIP_1) | instid1(VALU_DEP_3)
	v_add_co_u32 v1, vcc_lo, v1, v5
	v_cndmask_b32_e64 v5, 0, v21, s8
	v_add_co_ci_u32_e32 v2, vcc_lo, v2, v3, vcc_lo
	v_cndmask_b32_e64 v3, 0, v20, s7
	s_delay_alu instid0(VALU_DEP_4) | instskip(SKIP_1) | instid1(VALU_DEP_3)
	;; [unrolled: 5-line block ×5, first 2 shown]
	v_add_co_u32 v1, vcc_lo, v1, v5
	v_cndmask_b32_e64 v5, 0, v28, s11
	v_add_co_ci_u32_e32 v2, vcc_lo, v2, v3, vcc_lo
	v_mbcnt_lo_u32_b32 v3, -1, 0
	s_delay_alu instid0(VALU_DEP_4) | instskip(NEXT) | instid1(VALU_DEP_3)
	v_add_co_u32 v1, vcc_lo, v1, v4
	v_add_co_ci_u32_e32 v2, vcc_lo, v2, v5, vcc_lo
	s_delay_alu instid0(VALU_DEP_3) | instskip(SKIP_3) | instid1(VALU_DEP_3)
	v_cmp_ne_u32_e32 vcc_lo, 31, v3
	v_cndmask_b32_e64 v5, 0, v29, s12
	v_cndmask_b32_e64 v4, 0, v30, s12
	v_add_co_ci_u32_e32 v7, vcc_lo, 0, v3, vcc_lo
	v_add_co_u32 v1, vcc_lo, v1, v5
	s_delay_alu instid0(VALU_DEP_3) | instskip(SKIP_1) | instid1(VALU_DEP_3)
	v_add_co_ci_u32_e32 v2, vcc_lo, v2, v4, vcc_lo
	v_cndmask_b32_e64 v4, 0, v32, s13
	v_add_co_u32 v1, vcc_lo, v1, v6
	v_lshlrev_b32_e32 v5, 2, v7
	s_delay_alu instid0(VALU_DEP_3)
	v_add_co_ci_u32_e32 v2, vcc_lo, v2, v4, vcc_lo
	v_and_b32_e32 v4, 0xe0, v0
	ds_bpermute_b32 v7, v5, v1
	ds_bpermute_b32 v6, v5, v2
	v_add_nc_u32_e32 v5, 1, v3
	v_sub_nc_u32_e64 v4, s0, v4 clamp
	s_delay_alu instid0(VALU_DEP_1)
	v_cmp_lt_u32_e32 vcc_lo, v5, v4
	v_mov_b32_e32 v5, v1
	s_and_saveexec_b32 s1, vcc_lo
	s_cbranch_execz .LBB301_57
; %bb.56:
	s_waitcnt lgkmcnt(1)
	v_add_co_u32 v5, vcc_lo, v1, v7
	v_add_co_ci_u32_e32 v2, vcc_lo, 0, v2, vcc_lo
	s_delay_alu instid0(VALU_DEP_2) | instskip(SKIP_1) | instid1(VALU_DEP_2)
	v_add_co_u32 v1, vcc_lo, v5, 0
	s_waitcnt lgkmcnt(0)
	v_add_co_ci_u32_e32 v2, vcc_lo, v2, v6, vcc_lo
.LBB301_57:
	s_or_b32 exec_lo, exec_lo, s1
	v_cmp_gt_u32_e32 vcc_lo, 30, v3
	v_add_nc_u32_e32 v8, 2, v3
	s_mov_b32 s1, exec_lo
	s_waitcnt lgkmcnt(0)
	v_cndmask_b32_e64 v6, 0, 1, vcc_lo
	s_delay_alu instid0(VALU_DEP_1) | instskip(NEXT) | instid1(VALU_DEP_1)
	v_lshlrev_b32_e32 v6, 1, v6
	v_add_lshl_u32 v6, v6, v3, 2
	ds_bpermute_b32 v7, v6, v5
	ds_bpermute_b32 v6, v6, v2
	v_cmpx_lt_u32_e64 v8, v4
	s_cbranch_execz .LBB301_59
; %bb.58:
	s_waitcnt lgkmcnt(1)
	v_add_co_u32 v5, vcc_lo, v1, v7
	v_add_co_ci_u32_e32 v2, vcc_lo, 0, v2, vcc_lo
	s_delay_alu instid0(VALU_DEP_2) | instskip(SKIP_1) | instid1(VALU_DEP_2)
	v_add_co_u32 v1, vcc_lo, 0, v5
	s_waitcnt lgkmcnt(0)
	v_add_co_ci_u32_e32 v2, vcc_lo, v6, v2, vcc_lo
.LBB301_59:
	s_or_b32 exec_lo, exec_lo, s1
	v_cmp_gt_u32_e32 vcc_lo, 28, v3
	v_add_nc_u32_e32 v8, 4, v3
	s_mov_b32 s1, exec_lo
	s_waitcnt lgkmcnt(0)
	v_cndmask_b32_e64 v6, 0, 1, vcc_lo
	s_delay_alu instid0(VALU_DEP_1) | instskip(NEXT) | instid1(VALU_DEP_1)
	v_lshlrev_b32_e32 v6, 2, v6
	v_add_lshl_u32 v6, v6, v3, 2
	ds_bpermute_b32 v7, v6, v5
	ds_bpermute_b32 v6, v6, v2
	v_cmpx_lt_u32_e64 v8, v4
	;; [unrolled: 22-line block ×3, first 2 shown]
	s_cbranch_execz .LBB301_63
; %bb.62:
	s_waitcnt lgkmcnt(1)
	v_add_co_u32 v5, vcc_lo, v1, v7
	v_add_co_ci_u32_e32 v2, vcc_lo, 0, v2, vcc_lo
	s_delay_alu instid0(VALU_DEP_2) | instskip(SKIP_1) | instid1(VALU_DEP_2)
	v_add_co_u32 v1, vcc_lo, 0, v5
	s_waitcnt lgkmcnt(0)
	v_add_co_ci_u32_e32 v2, vcc_lo, v6, v2, vcc_lo
.LBB301_63:
	s_or_b32 exec_lo, exec_lo, s1
	v_cmp_gt_u32_e32 vcc_lo, 16, v3
	s_mov_b32 s1, exec_lo
	s_waitcnt lgkmcnt(0)
	v_cndmask_b32_e64 v6, 0, 1, vcc_lo
	s_delay_alu instid0(VALU_DEP_1) | instskip(NEXT) | instid1(VALU_DEP_1)
	v_lshlrev_b32_e32 v6, 4, v6
	v_add_lshl_u32 v7, v6, v3, 2
	ds_bpermute_b32 v6, v7, v5
	ds_bpermute_b32 v5, v7, v2
	v_add_nc_u32_e32 v7, 16, v3
	s_delay_alu instid0(VALU_DEP_1)
	v_cmpx_lt_u32_e64 v7, v4
	s_cbranch_execz .LBB301_65
; %bb.64:
	s_waitcnt lgkmcnt(1)
	v_add_co_u32 v1, vcc_lo, v1, v6
	v_add_co_ci_u32_e32 v2, vcc_lo, 0, v2, vcc_lo
	s_delay_alu instid0(VALU_DEP_2) | instskip(SKIP_1) | instid1(VALU_DEP_2)
	v_add_co_u32 v1, vcc_lo, v1, 0
	s_waitcnt lgkmcnt(0)
	v_add_co_ci_u32_e32 v2, vcc_lo, v2, v5, vcc_lo
.LBB301_65:
	s_or_b32 exec_lo, exec_lo, s1
	s_delay_alu instid0(SALU_CYCLE_1)
	s_mov_b32 s1, exec_lo
	v_cmpx_eq_u32_e32 0, v3
	s_cbranch_execz .LBB301_67
; %bb.66:
	v_lshrrev_b32_e32 v4, 2, v0
	s_delay_alu instid0(VALU_DEP_1)
	v_and_b32_e32 v4, 56, v4
	ds_store_b64 v4, v[1:2] offset:320
.LBB301_67:
	s_or_b32 exec_lo, exec_lo, s1
	s_delay_alu instid0(SALU_CYCLE_1)
	s_mov_b32 s1, exec_lo
	s_waitcnt lgkmcnt(0)
	s_barrier
	buffer_gl0_inv
	v_cmpx_gt_u32_e32 8, v0
	s_cbranch_execz .LBB301_75
; %bb.68:
	v_lshlrev_b32_e32 v1, 3, v3
	s_add_i32 s0, s0, 31
	s_delay_alu instid0(SALU_CYCLE_1) | instskip(SKIP_2) | instid1(VALU_DEP_1)
	s_lshr_b32 s0, s0, 5
	ds_load_b64 v[1:2], v1 offset:320
	v_and_b32_e32 v4, 7, v3
	v_cmp_ne_u32_e32 vcc_lo, 7, v4
	v_add_co_ci_u32_e32 v5, vcc_lo, 0, v3, vcc_lo
	s_delay_alu instid0(VALU_DEP_1) | instskip(SKIP_4) | instid1(VALU_DEP_1)
	v_lshlrev_b32_e32 v5, 2, v5
	s_waitcnt lgkmcnt(0)
	ds_bpermute_b32 v7, v5, v1
	ds_bpermute_b32 v6, v5, v2
	v_add_nc_u32_e32 v5, 1, v4
	v_cmp_gt_u32_e32 vcc_lo, s0, v5
	v_mov_b32_e32 v5, v1
	s_and_saveexec_b32 s2, vcc_lo
	s_cbranch_execz .LBB301_70
; %bb.69:
	s_waitcnt lgkmcnt(1)
	v_add_co_u32 v5, vcc_lo, v1, v7
	v_add_co_ci_u32_e32 v2, vcc_lo, 0, v2, vcc_lo
	s_delay_alu instid0(VALU_DEP_2) | instskip(SKIP_1) | instid1(VALU_DEP_2)
	v_add_co_u32 v1, vcc_lo, 0, v5
	s_waitcnt lgkmcnt(0)
	v_add_co_ci_u32_e32 v2, vcc_lo, v6, v2, vcc_lo
.LBB301_70:
	s_or_b32 exec_lo, exec_lo, s2
	v_cmp_gt_u32_e32 vcc_lo, 6, v4
	v_add_nc_u32_e32 v8, 2, v4
	s_mov_b32 s2, exec_lo
	s_waitcnt lgkmcnt(0)
	v_cndmask_b32_e64 v6, 0, 1, vcc_lo
	s_delay_alu instid0(VALU_DEP_1) | instskip(NEXT) | instid1(VALU_DEP_1)
	v_lshlrev_b32_e32 v6, 1, v6
	v_add_lshl_u32 v6, v6, v3, 2
	ds_bpermute_b32 v7, v6, v5
	ds_bpermute_b32 v6, v6, v2
	v_cmpx_gt_u32_e64 s0, v8
	s_cbranch_execz .LBB301_72
; %bb.71:
	s_waitcnt lgkmcnt(1)
	v_add_co_u32 v5, vcc_lo, v1, v7
	v_add_co_ci_u32_e32 v2, vcc_lo, 0, v2, vcc_lo
	s_delay_alu instid0(VALU_DEP_2) | instskip(SKIP_1) | instid1(VALU_DEP_2)
	v_add_co_u32 v1, vcc_lo, 0, v5
	s_waitcnt lgkmcnt(0)
	v_add_co_ci_u32_e32 v2, vcc_lo, v6, v2, vcc_lo
.LBB301_72:
	s_or_b32 exec_lo, exec_lo, s2
	v_cmp_gt_u32_e32 vcc_lo, 4, v4
	v_add_nc_u32_e32 v4, 4, v4
	s_waitcnt lgkmcnt(0)
	v_cndmask_b32_e64 v6, 0, 1, vcc_lo
	s_delay_alu instid0(VALU_DEP_2) | instskip(NEXT) | instid1(VALU_DEP_2)
	v_cmp_gt_u32_e32 vcc_lo, s0, v4
	v_lshlrev_b32_e32 v6, 2, v6
	s_delay_alu instid0(VALU_DEP_1)
	v_add_lshl_u32 v3, v6, v3, 2
	ds_bpermute_b32 v5, v3, v5
	ds_bpermute_b32 v3, v3, v2
	s_and_saveexec_b32 s0, vcc_lo
	s_cbranch_execz .LBB301_74
; %bb.73:
	s_waitcnt lgkmcnt(1)
	v_add_co_u32 v1, vcc_lo, v1, v5
	v_add_co_ci_u32_e32 v2, vcc_lo, 0, v2, vcc_lo
	s_delay_alu instid0(VALU_DEP_2) | instskip(SKIP_1) | instid1(VALU_DEP_2)
	v_add_co_u32 v1, vcc_lo, v1, 0
	s_waitcnt lgkmcnt(0)
	v_add_co_ci_u32_e32 v2, vcc_lo, v2, v3, vcc_lo
.LBB301_74:
	s_or_b32 exec_lo, exec_lo, s0
.LBB301_75:
	s_delay_alu instid0(SALU_CYCLE_1)
	s_or_b32 exec_lo, exec_lo, s1
	v_cmp_eq_u32_e64 s0, 0, v0
	s_and_b32 vcc_lo, exec_lo, s27
	s_cbranch_vccnz .LBB301_15
	s_branch .LBB301_116
.LBB301_76:
	s_mov_b32 s1, -1
                                        ; implicit-def: $vgpr1_vgpr2
.LBB301_77:
	s_delay_alu instid0(SALU_CYCLE_1)
	s_and_b32 vcc_lo, exec_lo, s1
	s_cbranch_vccz .LBB301_115
; %bb.78:
	s_sub_i32 s8, s18, s0
	s_mov_b32 s0, exec_lo
                                        ; implicit-def: $vgpr1_vgpr2_vgpr3_vgpr4_vgpr5_vgpr6_vgpr7_vgpr8_vgpr9_vgpr10_vgpr11_vgpr12_vgpr13_vgpr14_vgpr15_vgpr16
	v_cmpx_gt_u32_e64 s8, v0
	s_cbranch_execz .LBB301_80
; %bb.79:
	v_lshlrev_b32_e32 v1, 3, v0
	global_load_b64 v[1:2], v1, s[6:7]
.LBB301_80:
	s_or_b32 exec_lo, exec_lo, s0
	v_or_b32_e32 v17, 0x100, v0
	s_delay_alu instid0(VALU_DEP_1)
	v_cmp_gt_u32_e32 vcc_lo, s8, v17
	s_and_saveexec_b32 s0, vcc_lo
	s_cbranch_execz .LBB301_82
; %bb.81:
	s_waitcnt lgkmcnt(0)
	v_lshlrev_b32_e32 v3, 3, v0
	global_load_b64 v[3:4], v3, s[6:7] offset:2048
.LBB301_82:
	s_or_b32 exec_lo, exec_lo, s0
	v_or_b32_e32 v17, 0x200, v0
	s_delay_alu instid0(VALU_DEP_1) | instskip(NEXT) | instid1(VALU_DEP_1)
	v_cmp_gt_u32_e64 s0, s8, v17
	s_and_saveexec_b32 s1, s0
	s_cbranch_execz .LBB301_84
; %bb.83:
	s_waitcnt lgkmcnt(1)
	v_lshlrev_b32_e32 v5, 3, v17
	global_load_b64 v[5:6], v5, s[6:7]
.LBB301_84:
	s_or_b32 exec_lo, exec_lo, s1
	v_or_b32_e32 v17, 0x300, v0
	s_delay_alu instid0(VALU_DEP_1) | instskip(NEXT) | instid1(VALU_DEP_1)
	v_cmp_gt_u32_e64 s1, s8, v17
	s_and_saveexec_b32 s2, s1
	s_cbranch_execz .LBB301_86
; %bb.85:
	v_lshlrev_b32_e32 v7, 3, v17
	global_load_b64 v[7:8], v7, s[6:7]
.LBB301_86:
	s_or_b32 exec_lo, exec_lo, s2
	v_or_b32_e32 v17, 0x400, v0
	s_delay_alu instid0(VALU_DEP_1) | instskip(NEXT) | instid1(VALU_DEP_1)
	v_cmp_gt_u32_e64 s2, s8, v17
	s_and_saveexec_b32 s3, s2
	s_cbranch_execz .LBB301_88
; %bb.87:
	v_lshlrev_b32_e32 v9, 3, v17
	global_load_b64 v[9:10], v9, s[6:7]
.LBB301_88:
	;; [unrolled: 10-line block ×5, first 2 shown]
	s_or_b32 exec_lo, exec_lo, s9
	s_waitcnt vmcnt(0) lgkmcnt(0)
	v_dual_cndmask_b32 v3, 0, v3 :: v_dual_cndmask_b32 v4, 0, v4
	v_cndmask_b32_e64 v5, 0, v5, s0
	v_cndmask_b32_e64 v6, 0, v6, s0
	s_min_u32 s0, s8, 0x100
	s_delay_alu instid0(VALU_DEP_3) | instskip(SKIP_2) | instid1(VALU_DEP_3)
	v_add_co_u32 v1, vcc_lo, v3, v1
	v_add_co_ci_u32_e32 v2, vcc_lo, v4, v2, vcc_lo
	v_cndmask_b32_e64 v3, 0, v7, s1
	v_add_co_u32 v1, vcc_lo, v1, v5
	s_delay_alu instid0(VALU_DEP_3) | instskip(SKIP_2) | instid1(VALU_DEP_4)
	v_add_co_ci_u32_e32 v2, vcc_lo, v2, v6, vcc_lo
	v_cndmask_b32_e64 v4, 0, v8, s1
	v_cndmask_b32_e64 v5, 0, v9, s2
	v_add_co_u32 v1, vcc_lo, v1, v3
	v_cndmask_b32_e64 v3, 0, v10, s2
	s_delay_alu instid0(VALU_DEP_4) | instskip(SKIP_1) | instid1(VALU_DEP_4)
	v_add_co_ci_u32_e32 v2, vcc_lo, v2, v4, vcc_lo
	v_cndmask_b32_e64 v4, 0, v11, s3
	v_add_co_u32 v1, vcc_lo, v1, v5
	s_delay_alu instid0(VALU_DEP_3) | instskip(SKIP_2) | instid1(VALU_DEP_4)
	v_add_co_ci_u32_e32 v2, vcc_lo, v2, v3, vcc_lo
	v_cndmask_b32_e64 v5, 0, v12, s3
	v_mbcnt_lo_u32_b32 v3, -1, 0
	v_add_co_u32 v1, vcc_lo, v1, v4
	v_cndmask_b32_e64 v4, 0, v14, s4
	s_delay_alu instid0(VALU_DEP_4) | instskip(NEXT) | instid1(VALU_DEP_4)
	v_add_co_ci_u32_e32 v2, vcc_lo, v2, v5, vcc_lo
	v_cmp_ne_u32_e32 vcc_lo, 31, v3
	v_cndmask_b32_e64 v5, 0, v13, s4
	v_cndmask_b32_e64 v6, 0, v15, s5
	v_add_co_ci_u32_e32 v7, vcc_lo, 0, v3, vcc_lo
	s_delay_alu instid0(VALU_DEP_3) | instskip(SKIP_2) | instid1(VALU_DEP_3)
	v_add_co_u32 v1, vcc_lo, v1, v5
	v_add_co_ci_u32_e32 v2, vcc_lo, v2, v4, vcc_lo
	v_cndmask_b32_e64 v4, 0, v16, s5
	v_add_co_u32 v1, vcc_lo, v1, v6
	v_lshlrev_b32_e32 v5, 2, v7
	s_delay_alu instid0(VALU_DEP_3)
	v_add_co_ci_u32_e32 v2, vcc_lo, v2, v4, vcc_lo
	v_and_b32_e32 v4, 0xe0, v0
	ds_bpermute_b32 v7, v5, v1
	ds_bpermute_b32 v6, v5, v2
	v_add_nc_u32_e32 v5, 1, v3
	v_sub_nc_u32_e64 v4, s0, v4 clamp
	s_delay_alu instid0(VALU_DEP_1)
	v_cmp_lt_u32_e32 vcc_lo, v5, v4
	v_mov_b32_e32 v5, v1
	s_and_saveexec_b32 s1, vcc_lo
	s_cbranch_execz .LBB301_96
; %bb.95:
	s_waitcnt lgkmcnt(1)
	v_add_co_u32 v5, vcc_lo, v1, v7
	v_add_co_ci_u32_e32 v2, vcc_lo, 0, v2, vcc_lo
	s_delay_alu instid0(VALU_DEP_2) | instskip(SKIP_1) | instid1(VALU_DEP_2)
	v_add_co_u32 v1, vcc_lo, v5, 0
	s_waitcnt lgkmcnt(0)
	v_add_co_ci_u32_e32 v2, vcc_lo, v2, v6, vcc_lo
.LBB301_96:
	s_or_b32 exec_lo, exec_lo, s1
	v_cmp_gt_u32_e32 vcc_lo, 30, v3
	v_add_nc_u32_e32 v8, 2, v3
	s_mov_b32 s1, exec_lo
	s_waitcnt lgkmcnt(0)
	v_cndmask_b32_e64 v6, 0, 1, vcc_lo
	s_delay_alu instid0(VALU_DEP_1) | instskip(NEXT) | instid1(VALU_DEP_1)
	v_lshlrev_b32_e32 v6, 1, v6
	v_add_lshl_u32 v6, v6, v3, 2
	ds_bpermute_b32 v7, v6, v5
	ds_bpermute_b32 v6, v6, v2
	v_cmpx_lt_u32_e64 v8, v4
	s_cbranch_execz .LBB301_98
; %bb.97:
	s_waitcnt lgkmcnt(1)
	v_add_co_u32 v5, vcc_lo, v1, v7
	v_add_co_ci_u32_e32 v2, vcc_lo, 0, v2, vcc_lo
	s_delay_alu instid0(VALU_DEP_2) | instskip(SKIP_1) | instid1(VALU_DEP_2)
	v_add_co_u32 v1, vcc_lo, 0, v5
	s_waitcnt lgkmcnt(0)
	v_add_co_ci_u32_e32 v2, vcc_lo, v6, v2, vcc_lo
.LBB301_98:
	s_or_b32 exec_lo, exec_lo, s1
	v_cmp_gt_u32_e32 vcc_lo, 28, v3
	v_add_nc_u32_e32 v8, 4, v3
	s_mov_b32 s1, exec_lo
	s_waitcnt lgkmcnt(0)
	v_cndmask_b32_e64 v6, 0, 1, vcc_lo
	s_delay_alu instid0(VALU_DEP_1) | instskip(NEXT) | instid1(VALU_DEP_1)
	v_lshlrev_b32_e32 v6, 2, v6
	v_add_lshl_u32 v6, v6, v3, 2
	ds_bpermute_b32 v7, v6, v5
	ds_bpermute_b32 v6, v6, v2
	v_cmpx_lt_u32_e64 v8, v4
	;; [unrolled: 22-line block ×3, first 2 shown]
	s_cbranch_execz .LBB301_102
; %bb.101:
	s_waitcnt lgkmcnt(1)
	v_add_co_u32 v5, vcc_lo, v1, v7
	v_add_co_ci_u32_e32 v2, vcc_lo, 0, v2, vcc_lo
	s_delay_alu instid0(VALU_DEP_2) | instskip(SKIP_1) | instid1(VALU_DEP_2)
	v_add_co_u32 v1, vcc_lo, 0, v5
	s_waitcnt lgkmcnt(0)
	v_add_co_ci_u32_e32 v2, vcc_lo, v6, v2, vcc_lo
.LBB301_102:
	s_or_b32 exec_lo, exec_lo, s1
	v_cmp_gt_u32_e32 vcc_lo, 16, v3
	s_mov_b32 s1, exec_lo
	s_waitcnt lgkmcnt(0)
	v_cndmask_b32_e64 v6, 0, 1, vcc_lo
	s_delay_alu instid0(VALU_DEP_1) | instskip(NEXT) | instid1(VALU_DEP_1)
	v_lshlrev_b32_e32 v6, 4, v6
	v_add_lshl_u32 v7, v6, v3, 2
	ds_bpermute_b32 v6, v7, v5
	ds_bpermute_b32 v5, v7, v2
	v_add_nc_u32_e32 v7, 16, v3
	s_delay_alu instid0(VALU_DEP_1)
	v_cmpx_lt_u32_e64 v7, v4
	s_cbranch_execz .LBB301_104
; %bb.103:
	s_waitcnt lgkmcnt(1)
	v_add_co_u32 v1, vcc_lo, v1, v6
	v_add_co_ci_u32_e32 v2, vcc_lo, 0, v2, vcc_lo
	s_delay_alu instid0(VALU_DEP_2) | instskip(SKIP_1) | instid1(VALU_DEP_2)
	v_add_co_u32 v1, vcc_lo, v1, 0
	s_waitcnt lgkmcnt(0)
	v_add_co_ci_u32_e32 v2, vcc_lo, v2, v5, vcc_lo
.LBB301_104:
	s_or_b32 exec_lo, exec_lo, s1
	s_delay_alu instid0(SALU_CYCLE_1)
	s_mov_b32 s1, exec_lo
	v_cmpx_eq_u32_e32 0, v3
	s_cbranch_execz .LBB301_106
; %bb.105:
	v_lshrrev_b32_e32 v4, 2, v0
	s_delay_alu instid0(VALU_DEP_1)
	v_and_b32_e32 v4, 56, v4
	ds_store_b64 v4, v[1:2] offset:320
.LBB301_106:
	s_or_b32 exec_lo, exec_lo, s1
	s_delay_alu instid0(SALU_CYCLE_1)
	s_mov_b32 s1, exec_lo
	s_waitcnt lgkmcnt(0)
	s_barrier
	buffer_gl0_inv
	v_cmpx_gt_u32_e32 8, v0
	s_cbranch_execz .LBB301_114
; %bb.107:
	v_lshlrev_b32_e32 v1, 3, v3
	s_add_i32 s0, s0, 31
	s_delay_alu instid0(SALU_CYCLE_1) | instskip(SKIP_2) | instid1(VALU_DEP_1)
	s_lshr_b32 s0, s0, 5
	ds_load_b64 v[1:2], v1 offset:320
	v_and_b32_e32 v4, 7, v3
	v_cmp_ne_u32_e32 vcc_lo, 7, v4
	v_add_co_ci_u32_e32 v5, vcc_lo, 0, v3, vcc_lo
	s_delay_alu instid0(VALU_DEP_1) | instskip(SKIP_4) | instid1(VALU_DEP_1)
	v_lshlrev_b32_e32 v5, 2, v5
	s_waitcnt lgkmcnt(0)
	ds_bpermute_b32 v7, v5, v1
	ds_bpermute_b32 v6, v5, v2
	v_add_nc_u32_e32 v5, 1, v4
	v_cmp_gt_u32_e32 vcc_lo, s0, v5
	v_mov_b32_e32 v5, v1
	s_and_saveexec_b32 s2, vcc_lo
	s_cbranch_execz .LBB301_109
; %bb.108:
	s_waitcnt lgkmcnt(1)
	v_add_co_u32 v5, vcc_lo, v1, v7
	v_add_co_ci_u32_e32 v2, vcc_lo, 0, v2, vcc_lo
	s_delay_alu instid0(VALU_DEP_2) | instskip(SKIP_1) | instid1(VALU_DEP_2)
	v_add_co_u32 v1, vcc_lo, 0, v5
	s_waitcnt lgkmcnt(0)
	v_add_co_ci_u32_e32 v2, vcc_lo, v6, v2, vcc_lo
.LBB301_109:
	s_or_b32 exec_lo, exec_lo, s2
	v_cmp_gt_u32_e32 vcc_lo, 6, v4
	v_add_nc_u32_e32 v8, 2, v4
	s_mov_b32 s2, exec_lo
	s_waitcnt lgkmcnt(0)
	v_cndmask_b32_e64 v6, 0, 1, vcc_lo
	s_delay_alu instid0(VALU_DEP_1) | instskip(NEXT) | instid1(VALU_DEP_1)
	v_lshlrev_b32_e32 v6, 1, v6
	v_add_lshl_u32 v6, v6, v3, 2
	ds_bpermute_b32 v7, v6, v5
	ds_bpermute_b32 v6, v6, v2
	v_cmpx_gt_u32_e64 s0, v8
	s_cbranch_execz .LBB301_111
; %bb.110:
	s_waitcnt lgkmcnt(1)
	v_add_co_u32 v5, vcc_lo, v1, v7
	v_add_co_ci_u32_e32 v2, vcc_lo, 0, v2, vcc_lo
	s_delay_alu instid0(VALU_DEP_2) | instskip(SKIP_1) | instid1(VALU_DEP_2)
	v_add_co_u32 v1, vcc_lo, 0, v5
	s_waitcnt lgkmcnt(0)
	v_add_co_ci_u32_e32 v2, vcc_lo, v6, v2, vcc_lo
.LBB301_111:
	s_or_b32 exec_lo, exec_lo, s2
	v_cmp_gt_u32_e32 vcc_lo, 4, v4
	v_add_nc_u32_e32 v4, 4, v4
	s_waitcnt lgkmcnt(0)
	v_cndmask_b32_e64 v6, 0, 1, vcc_lo
	s_delay_alu instid0(VALU_DEP_2) | instskip(NEXT) | instid1(VALU_DEP_2)
	v_cmp_gt_u32_e32 vcc_lo, s0, v4
	v_lshlrev_b32_e32 v6, 2, v6
	s_delay_alu instid0(VALU_DEP_1)
	v_add_lshl_u32 v3, v6, v3, 2
	ds_bpermute_b32 v5, v3, v5
	ds_bpermute_b32 v3, v3, v2
	s_and_saveexec_b32 s0, vcc_lo
	s_cbranch_execz .LBB301_113
; %bb.112:
	s_waitcnt lgkmcnt(1)
	v_add_co_u32 v1, vcc_lo, v1, v5
	v_add_co_ci_u32_e32 v2, vcc_lo, 0, v2, vcc_lo
	s_delay_alu instid0(VALU_DEP_2) | instskip(SKIP_1) | instid1(VALU_DEP_2)
	v_add_co_u32 v1, vcc_lo, v1, 0
	s_waitcnt lgkmcnt(0)
	v_add_co_ci_u32_e32 v2, vcc_lo, v2, v3, vcc_lo
.LBB301_113:
	s_or_b32 exec_lo, exec_lo, s0
.LBB301_114:
	s_delay_alu instid0(SALU_CYCLE_1)
	s_or_b32 exec_lo, exec_lo, s1
.LBB301_115:
	v_cmp_eq_u32_e64 s0, 0, v0
.LBB301_116:
	s_branch .LBB301_155
.LBB301_117:
	s_cmp_eq_u32 s26, 4
                                        ; implicit-def: $vgpr1_vgpr2
	s_cbranch_scc0 .LBB301_155
; %bb.118:
	s_mov_b32 s15, 0
	s_lshl_b32 s0, s14, 10
	s_mov_b32 s1, s15
	s_lshr_b64 s[4:5], s[18:19], 10
	s_lshl_b64 s[2:3], s[0:1], 3
	s_delay_alu instid0(SALU_CYCLE_1)
	s_add_u32 s2, s16, s2
	s_addc_u32 s3, s17, s3
	s_cmp_lg_u64 s[4:5], s[14:15]
	s_cbranch_scc0 .LBB301_124
; %bb.119:
	s_waitcnt lgkmcnt(1)
	v_lshlrev_b32_e32 v5, 3, v0
	s_delay_alu instid0(VALU_DEP_1) | instskip(NEXT) | instid1(VALU_DEP_1)
	v_add_co_u32 v1, s1, s2, v5
	v_add_co_ci_u32_e64 v2, null, s3, 0, s1
	s_mov_b32 s1, exec_lo
	s_delay_alu instid0(VALU_DEP_2) | instskip(NEXT) | instid1(VALU_DEP_2)
	v_add_co_u32 v1, vcc_lo, 0x1000, v1
	v_add_co_ci_u32_e32 v2, vcc_lo, 0, v2, vcc_lo
	s_waitcnt lgkmcnt(0)
	s_clause 0x3
	global_load_b64 v[3:4], v5, s[2:3]
	global_load_b64 v[5:6], v5, s[2:3] offset:2048
	global_load_b64 v[7:8], v[1:2], off
	global_load_b64 v[1:2], v[1:2], off offset:2048
	s_waitcnt vmcnt(2)
	v_add_co_u32 v3, vcc_lo, v5, v3
	v_add_co_ci_u32_e32 v4, vcc_lo, v6, v4, vcc_lo
	s_waitcnt vmcnt(1)
	s_delay_alu instid0(VALU_DEP_2) | instskip(NEXT) | instid1(VALU_DEP_2)
	v_add_co_u32 v3, vcc_lo, v3, v7
	v_add_co_ci_u32_e32 v4, vcc_lo, v4, v8, vcc_lo
	s_waitcnt vmcnt(0)
	s_delay_alu instid0(VALU_DEP_2) | instskip(NEXT) | instid1(VALU_DEP_2)
	v_add_co_u32 v1, vcc_lo, v3, v1
	v_add_co_ci_u32_e32 v2, vcc_lo, v4, v2, vcc_lo
	s_delay_alu instid0(VALU_DEP_2) | instskip(NEXT) | instid1(VALU_DEP_1)
	v_mov_b32_dpp v3, v1 quad_perm:[1,0,3,2] row_mask:0xf bank_mask:0xf
	v_add_co_u32 v1, vcc_lo, v1, v3
	s_delay_alu instid0(VALU_DEP_3) | instskip(SKIP_1) | instid1(VALU_DEP_3)
	v_mov_b32_dpp v3, v2 quad_perm:[1,0,3,2] row_mask:0xf bank_mask:0xf
	v_add_co_ci_u32_e32 v2, vcc_lo, 0, v2, vcc_lo
	v_mov_b32_dpp v4, v1 quad_perm:[2,3,0,1] row_mask:0xf bank_mask:0xf
	v_add_co_u32 v1, vcc_lo, 0, v1
	s_delay_alu instid0(VALU_DEP_3) | instskip(NEXT) | instid1(VALU_DEP_2)
	v_add_co_ci_u32_e32 v2, vcc_lo, v3, v2, vcc_lo
	v_add_co_u32 v1, vcc_lo, v1, v4
	s_delay_alu instid0(VALU_DEP_2) | instskip(SKIP_1) | instid1(VALU_DEP_3)
	v_mov_b32_dpp v3, v2 quad_perm:[2,3,0,1] row_mask:0xf bank_mask:0xf
	v_add_co_ci_u32_e32 v2, vcc_lo, 0, v2, vcc_lo
	v_mov_b32_dpp v4, v1 row_ror:4 row_mask:0xf bank_mask:0xf
	v_add_co_u32 v1, vcc_lo, v1, 0
	s_delay_alu instid0(VALU_DEP_3) | instskip(NEXT) | instid1(VALU_DEP_2)
	v_add_co_ci_u32_e32 v2, vcc_lo, v2, v3, vcc_lo
	v_add_co_u32 v1, vcc_lo, v1, v4
	s_delay_alu instid0(VALU_DEP_2) | instskip(SKIP_1) | instid1(VALU_DEP_3)
	v_mov_b32_dpp v3, v2 row_ror:4 row_mask:0xf bank_mask:0xf
	v_add_co_ci_u32_e32 v2, vcc_lo, 0, v2, vcc_lo
	v_mov_b32_dpp v4, v1 row_ror:8 row_mask:0xf bank_mask:0xf
	v_add_co_u32 v1, vcc_lo, v1, 0
	s_delay_alu instid0(VALU_DEP_3) | instskip(NEXT) | instid1(VALU_DEP_2)
	v_add_co_ci_u32_e32 v2, vcc_lo, v2, v3, vcc_lo
	v_add_co_u32 v1, vcc_lo, v1, v4
	s_delay_alu instid0(VALU_DEP_2)
	v_mov_b32_dpp v3, v2 row_ror:8 row_mask:0xf bank_mask:0xf
	v_add_co_ci_u32_e32 v2, vcc_lo, 0, v2, vcc_lo
	ds_swizzle_b32 v4, v1 offset:swizzle(BROADCAST,32,15)
	v_add_co_u32 v1, vcc_lo, v1, 0
	v_add_co_ci_u32_e32 v2, vcc_lo, v2, v3, vcc_lo
	ds_swizzle_b32 v3, v2 offset:swizzle(BROADCAST,32,15)
	s_waitcnt lgkmcnt(1)
	v_add_co_u32 v1, vcc_lo, v1, v4
	v_mov_b32_e32 v4, 0
	v_add_co_ci_u32_e32 v2, vcc_lo, 0, v2, vcc_lo
	ds_bpermute_b32 v1, v4, v1 offset:124
	s_waitcnt lgkmcnt(1)
	v_add_nc_u32_e32 v2, v3, v2
	v_mbcnt_lo_u32_b32 v3, -1, 0
	ds_bpermute_b32 v2, v4, v2 offset:124
	v_cmpx_eq_u32_e32 0, v3
	s_cbranch_execz .LBB301_121
; %bb.120:
	v_lshrrev_b32_e32 v4, 2, v0
	s_delay_alu instid0(VALU_DEP_1)
	v_and_b32_e32 v4, 56, v4
	s_waitcnt lgkmcnt(0)
	ds_store_b64 v4, v[1:2] offset:192
.LBB301_121:
	s_or_b32 exec_lo, exec_lo, s1
	s_delay_alu instid0(SALU_CYCLE_1)
	s_mov_b32 s1, exec_lo
	s_waitcnt lgkmcnt(0)
	s_barrier
	buffer_gl0_inv
	v_cmpx_gt_u32_e32 32, v0
	s_cbranch_execz .LBB301_123
; %bb.122:
	v_lshl_or_b32 v1, v3, 3, 0xc0
	v_and_b32_e32 v4, 7, v3
	ds_load_b64 v[1:2], v1
	v_cmp_ne_u32_e32 vcc_lo, 7, v4
	v_add_co_ci_u32_e32 v5, vcc_lo, 0, v3, vcc_lo
	v_cmp_gt_u32_e32 vcc_lo, 6, v4
	s_delay_alu instid0(VALU_DEP_2) | instskip(SKIP_1) | instid1(VALU_DEP_1)
	v_lshlrev_b32_e32 v5, 2, v5
	v_cndmask_b32_e64 v7, 0, 1, vcc_lo
	v_lshlrev_b32_e32 v7, 1, v7
	s_waitcnt lgkmcnt(0)
	ds_bpermute_b32 v6, v5, v1
	ds_bpermute_b32 v5, v5, v2
	v_add_lshl_u32 v7, v7, v3, 2
	s_waitcnt lgkmcnt(1)
	v_add_co_u32 v1, vcc_lo, v1, v6
	v_add_co_ci_u32_e32 v2, vcc_lo, 0, v2, vcc_lo
	ds_bpermute_b32 v6, v7, v1
	v_add_co_u32 v1, vcc_lo, 0, v1
	s_waitcnt lgkmcnt(1)
	v_add_co_ci_u32_e32 v2, vcc_lo, v5, v2, vcc_lo
	v_cmp_gt_u32_e32 vcc_lo, 4, v4
	ds_bpermute_b32 v5, v7, v2
	v_cndmask_b32_e64 v4, 0, 1, vcc_lo
	s_delay_alu instid0(VALU_DEP_1) | instskip(NEXT) | instid1(VALU_DEP_1)
	v_lshlrev_b32_e32 v4, 2, v4
	v_add_lshl_u32 v3, v4, v3, 2
	s_waitcnt lgkmcnt(1)
	v_add_co_u32 v1, vcc_lo, v1, v6
	v_add_co_ci_u32_e32 v2, vcc_lo, 0, v2, vcc_lo
	ds_bpermute_b32 v4, v3, v1
	v_add_co_u32 v1, vcc_lo, v1, 0
	s_waitcnt lgkmcnt(1)
	v_add_co_ci_u32_e32 v2, vcc_lo, v2, v5, vcc_lo
	ds_bpermute_b32 v3, v3, v2
	s_waitcnt lgkmcnt(1)
	v_add_co_u32 v1, vcc_lo, v1, v4
	v_add_co_ci_u32_e32 v2, vcc_lo, 0, v2, vcc_lo
	s_delay_alu instid0(VALU_DEP_2) | instskip(SKIP_1) | instid1(VALU_DEP_2)
	v_add_co_u32 v1, vcc_lo, v1, 0
	s_waitcnt lgkmcnt(0)
	v_add_co_ci_u32_e32 v2, vcc_lo, v2, v3, vcc_lo
.LBB301_123:
	s_or_b32 exec_lo, exec_lo, s1
	s_branch .LBB301_154
.LBB301_124:
                                        ; implicit-def: $vgpr1_vgpr2
	s_cbranch_execz .LBB301_154
; %bb.125:
	s_sub_i32 s4, s18, s0
	s_mov_b32 s0, exec_lo
                                        ; implicit-def: $vgpr1_vgpr2_vgpr3_vgpr4_vgpr5_vgpr6_vgpr7_vgpr8
	v_cmpx_gt_u32_e64 s4, v0
	s_cbranch_execz .LBB301_127
; %bb.126:
	v_lshlrev_b32_e32 v1, 3, v0
	global_load_b64 v[1:2], v1, s[2:3]
.LBB301_127:
	s_or_b32 exec_lo, exec_lo, s0
	v_or_b32_e32 v9, 0x100, v0
	s_delay_alu instid0(VALU_DEP_1)
	v_cmp_gt_u32_e32 vcc_lo, s4, v9
	s_and_saveexec_b32 s0, vcc_lo
	s_cbranch_execz .LBB301_129
; %bb.128:
	s_waitcnt lgkmcnt(0)
	v_lshlrev_b32_e32 v3, 3, v0
	global_load_b64 v[3:4], v3, s[2:3] offset:2048
.LBB301_129:
	s_or_b32 exec_lo, exec_lo, s0
	v_or_b32_e32 v9, 0x200, v0
	s_delay_alu instid0(VALU_DEP_1) | instskip(NEXT) | instid1(VALU_DEP_1)
	v_cmp_gt_u32_e64 s0, s4, v9
	s_and_saveexec_b32 s1, s0
	s_cbranch_execz .LBB301_131
; %bb.130:
	s_waitcnt lgkmcnt(1)
	v_lshlrev_b32_e32 v5, 3, v9
	global_load_b64 v[5:6], v5, s[2:3]
.LBB301_131:
	s_or_b32 exec_lo, exec_lo, s1
	v_or_b32_e32 v9, 0x300, v0
	s_delay_alu instid0(VALU_DEP_1) | instskip(NEXT) | instid1(VALU_DEP_1)
	v_cmp_gt_u32_e64 s1, s4, v9
	s_and_saveexec_b32 s5, s1
	s_cbranch_execz .LBB301_133
; %bb.132:
	v_lshlrev_b32_e32 v7, 3, v9
	global_load_b64 v[7:8], v7, s[2:3]
.LBB301_133:
	s_or_b32 exec_lo, exec_lo, s5
	s_waitcnt vmcnt(0) lgkmcnt(0)
	v_dual_cndmask_b32 v9, 0, v3 :: v_dual_cndmask_b32 v4, 0, v4
	v_mbcnt_lo_u32_b32 v3, -1, 0
	v_cndmask_b32_e64 v5, 0, v5, s0
	s_delay_alu instid0(VALU_DEP_3) | instskip(NEXT) | instid1(VALU_DEP_4)
	v_add_co_u32 v1, vcc_lo, v9, v1
	v_add_co_ci_u32_e32 v2, vcc_lo, v4, v2, vcc_lo
	s_delay_alu instid0(VALU_DEP_4)
	v_cmp_ne_u32_e32 vcc_lo, 31, v3
	v_cndmask_b32_e64 v4, 0, v6, s0
	v_cndmask_b32_e64 v6, 0, v7, s1
	s_min_u32 s0, s4, 0x100
	v_add_co_ci_u32_e32 v7, vcc_lo, 0, v3, vcc_lo
	v_add_co_u32 v1, vcc_lo, v1, v5
	v_add_co_ci_u32_e32 v2, vcc_lo, v2, v4, vcc_lo
	v_cndmask_b32_e64 v4, 0, v8, s1
	s_delay_alu instid0(VALU_DEP_3) | instskip(SKIP_1) | instid1(VALU_DEP_3)
	v_add_co_u32 v1, vcc_lo, v1, v6
	v_lshlrev_b32_e32 v5, 2, v7
	v_add_co_ci_u32_e32 v2, vcc_lo, v2, v4, vcc_lo
	v_and_b32_e32 v4, 0xe0, v0
	ds_bpermute_b32 v7, v5, v1
	ds_bpermute_b32 v6, v5, v2
	v_add_nc_u32_e32 v5, 1, v3
	v_sub_nc_u32_e64 v4, s0, v4 clamp
	s_delay_alu instid0(VALU_DEP_1)
	v_cmp_lt_u32_e32 vcc_lo, v5, v4
	v_mov_b32_e32 v5, v1
	s_and_saveexec_b32 s1, vcc_lo
	s_cbranch_execz .LBB301_135
; %bb.134:
	s_waitcnt lgkmcnt(1)
	v_add_co_u32 v5, vcc_lo, v1, v7
	v_add_co_ci_u32_e32 v2, vcc_lo, 0, v2, vcc_lo
	s_delay_alu instid0(VALU_DEP_2) | instskip(SKIP_1) | instid1(VALU_DEP_2)
	v_add_co_u32 v1, vcc_lo, v5, 0
	s_waitcnt lgkmcnt(0)
	v_add_co_ci_u32_e32 v2, vcc_lo, v2, v6, vcc_lo
.LBB301_135:
	s_or_b32 exec_lo, exec_lo, s1
	v_cmp_gt_u32_e32 vcc_lo, 30, v3
	v_add_nc_u32_e32 v8, 2, v3
	s_mov_b32 s1, exec_lo
	s_waitcnt lgkmcnt(0)
	v_cndmask_b32_e64 v6, 0, 1, vcc_lo
	s_delay_alu instid0(VALU_DEP_1) | instskip(NEXT) | instid1(VALU_DEP_1)
	v_lshlrev_b32_e32 v6, 1, v6
	v_add_lshl_u32 v6, v6, v3, 2
	ds_bpermute_b32 v7, v6, v5
	ds_bpermute_b32 v6, v6, v2
	v_cmpx_lt_u32_e64 v8, v4
	s_cbranch_execz .LBB301_137
; %bb.136:
	s_waitcnt lgkmcnt(1)
	v_add_co_u32 v5, vcc_lo, v1, v7
	v_add_co_ci_u32_e32 v2, vcc_lo, 0, v2, vcc_lo
	s_delay_alu instid0(VALU_DEP_2) | instskip(SKIP_1) | instid1(VALU_DEP_2)
	v_add_co_u32 v1, vcc_lo, 0, v5
	s_waitcnt lgkmcnt(0)
	v_add_co_ci_u32_e32 v2, vcc_lo, v6, v2, vcc_lo
.LBB301_137:
	s_or_b32 exec_lo, exec_lo, s1
	v_cmp_gt_u32_e32 vcc_lo, 28, v3
	v_add_nc_u32_e32 v8, 4, v3
	s_mov_b32 s1, exec_lo
	s_waitcnt lgkmcnt(0)
	v_cndmask_b32_e64 v6, 0, 1, vcc_lo
	s_delay_alu instid0(VALU_DEP_1) | instskip(NEXT) | instid1(VALU_DEP_1)
	v_lshlrev_b32_e32 v6, 2, v6
	v_add_lshl_u32 v6, v6, v3, 2
	ds_bpermute_b32 v7, v6, v5
	ds_bpermute_b32 v6, v6, v2
	v_cmpx_lt_u32_e64 v8, v4
	;; [unrolled: 22-line block ×3, first 2 shown]
	s_cbranch_execz .LBB301_141
; %bb.140:
	s_waitcnt lgkmcnt(1)
	v_add_co_u32 v5, vcc_lo, v1, v7
	v_add_co_ci_u32_e32 v2, vcc_lo, 0, v2, vcc_lo
	s_delay_alu instid0(VALU_DEP_2) | instskip(SKIP_1) | instid1(VALU_DEP_2)
	v_add_co_u32 v1, vcc_lo, 0, v5
	s_waitcnt lgkmcnt(0)
	v_add_co_ci_u32_e32 v2, vcc_lo, v6, v2, vcc_lo
.LBB301_141:
	s_or_b32 exec_lo, exec_lo, s1
	v_cmp_gt_u32_e32 vcc_lo, 16, v3
	s_mov_b32 s1, exec_lo
	s_waitcnt lgkmcnt(0)
	v_cndmask_b32_e64 v6, 0, 1, vcc_lo
	s_delay_alu instid0(VALU_DEP_1) | instskip(NEXT) | instid1(VALU_DEP_1)
	v_lshlrev_b32_e32 v6, 4, v6
	v_add_lshl_u32 v7, v6, v3, 2
	ds_bpermute_b32 v6, v7, v5
	ds_bpermute_b32 v5, v7, v2
	v_add_nc_u32_e32 v7, 16, v3
	s_delay_alu instid0(VALU_DEP_1)
	v_cmpx_lt_u32_e64 v7, v4
	s_cbranch_execz .LBB301_143
; %bb.142:
	s_waitcnt lgkmcnt(1)
	v_add_co_u32 v1, vcc_lo, v1, v6
	v_add_co_ci_u32_e32 v2, vcc_lo, 0, v2, vcc_lo
	s_delay_alu instid0(VALU_DEP_2) | instskip(SKIP_1) | instid1(VALU_DEP_2)
	v_add_co_u32 v1, vcc_lo, v1, 0
	s_waitcnt lgkmcnt(0)
	v_add_co_ci_u32_e32 v2, vcc_lo, v2, v5, vcc_lo
.LBB301_143:
	s_or_b32 exec_lo, exec_lo, s1
	s_delay_alu instid0(SALU_CYCLE_1)
	s_mov_b32 s1, exec_lo
	v_cmpx_eq_u32_e32 0, v3
	s_cbranch_execz .LBB301_145
; %bb.144:
	v_lshrrev_b32_e32 v4, 2, v0
	s_delay_alu instid0(VALU_DEP_1)
	v_and_b32_e32 v4, 56, v4
	ds_store_b64 v4, v[1:2] offset:320
.LBB301_145:
	s_or_b32 exec_lo, exec_lo, s1
	s_delay_alu instid0(SALU_CYCLE_1)
	s_mov_b32 s1, exec_lo
	s_waitcnt lgkmcnt(0)
	s_barrier
	buffer_gl0_inv
	v_cmpx_gt_u32_e32 8, v0
	s_cbranch_execz .LBB301_153
; %bb.146:
	v_lshlrev_b32_e32 v1, 3, v3
	s_add_i32 s0, s0, 31
	s_delay_alu instid0(SALU_CYCLE_1) | instskip(SKIP_2) | instid1(VALU_DEP_1)
	s_lshr_b32 s0, s0, 5
	ds_load_b64 v[1:2], v1 offset:320
	v_and_b32_e32 v4, 7, v3
	v_cmp_ne_u32_e32 vcc_lo, 7, v4
	v_add_co_ci_u32_e32 v5, vcc_lo, 0, v3, vcc_lo
	s_delay_alu instid0(VALU_DEP_1) | instskip(SKIP_4) | instid1(VALU_DEP_1)
	v_lshlrev_b32_e32 v5, 2, v5
	s_waitcnt lgkmcnt(0)
	ds_bpermute_b32 v7, v5, v1
	ds_bpermute_b32 v6, v5, v2
	v_add_nc_u32_e32 v5, 1, v4
	v_cmp_gt_u32_e32 vcc_lo, s0, v5
	v_mov_b32_e32 v5, v1
	s_and_saveexec_b32 s2, vcc_lo
	s_cbranch_execz .LBB301_148
; %bb.147:
	s_waitcnt lgkmcnt(1)
	v_add_co_u32 v5, vcc_lo, v1, v7
	v_add_co_ci_u32_e32 v2, vcc_lo, 0, v2, vcc_lo
	s_delay_alu instid0(VALU_DEP_2) | instskip(SKIP_1) | instid1(VALU_DEP_2)
	v_add_co_u32 v1, vcc_lo, 0, v5
	s_waitcnt lgkmcnt(0)
	v_add_co_ci_u32_e32 v2, vcc_lo, v6, v2, vcc_lo
.LBB301_148:
	s_or_b32 exec_lo, exec_lo, s2
	v_cmp_gt_u32_e32 vcc_lo, 6, v4
	v_add_nc_u32_e32 v8, 2, v4
	s_mov_b32 s2, exec_lo
	s_waitcnt lgkmcnt(0)
	v_cndmask_b32_e64 v6, 0, 1, vcc_lo
	s_delay_alu instid0(VALU_DEP_1) | instskip(NEXT) | instid1(VALU_DEP_1)
	v_lshlrev_b32_e32 v6, 1, v6
	v_add_lshl_u32 v6, v6, v3, 2
	ds_bpermute_b32 v7, v6, v5
	ds_bpermute_b32 v6, v6, v2
	v_cmpx_gt_u32_e64 s0, v8
	s_cbranch_execz .LBB301_150
; %bb.149:
	s_waitcnt lgkmcnt(1)
	v_add_co_u32 v5, vcc_lo, v1, v7
	v_add_co_ci_u32_e32 v2, vcc_lo, 0, v2, vcc_lo
	s_delay_alu instid0(VALU_DEP_2) | instskip(SKIP_1) | instid1(VALU_DEP_2)
	v_add_co_u32 v1, vcc_lo, 0, v5
	s_waitcnt lgkmcnt(0)
	v_add_co_ci_u32_e32 v2, vcc_lo, v6, v2, vcc_lo
.LBB301_150:
	s_or_b32 exec_lo, exec_lo, s2
	v_cmp_gt_u32_e32 vcc_lo, 4, v4
	v_add_nc_u32_e32 v4, 4, v4
	s_waitcnt lgkmcnt(0)
	v_cndmask_b32_e64 v6, 0, 1, vcc_lo
	s_delay_alu instid0(VALU_DEP_2) | instskip(NEXT) | instid1(VALU_DEP_2)
	v_cmp_gt_u32_e32 vcc_lo, s0, v4
	v_lshlrev_b32_e32 v6, 2, v6
	s_delay_alu instid0(VALU_DEP_1)
	v_add_lshl_u32 v3, v6, v3, 2
	ds_bpermute_b32 v5, v3, v5
	ds_bpermute_b32 v3, v3, v2
	s_and_saveexec_b32 s0, vcc_lo
	s_cbranch_execz .LBB301_152
; %bb.151:
	s_waitcnt lgkmcnt(1)
	v_add_co_u32 v1, vcc_lo, v1, v5
	v_add_co_ci_u32_e32 v2, vcc_lo, 0, v2, vcc_lo
	s_delay_alu instid0(VALU_DEP_2) | instskip(SKIP_1) | instid1(VALU_DEP_2)
	v_add_co_u32 v1, vcc_lo, v1, 0
	s_waitcnt lgkmcnt(0)
	v_add_co_ci_u32_e32 v2, vcc_lo, v2, v3, vcc_lo
.LBB301_152:
	s_or_b32 exec_lo, exec_lo, s0
.LBB301_153:
	s_delay_alu instid0(SALU_CYCLE_1)
	s_or_b32 exec_lo, exec_lo, s1
.LBB301_154:
	v_cmp_eq_u32_e64 s0, 0, v0
.LBB301_155:
	s_branch .LBB301_201
.LBB301_156:
	s_cmp_gt_i32 s26, 1
	s_cbranch_scc0 .LBB301_165
; %bb.157:
	s_cmp_eq_u32 s26, 2
                                        ; implicit-def: $vgpr1_vgpr2
	s_cbranch_scc0 .LBB301_166
; %bb.158:
	s_mov_b32 s15, 0
	s_lshl_b32 s2, s14, 9
	s_mov_b32 s3, s15
	s_lshr_b64 s[4:5], s[18:19], 9
	s_lshl_b64 s[0:1], s[2:3], 3
	s_delay_alu instid0(SALU_CYCLE_1)
	s_add_u32 s0, s16, s0
	s_addc_u32 s1, s17, s1
	s_cmp_lg_u64 s[4:5], s[14:15]
	s_cbranch_scc0 .LBB301_167
; %bb.159:
	s_waitcnt lgkmcnt(0)
	v_lshlrev_b32_e32 v3, 3, v0
	s_mov_b32 s3, exec_lo
	s_clause 0x1
	global_load_b64 v[1:2], v3, s[0:1]
	global_load_b64 v[3:4], v3, s[0:1] offset:2048
	s_waitcnt vmcnt(0)
	v_add_co_u32 v1, vcc_lo, v3, v1
	v_add_co_ci_u32_e32 v2, vcc_lo, v4, v2, vcc_lo
	s_delay_alu instid0(VALU_DEP_2) | instskip(NEXT) | instid1(VALU_DEP_1)
	v_mov_b32_dpp v3, v1 quad_perm:[1,0,3,2] row_mask:0xf bank_mask:0xf
	v_add_co_u32 v1, vcc_lo, v1, v3
	s_delay_alu instid0(VALU_DEP_3) | instskip(SKIP_1) | instid1(VALU_DEP_3)
	v_mov_b32_dpp v3, v2 quad_perm:[1,0,3,2] row_mask:0xf bank_mask:0xf
	v_add_co_ci_u32_e32 v2, vcc_lo, 0, v2, vcc_lo
	v_mov_b32_dpp v4, v1 quad_perm:[2,3,0,1] row_mask:0xf bank_mask:0xf
	v_add_co_u32 v1, vcc_lo, 0, v1
	s_delay_alu instid0(VALU_DEP_3) | instskip(NEXT) | instid1(VALU_DEP_2)
	v_add_co_ci_u32_e32 v2, vcc_lo, v3, v2, vcc_lo
	v_add_co_u32 v1, vcc_lo, v1, v4
	s_delay_alu instid0(VALU_DEP_2) | instskip(SKIP_1) | instid1(VALU_DEP_3)
	v_mov_b32_dpp v3, v2 quad_perm:[2,3,0,1] row_mask:0xf bank_mask:0xf
	v_add_co_ci_u32_e32 v2, vcc_lo, 0, v2, vcc_lo
	v_mov_b32_dpp v4, v1 row_ror:4 row_mask:0xf bank_mask:0xf
	v_add_co_u32 v1, vcc_lo, v1, 0
	s_delay_alu instid0(VALU_DEP_3) | instskip(NEXT) | instid1(VALU_DEP_2)
	v_add_co_ci_u32_e32 v2, vcc_lo, v2, v3, vcc_lo
	v_add_co_u32 v1, vcc_lo, v1, v4
	s_delay_alu instid0(VALU_DEP_2) | instskip(SKIP_1) | instid1(VALU_DEP_3)
	v_mov_b32_dpp v3, v2 row_ror:4 row_mask:0xf bank_mask:0xf
	v_add_co_ci_u32_e32 v2, vcc_lo, 0, v2, vcc_lo
	v_mov_b32_dpp v4, v1 row_ror:8 row_mask:0xf bank_mask:0xf
	v_add_co_u32 v1, vcc_lo, v1, 0
	s_delay_alu instid0(VALU_DEP_3) | instskip(NEXT) | instid1(VALU_DEP_2)
	v_add_co_ci_u32_e32 v2, vcc_lo, v2, v3, vcc_lo
	v_add_co_u32 v1, vcc_lo, v1, v4
	s_delay_alu instid0(VALU_DEP_2)
	v_mov_b32_dpp v3, v2 row_ror:8 row_mask:0xf bank_mask:0xf
	v_add_co_ci_u32_e32 v2, vcc_lo, 0, v2, vcc_lo
	ds_swizzle_b32 v4, v1 offset:swizzle(BROADCAST,32,15)
	v_add_co_u32 v1, vcc_lo, v1, 0
	v_add_co_ci_u32_e32 v2, vcc_lo, v2, v3, vcc_lo
	ds_swizzle_b32 v3, v2 offset:swizzle(BROADCAST,32,15)
	s_waitcnt lgkmcnt(1)
	v_add_co_u32 v1, vcc_lo, v1, v4
	v_mov_b32_e32 v4, 0
	v_add_co_ci_u32_e32 v2, vcc_lo, 0, v2, vcc_lo
	ds_bpermute_b32 v1, v4, v1 offset:124
	s_waitcnt lgkmcnt(1)
	v_add_nc_u32_e32 v2, v3, v2
	v_mbcnt_lo_u32_b32 v3, -1, 0
	ds_bpermute_b32 v2, v4, v2 offset:124
	v_cmpx_eq_u32_e32 0, v3
	s_cbranch_execz .LBB301_161
; %bb.160:
	v_lshrrev_b32_e32 v4, 2, v0
	s_delay_alu instid0(VALU_DEP_1)
	v_and_b32_e32 v4, 56, v4
	s_waitcnt lgkmcnt(0)
	ds_store_b64 v4, v[1:2] offset:128
.LBB301_161:
	s_or_b32 exec_lo, exec_lo, s3
	s_delay_alu instid0(SALU_CYCLE_1)
	s_mov_b32 s3, exec_lo
	s_waitcnt lgkmcnt(0)
	s_barrier
	buffer_gl0_inv
	v_cmpx_gt_u32_e32 32, v0
	s_cbranch_execz .LBB301_163
; %bb.162:
	v_and_b32_e32 v4, 7, v3
	s_delay_alu instid0(VALU_DEP_1) | instskip(SKIP_4) | instid1(VALU_DEP_2)
	v_lshlrev_b32_e32 v1, 3, v4
	v_cmp_ne_u32_e32 vcc_lo, 7, v4
	ds_load_b64 v[1:2], v1 offset:128
	v_add_co_ci_u32_e32 v5, vcc_lo, 0, v3, vcc_lo
	v_cmp_gt_u32_e32 vcc_lo, 6, v4
	v_lshlrev_b32_e32 v5, 2, v5
	v_cndmask_b32_e64 v7, 0, 1, vcc_lo
	s_delay_alu instid0(VALU_DEP_1) | instskip(NEXT) | instid1(VALU_DEP_1)
	v_lshlrev_b32_e32 v7, 1, v7
	v_add_lshl_u32 v7, v7, v3, 2
	s_waitcnt lgkmcnt(0)
	ds_bpermute_b32 v6, v5, v1
	ds_bpermute_b32 v5, v5, v2
	s_waitcnt lgkmcnt(1)
	v_add_co_u32 v1, vcc_lo, v1, v6
	v_add_co_ci_u32_e32 v2, vcc_lo, 0, v2, vcc_lo
	ds_bpermute_b32 v6, v7, v1
	v_add_co_u32 v1, vcc_lo, 0, v1
	s_waitcnt lgkmcnt(1)
	v_add_co_ci_u32_e32 v2, vcc_lo, v5, v2, vcc_lo
	v_cmp_gt_u32_e32 vcc_lo, 4, v4
	ds_bpermute_b32 v5, v7, v2
	v_cndmask_b32_e64 v4, 0, 1, vcc_lo
	s_delay_alu instid0(VALU_DEP_1) | instskip(NEXT) | instid1(VALU_DEP_1)
	v_lshlrev_b32_e32 v4, 2, v4
	v_add_lshl_u32 v3, v4, v3, 2
	s_waitcnt lgkmcnt(1)
	v_add_co_u32 v1, vcc_lo, v1, v6
	v_add_co_ci_u32_e32 v2, vcc_lo, 0, v2, vcc_lo
	ds_bpermute_b32 v4, v3, v1
	v_add_co_u32 v1, vcc_lo, v1, 0
	s_waitcnt lgkmcnt(1)
	v_add_co_ci_u32_e32 v2, vcc_lo, v2, v5, vcc_lo
	ds_bpermute_b32 v3, v3, v2
	s_waitcnt lgkmcnt(1)
	v_add_co_u32 v1, vcc_lo, v1, v4
	v_add_co_ci_u32_e32 v2, vcc_lo, 0, v2, vcc_lo
	s_delay_alu instid0(VALU_DEP_2) | instskip(SKIP_1) | instid1(VALU_DEP_2)
	v_add_co_u32 v1, vcc_lo, v1, 0
	s_waitcnt lgkmcnt(0)
	v_add_co_ci_u32_e32 v2, vcc_lo, v2, v3, vcc_lo
.LBB301_163:
	s_or_b32 exec_lo, exec_lo, s3
.LBB301_164:
	v_cmp_eq_u32_e64 s0, 0, v0
	s_branch .LBB301_201
.LBB301_165:
                                        ; implicit-def: $vgpr1_vgpr2
	s_cbranch_execnz .LBB301_193
	s_branch .LBB301_201
.LBB301_166:
	s_branch .LBB301_201
.LBB301_167:
                                        ; implicit-def: $vgpr1_vgpr2
	s_cbranch_execz .LBB301_164
; %bb.168:
	s_sub_i32 s2, s18, s2
	s_mov_b32 s3, exec_lo
                                        ; implicit-def: $vgpr1_vgpr2_vgpr3_vgpr4
	v_cmpx_gt_u32_e64 s2, v0
	s_cbranch_execz .LBB301_170
; %bb.169:
	v_lshlrev_b32_e32 v1, 3, v0
	global_load_b64 v[1:2], v1, s[0:1]
.LBB301_170:
	s_or_b32 exec_lo, exec_lo, s3
	s_waitcnt lgkmcnt(1)
	v_or_b32_e32 v5, 0x100, v0
	s_delay_alu instid0(VALU_DEP_1)
	v_cmp_gt_u32_e32 vcc_lo, s2, v5
	s_and_saveexec_b32 s3, vcc_lo
	s_cbranch_execz .LBB301_172
; %bb.171:
	s_waitcnt lgkmcnt(0)
	v_lshlrev_b32_e32 v3, 3, v0
	global_load_b64 v[3:4], v3, s[0:1] offset:2048
.LBB301_172:
	s_or_b32 exec_lo, exec_lo, s3
	v_mbcnt_lo_u32_b32 v5, -1, 0
	s_waitcnt vmcnt(0) lgkmcnt(0)
	v_dual_cndmask_b32 v3, 0, v3 :: v_dual_cndmask_b32 v4, 0, v4
	s_delay_alu instid0(VALU_DEP_2) | instskip(NEXT) | instid1(VALU_DEP_2)
	v_cmp_ne_u32_e64 s0, 31, v5
	v_add_co_u32 v1, vcc_lo, v3, v1
	s_delay_alu instid0(VALU_DEP_3) | instskip(NEXT) | instid1(VALU_DEP_3)
	v_add_co_ci_u32_e32 v2, vcc_lo, v4, v2, vcc_lo
	v_add_co_ci_u32_e64 v6, s0, 0, v5, s0
	v_and_b32_e32 v3, 0xe0, v0
	s_min_u32 s0, s2, 0x100
	v_add_nc_u32_e32 v4, 1, v5
	s_delay_alu instid0(VALU_DEP_3) | instskip(NEXT) | instid1(VALU_DEP_3)
	v_lshlrev_b32_e32 v6, 2, v6
	v_sub_nc_u32_e64 v3, s0, v3 clamp
	ds_bpermute_b32 v7, v6, v1
	ds_bpermute_b32 v6, v6, v2
	v_cmp_lt_u32_e32 vcc_lo, v4, v3
	v_mov_b32_e32 v4, v1
	s_and_saveexec_b32 s1, vcc_lo
	s_cbranch_execz .LBB301_174
; %bb.173:
	s_waitcnt lgkmcnt(1)
	v_add_co_u32 v4, vcc_lo, v1, v7
	v_add_co_ci_u32_e32 v2, vcc_lo, 0, v2, vcc_lo
	s_delay_alu instid0(VALU_DEP_2) | instskip(SKIP_1) | instid1(VALU_DEP_2)
	v_add_co_u32 v1, vcc_lo, 0, v4
	s_waitcnt lgkmcnt(0)
	v_add_co_ci_u32_e32 v2, vcc_lo, v6, v2, vcc_lo
.LBB301_174:
	s_or_b32 exec_lo, exec_lo, s1
	v_cmp_gt_u32_e32 vcc_lo, 30, v5
	v_add_nc_u32_e32 v8, 2, v5
	s_mov_b32 s1, exec_lo
	s_waitcnt lgkmcnt(0)
	v_cndmask_b32_e64 v6, 0, 1, vcc_lo
	s_delay_alu instid0(VALU_DEP_1) | instskip(NEXT) | instid1(VALU_DEP_1)
	v_lshlrev_b32_e32 v6, 1, v6
	v_add_lshl_u32 v6, v6, v5, 2
	ds_bpermute_b32 v7, v6, v4
	ds_bpermute_b32 v6, v6, v2
	v_cmpx_lt_u32_e64 v8, v3
	s_cbranch_execz .LBB301_176
; %bb.175:
	s_waitcnt lgkmcnt(1)
	v_add_co_u32 v4, vcc_lo, v1, v7
	v_add_co_ci_u32_e32 v2, vcc_lo, 0, v2, vcc_lo
	s_delay_alu instid0(VALU_DEP_2) | instskip(SKIP_1) | instid1(VALU_DEP_2)
	v_add_co_u32 v1, vcc_lo, 0, v4
	s_waitcnt lgkmcnt(0)
	v_add_co_ci_u32_e32 v2, vcc_lo, v6, v2, vcc_lo
.LBB301_176:
	s_or_b32 exec_lo, exec_lo, s1
	v_cmp_gt_u32_e32 vcc_lo, 28, v5
	v_add_nc_u32_e32 v8, 4, v5
	s_mov_b32 s1, exec_lo
	s_waitcnt lgkmcnt(0)
	v_cndmask_b32_e64 v6, 0, 1, vcc_lo
	s_delay_alu instid0(VALU_DEP_1) | instskip(NEXT) | instid1(VALU_DEP_1)
	v_lshlrev_b32_e32 v6, 2, v6
	v_add_lshl_u32 v6, v6, v5, 2
	ds_bpermute_b32 v7, v6, v4
	ds_bpermute_b32 v6, v6, v2
	v_cmpx_lt_u32_e64 v8, v3
	;; [unrolled: 22-line block ×3, first 2 shown]
	s_cbranch_execz .LBB301_180
; %bb.179:
	s_waitcnt lgkmcnt(1)
	v_add_co_u32 v4, vcc_lo, v1, v7
	v_add_co_ci_u32_e32 v2, vcc_lo, 0, v2, vcc_lo
	s_delay_alu instid0(VALU_DEP_2) | instskip(SKIP_1) | instid1(VALU_DEP_2)
	v_add_co_u32 v1, vcc_lo, 0, v4
	s_waitcnt lgkmcnt(0)
	v_add_co_ci_u32_e32 v2, vcc_lo, v6, v2, vcc_lo
.LBB301_180:
	s_or_b32 exec_lo, exec_lo, s1
	v_cmp_gt_u32_e32 vcc_lo, 16, v5
	s_mov_b32 s1, exec_lo
	s_waitcnt lgkmcnt(0)
	v_cndmask_b32_e64 v6, 0, 1, vcc_lo
	s_delay_alu instid0(VALU_DEP_1) | instskip(NEXT) | instid1(VALU_DEP_1)
	v_lshlrev_b32_e32 v6, 4, v6
	v_add_lshl_u32 v7, v6, v5, 2
	ds_bpermute_b32 v6, v7, v4
	ds_bpermute_b32 v4, v7, v2
	v_add_nc_u32_e32 v7, 16, v5
	s_delay_alu instid0(VALU_DEP_1)
	v_cmpx_lt_u32_e64 v7, v3
	s_cbranch_execz .LBB301_182
; %bb.181:
	s_waitcnt lgkmcnt(1)
	v_add_co_u32 v1, vcc_lo, v1, v6
	v_add_co_ci_u32_e32 v2, vcc_lo, 0, v2, vcc_lo
	s_delay_alu instid0(VALU_DEP_2) | instskip(SKIP_1) | instid1(VALU_DEP_2)
	v_add_co_u32 v1, vcc_lo, v1, 0
	s_waitcnt lgkmcnt(0)
	v_add_co_ci_u32_e32 v2, vcc_lo, v2, v4, vcc_lo
.LBB301_182:
	s_or_b32 exec_lo, exec_lo, s1
	s_delay_alu instid0(SALU_CYCLE_1)
	s_mov_b32 s1, exec_lo
	v_cmpx_eq_u32_e32 0, v5
	s_cbranch_execz .LBB301_184
; %bb.183:
	v_lshrrev_b32_e32 v3, 2, v0
	s_delay_alu instid0(VALU_DEP_1)
	v_and_b32_e32 v3, 56, v3
	ds_store_b64 v3, v[1:2] offset:320
.LBB301_184:
	s_or_b32 exec_lo, exec_lo, s1
	s_delay_alu instid0(SALU_CYCLE_1)
	s_mov_b32 s1, exec_lo
	s_waitcnt lgkmcnt(0)
	s_barrier
	buffer_gl0_inv
	v_cmpx_gt_u32_e32 8, v0
	s_cbranch_execz .LBB301_192
; %bb.185:
	v_lshlrev_b32_e32 v1, 3, v5
	s_add_i32 s0, s0, 31
	s_delay_alu instid0(SALU_CYCLE_1) | instskip(SKIP_2) | instid1(VALU_DEP_1)
	s_lshr_b32 s0, s0, 5
	ds_load_b64 v[1:2], v1 offset:320
	v_and_b32_e32 v3, 7, v5
	v_cmp_ne_u32_e32 vcc_lo, 7, v3
	v_add_co_ci_u32_e32 v4, vcc_lo, 0, v5, vcc_lo
	s_delay_alu instid0(VALU_DEP_1) | instskip(SKIP_4) | instid1(VALU_DEP_1)
	v_lshlrev_b32_e32 v4, 2, v4
	s_waitcnt lgkmcnt(0)
	ds_bpermute_b32 v7, v4, v1
	ds_bpermute_b32 v6, v4, v2
	v_add_nc_u32_e32 v4, 1, v3
	v_cmp_gt_u32_e32 vcc_lo, s0, v4
	v_mov_b32_e32 v4, v1
	s_and_saveexec_b32 s2, vcc_lo
	s_cbranch_execz .LBB301_187
; %bb.186:
	s_waitcnt lgkmcnt(1)
	v_add_co_u32 v4, vcc_lo, v1, v7
	v_add_co_ci_u32_e32 v2, vcc_lo, 0, v2, vcc_lo
	s_delay_alu instid0(VALU_DEP_2) | instskip(SKIP_1) | instid1(VALU_DEP_2)
	v_add_co_u32 v1, vcc_lo, 0, v4
	s_waitcnt lgkmcnt(0)
	v_add_co_ci_u32_e32 v2, vcc_lo, v6, v2, vcc_lo
.LBB301_187:
	s_or_b32 exec_lo, exec_lo, s2
	v_cmp_gt_u32_e32 vcc_lo, 6, v3
	v_add_nc_u32_e32 v8, 2, v3
	s_mov_b32 s2, exec_lo
	s_waitcnt lgkmcnt(0)
	v_cndmask_b32_e64 v6, 0, 1, vcc_lo
	s_delay_alu instid0(VALU_DEP_1) | instskip(NEXT) | instid1(VALU_DEP_1)
	v_lshlrev_b32_e32 v6, 1, v6
	v_add_lshl_u32 v6, v6, v5, 2
	ds_bpermute_b32 v7, v6, v4
	ds_bpermute_b32 v6, v6, v2
	v_cmpx_gt_u32_e64 s0, v8
	s_cbranch_execz .LBB301_189
; %bb.188:
	s_waitcnt lgkmcnt(1)
	v_add_co_u32 v4, vcc_lo, v1, v7
	v_add_co_ci_u32_e32 v2, vcc_lo, 0, v2, vcc_lo
	s_delay_alu instid0(VALU_DEP_2) | instskip(SKIP_1) | instid1(VALU_DEP_2)
	v_add_co_u32 v1, vcc_lo, 0, v4
	s_waitcnt lgkmcnt(0)
	v_add_co_ci_u32_e32 v2, vcc_lo, v6, v2, vcc_lo
.LBB301_189:
	s_or_b32 exec_lo, exec_lo, s2
	v_cmp_gt_u32_e32 vcc_lo, 4, v3
	v_add_nc_u32_e32 v3, 4, v3
	s_waitcnt lgkmcnt(0)
	v_cndmask_b32_e64 v6, 0, 1, vcc_lo
	s_delay_alu instid0(VALU_DEP_2) | instskip(NEXT) | instid1(VALU_DEP_2)
	v_cmp_gt_u32_e32 vcc_lo, s0, v3
	v_lshlrev_b32_e32 v6, 2, v6
	s_delay_alu instid0(VALU_DEP_1)
	v_add_lshl_u32 v6, v6, v5, 2
	ds_bpermute_b32 v5, v6, v4
	ds_bpermute_b32 v4, v6, v2
	s_and_saveexec_b32 s0, vcc_lo
	s_cbranch_execz .LBB301_191
; %bb.190:
	s_waitcnt lgkmcnt(1)
	v_add_co_u32 v1, vcc_lo, v1, v5
	v_add_co_ci_u32_e32 v2, vcc_lo, 0, v2, vcc_lo
	s_delay_alu instid0(VALU_DEP_2) | instskip(SKIP_1) | instid1(VALU_DEP_2)
	v_add_co_u32 v1, vcc_lo, v1, 0
	s_waitcnt lgkmcnt(0)
	v_add_co_ci_u32_e32 v2, vcc_lo, v2, v4, vcc_lo
.LBB301_191:
	s_or_b32 exec_lo, exec_lo, s0
.LBB301_192:
	s_delay_alu instid0(SALU_CYCLE_1)
	s_or_b32 exec_lo, exec_lo, s1
	v_cmp_eq_u32_e64 s0, 0, v0
	s_branch .LBB301_201
.LBB301_193:
	s_cmp_eq_u32 s26, 1
                                        ; implicit-def: $vgpr1_vgpr2
	s_cbranch_scc0 .LBB301_201
; %bb.194:
	s_mov_b32 s1, 0
	s_waitcnt lgkmcnt(0)
	v_mbcnt_lo_u32_b32 v3, -1, 0
	s_lshr_b64 s[2:3], s[18:19], 8
	s_mov_b32 s15, s1
	s_lshl_b32 s0, s14, 8
	s_cmp_lg_u64 s[2:3], s[14:15]
	s_cbranch_scc0 .LBB301_204
; %bb.195:
	s_lshl_b64 s[2:3], s[0:1], 3
	v_lshlrev_b32_e32 v1, 3, v0
	s_add_u32 s2, s16, s2
	s_addc_u32 s3, s17, s3
	global_load_b64 v[1:2], v1, s[2:3]
	s_mov_b32 s2, exec_lo
	s_waitcnt vmcnt(0)
	v_mov_b32_dpp v4, v1 quad_perm:[1,0,3,2] row_mask:0xf bank_mask:0xf
	s_delay_alu instid0(VALU_DEP_1) | instskip(SKIP_2) | instid1(VALU_DEP_3)
	v_add_co_u32 v1, vcc_lo, v1, v4
	v_mov_b32_dpp v4, v2 quad_perm:[1,0,3,2] row_mask:0xf bank_mask:0xf
	v_add_co_ci_u32_e32 v2, vcc_lo, 0, v2, vcc_lo
	v_mov_b32_dpp v5, v1 quad_perm:[2,3,0,1] row_mask:0xf bank_mask:0xf
	v_add_co_u32 v1, vcc_lo, 0, v1
	s_delay_alu instid0(VALU_DEP_3) | instskip(NEXT) | instid1(VALU_DEP_2)
	v_add_co_ci_u32_e32 v2, vcc_lo, v4, v2, vcc_lo
	v_add_co_u32 v1, vcc_lo, v1, v5
	s_delay_alu instid0(VALU_DEP_2) | instskip(SKIP_1) | instid1(VALU_DEP_3)
	v_mov_b32_dpp v4, v2 quad_perm:[2,3,0,1] row_mask:0xf bank_mask:0xf
	v_add_co_ci_u32_e32 v2, vcc_lo, 0, v2, vcc_lo
	v_mov_b32_dpp v5, v1 row_ror:4 row_mask:0xf bank_mask:0xf
	v_add_co_u32 v1, vcc_lo, v1, 0
	s_delay_alu instid0(VALU_DEP_3) | instskip(NEXT) | instid1(VALU_DEP_2)
	v_add_co_ci_u32_e32 v2, vcc_lo, v2, v4, vcc_lo
	v_add_co_u32 v1, vcc_lo, v1, v5
	s_delay_alu instid0(VALU_DEP_2) | instskip(SKIP_1) | instid1(VALU_DEP_3)
	v_mov_b32_dpp v4, v2 row_ror:4 row_mask:0xf bank_mask:0xf
	v_add_co_ci_u32_e32 v2, vcc_lo, 0, v2, vcc_lo
	v_mov_b32_dpp v5, v1 row_ror:8 row_mask:0xf bank_mask:0xf
	v_add_co_u32 v1, vcc_lo, v1, 0
	s_delay_alu instid0(VALU_DEP_3) | instskip(NEXT) | instid1(VALU_DEP_2)
	v_add_co_ci_u32_e32 v2, vcc_lo, v2, v4, vcc_lo
	v_add_co_u32 v1, vcc_lo, v1, v5
	s_delay_alu instid0(VALU_DEP_2)
	v_mov_b32_dpp v4, v2 row_ror:8 row_mask:0xf bank_mask:0xf
	v_add_co_ci_u32_e32 v2, vcc_lo, 0, v2, vcc_lo
	ds_swizzle_b32 v5, v1 offset:swizzle(BROADCAST,32,15)
	v_add_co_u32 v1, vcc_lo, v1, 0
	v_add_co_ci_u32_e32 v2, vcc_lo, v2, v4, vcc_lo
	ds_swizzle_b32 v4, v2 offset:swizzle(BROADCAST,32,15)
	s_waitcnt lgkmcnt(1)
	v_add_co_u32 v1, vcc_lo, v1, v5
	v_add_co_ci_u32_e32 v2, vcc_lo, 0, v2, vcc_lo
	s_waitcnt lgkmcnt(0)
	s_delay_alu instid0(VALU_DEP_1)
	v_dual_mov_b32 v5, 0 :: v_dual_add_nc_u32 v2, v4, v2
	ds_bpermute_b32 v1, v5, v1 offset:124
	ds_bpermute_b32 v2, v5, v2 offset:124
	v_cmpx_eq_u32_e32 0, v3
	s_cbranch_execz .LBB301_197
; %bb.196:
	v_lshrrev_b32_e32 v4, 2, v0
	s_delay_alu instid0(VALU_DEP_1)
	v_and_b32_e32 v4, 56, v4
	s_waitcnt lgkmcnt(0)
	ds_store_b64 v4, v[1:2] offset:64
.LBB301_197:
	s_or_b32 exec_lo, exec_lo, s2
	s_delay_alu instid0(SALU_CYCLE_1)
	s_mov_b32 s2, exec_lo
	s_waitcnt lgkmcnt(0)
	s_barrier
	buffer_gl0_inv
	v_cmpx_gt_u32_e32 32, v0
	s_cbranch_execz .LBB301_199
; %bb.198:
	v_and_b32_e32 v4, 7, v3
	s_delay_alu instid0(VALU_DEP_1) | instskip(SKIP_4) | instid1(VALU_DEP_2)
	v_lshlrev_b32_e32 v1, 3, v4
	v_cmp_ne_u32_e32 vcc_lo, 7, v4
	ds_load_b64 v[1:2], v1 offset:64
	v_add_co_ci_u32_e32 v5, vcc_lo, 0, v3, vcc_lo
	v_cmp_gt_u32_e32 vcc_lo, 6, v4
	v_lshlrev_b32_e32 v5, 2, v5
	v_cndmask_b32_e64 v7, 0, 1, vcc_lo
	s_delay_alu instid0(VALU_DEP_1) | instskip(NEXT) | instid1(VALU_DEP_1)
	v_lshlrev_b32_e32 v7, 1, v7
	v_add_lshl_u32 v7, v7, v3, 2
	s_waitcnt lgkmcnt(0)
	ds_bpermute_b32 v6, v5, v1
	ds_bpermute_b32 v5, v5, v2
	s_waitcnt lgkmcnt(1)
	v_add_co_u32 v1, vcc_lo, v1, v6
	v_add_co_ci_u32_e32 v2, vcc_lo, 0, v2, vcc_lo
	ds_bpermute_b32 v6, v7, v1
	v_add_co_u32 v1, vcc_lo, 0, v1
	s_waitcnt lgkmcnt(1)
	v_add_co_ci_u32_e32 v2, vcc_lo, v5, v2, vcc_lo
	v_cmp_gt_u32_e32 vcc_lo, 4, v4
	ds_bpermute_b32 v5, v7, v2
	v_cndmask_b32_e64 v4, 0, 1, vcc_lo
	s_delay_alu instid0(VALU_DEP_1) | instskip(NEXT) | instid1(VALU_DEP_1)
	v_lshlrev_b32_e32 v4, 2, v4
	v_add_lshl_u32 v4, v4, v3, 2
	s_waitcnt lgkmcnt(1)
	v_add_co_u32 v1, vcc_lo, v1, v6
	v_add_co_ci_u32_e32 v2, vcc_lo, 0, v2, vcc_lo
	ds_bpermute_b32 v6, v4, v1
	v_add_co_u32 v1, vcc_lo, v1, 0
	s_waitcnt lgkmcnt(1)
	v_add_co_ci_u32_e32 v2, vcc_lo, v2, v5, vcc_lo
	ds_bpermute_b32 v4, v4, v2
	s_waitcnt lgkmcnt(1)
	v_add_co_u32 v1, vcc_lo, v1, v6
	v_add_co_ci_u32_e32 v2, vcc_lo, 0, v2, vcc_lo
	s_delay_alu instid0(VALU_DEP_2) | instskip(SKIP_1) | instid1(VALU_DEP_2)
	v_add_co_u32 v1, vcc_lo, v1, 0
	s_waitcnt lgkmcnt(0)
	v_add_co_ci_u32_e32 v2, vcc_lo, v2, v4, vcc_lo
.LBB301_199:
	s_or_b32 exec_lo, exec_lo, s2
.LBB301_200:
	v_cmp_eq_u32_e64 s0, 0, v0
.LBB301_201:
	s_delay_alu instid0(VALU_DEP_1)
	s_and_saveexec_b32 s1, s0
	s_cbranch_execz .LBB301_203
.LBB301_202:
	s_lshl_b64 s[0:1], s[14:15], 3
	s_waitcnt lgkmcnt(0)
	v_mov_b32_e32 v3, 0
	s_add_u32 s0, s20, s0
	s_addc_u32 s1, s21, s1
	s_cmp_lg_u64 s[18:19], 0
	s_cselect_b32 vcc_lo, -1, 0
	v_cndmask_b32_e32 v0, 0, v1, vcc_lo
	v_cndmask_b32_e32 v2, 0, v2, vcc_lo
	s_delay_alu instid0(VALU_DEP_2) | instskip(NEXT) | instid1(VALU_DEP_2)
	v_add_co_u32 v0, vcc_lo, v0, s22
	v_add_co_ci_u32_e32 v1, vcc_lo, s23, v2, vcc_lo
	global_store_b64 v3, v[0:1], s[0:1]
.LBB301_203:
	s_nop 0
	s_sendmsg sendmsg(MSG_DEALLOC_VGPRS)
	s_endpgm
.LBB301_204:
                                        ; implicit-def: $vgpr1_vgpr2
	s_cbranch_execz .LBB301_200
; %bb.205:
	s_sub_i32 s2, s18, s0
	s_mov_b32 s3, exec_lo
                                        ; implicit-def: $vgpr1_vgpr2
	v_cmpx_gt_u32_e64 s2, v0
	s_cbranch_execz .LBB301_207
; %bb.206:
	s_lshl_b64 s[0:1], s[0:1], 3
	v_lshlrev_b32_e32 v1, 3, v0
	s_add_u32 s0, s16, s0
	s_addc_u32 s1, s17, s1
	global_load_b64 v[1:2], v1, s[0:1]
.LBB301_207:
	s_or_b32 exec_lo, exec_lo, s3
	v_cmp_ne_u32_e32 vcc_lo, 31, v3
	s_min_u32 s0, s2, 0x100
	v_add_nc_u32_e32 v5, 1, v3
	v_add_co_ci_u32_e32 v4, vcc_lo, 0, v3, vcc_lo
	s_delay_alu instid0(VALU_DEP_1) | instskip(SKIP_4) | instid1(VALU_DEP_1)
	v_lshlrev_b32_e32 v4, 2, v4
	s_waitcnt vmcnt(0)
	ds_bpermute_b32 v7, v4, v1
	ds_bpermute_b32 v6, v4, v2
	v_and_b32_e32 v4, 0xe0, v0
	v_sub_nc_u32_e64 v4, s0, v4 clamp
	s_delay_alu instid0(VALU_DEP_1)
	v_cmp_lt_u32_e32 vcc_lo, v5, v4
	v_mov_b32_e32 v5, v1
	s_and_saveexec_b32 s1, vcc_lo
	s_cbranch_execz .LBB301_209
; %bb.208:
	s_waitcnt lgkmcnt(1)
	v_add_co_u32 v5, vcc_lo, v1, v7
	v_add_co_ci_u32_e32 v2, vcc_lo, 0, v2, vcc_lo
	s_delay_alu instid0(VALU_DEP_2) | instskip(SKIP_1) | instid1(VALU_DEP_2)
	v_add_co_u32 v1, vcc_lo, 0, v5
	s_waitcnt lgkmcnt(0)
	v_add_co_ci_u32_e32 v2, vcc_lo, v6, v2, vcc_lo
.LBB301_209:
	s_or_b32 exec_lo, exec_lo, s1
	v_cmp_gt_u32_e32 vcc_lo, 30, v3
	v_add_nc_u32_e32 v8, 2, v3
	s_mov_b32 s1, exec_lo
	s_waitcnt lgkmcnt(0)
	v_cndmask_b32_e64 v6, 0, 1, vcc_lo
	s_delay_alu instid0(VALU_DEP_1) | instskip(NEXT) | instid1(VALU_DEP_1)
	v_lshlrev_b32_e32 v6, 1, v6
	v_add_lshl_u32 v6, v6, v3, 2
	ds_bpermute_b32 v7, v6, v5
	ds_bpermute_b32 v6, v6, v2
	v_cmpx_lt_u32_e64 v8, v4
	s_cbranch_execz .LBB301_211
; %bb.210:
	s_waitcnt lgkmcnt(1)
	v_add_co_u32 v5, vcc_lo, v1, v7
	v_add_co_ci_u32_e32 v2, vcc_lo, 0, v2, vcc_lo
	s_delay_alu instid0(VALU_DEP_2) | instskip(SKIP_1) | instid1(VALU_DEP_2)
	v_add_co_u32 v1, vcc_lo, 0, v5
	s_waitcnt lgkmcnt(0)
	v_add_co_ci_u32_e32 v2, vcc_lo, v6, v2, vcc_lo
.LBB301_211:
	s_or_b32 exec_lo, exec_lo, s1
	v_cmp_gt_u32_e32 vcc_lo, 28, v3
	v_add_nc_u32_e32 v8, 4, v3
	s_mov_b32 s1, exec_lo
	s_waitcnt lgkmcnt(0)
	v_cndmask_b32_e64 v6, 0, 1, vcc_lo
	s_delay_alu instid0(VALU_DEP_1) | instskip(NEXT) | instid1(VALU_DEP_1)
	v_lshlrev_b32_e32 v6, 2, v6
	v_add_lshl_u32 v6, v6, v3, 2
	ds_bpermute_b32 v7, v6, v5
	ds_bpermute_b32 v6, v6, v2
	v_cmpx_lt_u32_e64 v8, v4
	;; [unrolled: 22-line block ×3, first 2 shown]
	s_cbranch_execz .LBB301_215
; %bb.214:
	s_waitcnt lgkmcnt(1)
	v_add_co_u32 v5, vcc_lo, v1, v7
	v_add_co_ci_u32_e32 v2, vcc_lo, 0, v2, vcc_lo
	s_delay_alu instid0(VALU_DEP_2) | instskip(SKIP_1) | instid1(VALU_DEP_2)
	v_add_co_u32 v1, vcc_lo, 0, v5
	s_waitcnt lgkmcnt(0)
	v_add_co_ci_u32_e32 v2, vcc_lo, v6, v2, vcc_lo
.LBB301_215:
	s_or_b32 exec_lo, exec_lo, s1
	v_cmp_gt_u32_e32 vcc_lo, 16, v3
	s_mov_b32 s1, exec_lo
	s_waitcnt lgkmcnt(0)
	v_cndmask_b32_e64 v6, 0, 1, vcc_lo
	s_delay_alu instid0(VALU_DEP_1) | instskip(NEXT) | instid1(VALU_DEP_1)
	v_lshlrev_b32_e32 v6, 4, v6
	v_add_lshl_u32 v7, v6, v3, 2
	ds_bpermute_b32 v6, v7, v5
	ds_bpermute_b32 v5, v7, v2
	v_add_nc_u32_e32 v7, 16, v3
	s_delay_alu instid0(VALU_DEP_1)
	v_cmpx_lt_u32_e64 v7, v4
	s_cbranch_execz .LBB301_217
; %bb.216:
	s_waitcnt lgkmcnt(1)
	v_add_co_u32 v1, vcc_lo, v1, v6
	v_add_co_ci_u32_e32 v2, vcc_lo, 0, v2, vcc_lo
	s_delay_alu instid0(VALU_DEP_2) | instskip(SKIP_1) | instid1(VALU_DEP_2)
	v_add_co_u32 v1, vcc_lo, v1, 0
	s_waitcnt lgkmcnt(0)
	v_add_co_ci_u32_e32 v2, vcc_lo, v2, v5, vcc_lo
.LBB301_217:
	s_or_b32 exec_lo, exec_lo, s1
	s_delay_alu instid0(SALU_CYCLE_1)
	s_mov_b32 s1, exec_lo
	v_cmpx_eq_u32_e32 0, v3
	s_cbranch_execz .LBB301_219
; %bb.218:
	v_lshrrev_b32_e32 v4, 2, v0
	s_delay_alu instid0(VALU_DEP_1)
	v_and_b32_e32 v4, 56, v4
	ds_store_b64 v4, v[1:2] offset:320
.LBB301_219:
	s_or_b32 exec_lo, exec_lo, s1
	s_delay_alu instid0(SALU_CYCLE_1)
	s_mov_b32 s1, exec_lo
	s_waitcnt lgkmcnt(0)
	s_barrier
	buffer_gl0_inv
	v_cmpx_gt_u32_e32 8, v0
	s_cbranch_execz .LBB301_227
; %bb.220:
	v_lshlrev_b32_e32 v1, 3, v3
	s_add_i32 s0, s0, 31
	s_delay_alu instid0(SALU_CYCLE_1) | instskip(SKIP_2) | instid1(VALU_DEP_1)
	s_lshr_b32 s0, s0, 5
	ds_load_b64 v[1:2], v1 offset:320
	v_and_b32_e32 v4, 7, v3
	v_cmp_ne_u32_e32 vcc_lo, 7, v4
	v_add_co_ci_u32_e32 v5, vcc_lo, 0, v3, vcc_lo
	s_delay_alu instid0(VALU_DEP_1) | instskip(SKIP_4) | instid1(VALU_DEP_1)
	v_lshlrev_b32_e32 v5, 2, v5
	s_waitcnt lgkmcnt(0)
	ds_bpermute_b32 v7, v5, v1
	ds_bpermute_b32 v6, v5, v2
	v_add_nc_u32_e32 v5, 1, v4
	v_cmp_gt_u32_e32 vcc_lo, s0, v5
	v_mov_b32_e32 v5, v1
	s_and_saveexec_b32 s2, vcc_lo
	s_cbranch_execz .LBB301_222
; %bb.221:
	s_waitcnt lgkmcnt(1)
	v_add_co_u32 v5, vcc_lo, v1, v7
	v_add_co_ci_u32_e32 v2, vcc_lo, 0, v2, vcc_lo
	s_delay_alu instid0(VALU_DEP_2) | instskip(SKIP_1) | instid1(VALU_DEP_2)
	v_add_co_u32 v1, vcc_lo, 0, v5
	s_waitcnt lgkmcnt(0)
	v_add_co_ci_u32_e32 v2, vcc_lo, v6, v2, vcc_lo
.LBB301_222:
	s_or_b32 exec_lo, exec_lo, s2
	v_cmp_gt_u32_e32 vcc_lo, 6, v4
	v_add_nc_u32_e32 v8, 2, v4
	s_mov_b32 s2, exec_lo
	s_waitcnt lgkmcnt(0)
	v_cndmask_b32_e64 v6, 0, 1, vcc_lo
	s_delay_alu instid0(VALU_DEP_1) | instskip(NEXT) | instid1(VALU_DEP_1)
	v_lshlrev_b32_e32 v6, 1, v6
	v_add_lshl_u32 v6, v6, v3, 2
	ds_bpermute_b32 v7, v6, v5
	ds_bpermute_b32 v6, v6, v2
	v_cmpx_gt_u32_e64 s0, v8
	s_cbranch_execz .LBB301_224
; %bb.223:
	s_waitcnt lgkmcnt(1)
	v_add_co_u32 v5, vcc_lo, v1, v7
	v_add_co_ci_u32_e32 v2, vcc_lo, 0, v2, vcc_lo
	s_delay_alu instid0(VALU_DEP_2) | instskip(SKIP_1) | instid1(VALU_DEP_2)
	v_add_co_u32 v1, vcc_lo, 0, v5
	s_waitcnt lgkmcnt(0)
	v_add_co_ci_u32_e32 v2, vcc_lo, v6, v2, vcc_lo
.LBB301_224:
	s_or_b32 exec_lo, exec_lo, s2
	v_cmp_gt_u32_e32 vcc_lo, 4, v4
	v_add_nc_u32_e32 v4, 4, v4
	s_waitcnt lgkmcnt(0)
	v_cndmask_b32_e64 v6, 0, 1, vcc_lo
	s_delay_alu instid0(VALU_DEP_2) | instskip(NEXT) | instid1(VALU_DEP_2)
	v_cmp_gt_u32_e32 vcc_lo, s0, v4
	v_lshlrev_b32_e32 v6, 2, v6
	s_delay_alu instid0(VALU_DEP_1)
	v_add_lshl_u32 v3, v6, v3, 2
	ds_bpermute_b32 v5, v3, v5
	ds_bpermute_b32 v3, v3, v2
	s_and_saveexec_b32 s0, vcc_lo
	s_cbranch_execz .LBB301_226
; %bb.225:
	s_waitcnt lgkmcnt(1)
	v_add_co_u32 v1, vcc_lo, v1, v5
	v_add_co_ci_u32_e32 v2, vcc_lo, 0, v2, vcc_lo
	s_delay_alu instid0(VALU_DEP_2) | instskip(SKIP_1) | instid1(VALU_DEP_2)
	v_add_co_u32 v1, vcc_lo, v1, 0
	s_waitcnt lgkmcnt(0)
	v_add_co_ci_u32_e32 v2, vcc_lo, v2, v3, vcc_lo
.LBB301_226:
	s_or_b32 exec_lo, exec_lo, s0
.LBB301_227:
	s_delay_alu instid0(SALU_CYCLE_1) | instskip(SKIP_1) | instid1(VALU_DEP_1)
	s_or_b32 exec_lo, exec_lo, s1
	v_cmp_eq_u32_e64 s0, 0, v0
	s_and_saveexec_b32 s1, s0
	s_cbranch_execnz .LBB301_202
	s_branch .LBB301_203
	.section	.rodata,"a",@progbits
	.p2align	6, 0x0
	.amdhsa_kernel _ZN7rocprim17ROCPRIM_400000_NS6detail17trampoline_kernelINS0_14default_configENS1_22reduce_config_selectorIlEEZNS1_11reduce_implILb1ES3_PlS7_lN6hipcub16HIPCUB_304000_NS6detail34convert_binary_result_type_wrapperINS9_3SumENS9_22TransformInputIteratorIb7NonZeroIdEPdlEElEEEE10hipError_tPvRmT1_T2_T3_mT4_P12ihipStream_tbEUlT_E1_NS1_11comp_targetILNS1_3genE9ELNS1_11target_archE1100ELNS1_3gpuE3ELNS1_3repE0EEENS1_30default_config_static_selectorELNS0_4arch9wavefront6targetE0EEEvSM_
		.amdhsa_group_segment_fixed_size 384
		.amdhsa_private_segment_fixed_size 0
		.amdhsa_kernarg_size 48
		.amdhsa_user_sgpr_count 15
		.amdhsa_user_sgpr_dispatch_ptr 0
		.amdhsa_user_sgpr_queue_ptr 0
		.amdhsa_user_sgpr_kernarg_segment_ptr 1
		.amdhsa_user_sgpr_dispatch_id 0
		.amdhsa_user_sgpr_private_segment_size 0
		.amdhsa_wavefront_size32 1
		.amdhsa_uses_dynamic_stack 0
		.amdhsa_enable_private_segment 0
		.amdhsa_system_sgpr_workgroup_id_x 1
		.amdhsa_system_sgpr_workgroup_id_y 0
		.amdhsa_system_sgpr_workgroup_id_z 0
		.amdhsa_system_sgpr_workgroup_info 0
		.amdhsa_system_vgpr_workitem_id 0
		.amdhsa_next_free_vgpr 34
		.amdhsa_next_free_sgpr 30
		.amdhsa_reserve_vcc 1
		.amdhsa_float_round_mode_32 0
		.amdhsa_float_round_mode_16_64 0
		.amdhsa_float_denorm_mode_32 3
		.amdhsa_float_denorm_mode_16_64 3
		.amdhsa_dx10_clamp 1
		.amdhsa_ieee_mode 1
		.amdhsa_fp16_overflow 0
		.amdhsa_workgroup_processor_mode 1
		.amdhsa_memory_ordered 1
		.amdhsa_forward_progress 0
		.amdhsa_shared_vgpr_count 0
		.amdhsa_exception_fp_ieee_invalid_op 0
		.amdhsa_exception_fp_denorm_src 0
		.amdhsa_exception_fp_ieee_div_zero 0
		.amdhsa_exception_fp_ieee_overflow 0
		.amdhsa_exception_fp_ieee_underflow 0
		.amdhsa_exception_fp_ieee_inexact 0
		.amdhsa_exception_int_div_zero 0
	.end_amdhsa_kernel
	.section	.text._ZN7rocprim17ROCPRIM_400000_NS6detail17trampoline_kernelINS0_14default_configENS1_22reduce_config_selectorIlEEZNS1_11reduce_implILb1ES3_PlS7_lN6hipcub16HIPCUB_304000_NS6detail34convert_binary_result_type_wrapperINS9_3SumENS9_22TransformInputIteratorIb7NonZeroIdEPdlEElEEEE10hipError_tPvRmT1_T2_T3_mT4_P12ihipStream_tbEUlT_E1_NS1_11comp_targetILNS1_3genE9ELNS1_11target_archE1100ELNS1_3gpuE3ELNS1_3repE0EEENS1_30default_config_static_selectorELNS0_4arch9wavefront6targetE0EEEvSM_,"axG",@progbits,_ZN7rocprim17ROCPRIM_400000_NS6detail17trampoline_kernelINS0_14default_configENS1_22reduce_config_selectorIlEEZNS1_11reduce_implILb1ES3_PlS7_lN6hipcub16HIPCUB_304000_NS6detail34convert_binary_result_type_wrapperINS9_3SumENS9_22TransformInputIteratorIb7NonZeroIdEPdlEElEEEE10hipError_tPvRmT1_T2_T3_mT4_P12ihipStream_tbEUlT_E1_NS1_11comp_targetILNS1_3genE9ELNS1_11target_archE1100ELNS1_3gpuE3ELNS1_3repE0EEENS1_30default_config_static_selectorELNS0_4arch9wavefront6targetE0EEEvSM_,comdat
.Lfunc_end301:
	.size	_ZN7rocprim17ROCPRIM_400000_NS6detail17trampoline_kernelINS0_14default_configENS1_22reduce_config_selectorIlEEZNS1_11reduce_implILb1ES3_PlS7_lN6hipcub16HIPCUB_304000_NS6detail34convert_binary_result_type_wrapperINS9_3SumENS9_22TransformInputIteratorIb7NonZeroIdEPdlEElEEEE10hipError_tPvRmT1_T2_T3_mT4_P12ihipStream_tbEUlT_E1_NS1_11comp_targetILNS1_3genE9ELNS1_11target_archE1100ELNS1_3gpuE3ELNS1_3repE0EEENS1_30default_config_static_selectorELNS0_4arch9wavefront6targetE0EEEvSM_, .Lfunc_end301-_ZN7rocprim17ROCPRIM_400000_NS6detail17trampoline_kernelINS0_14default_configENS1_22reduce_config_selectorIlEEZNS1_11reduce_implILb1ES3_PlS7_lN6hipcub16HIPCUB_304000_NS6detail34convert_binary_result_type_wrapperINS9_3SumENS9_22TransformInputIteratorIb7NonZeroIdEPdlEElEEEE10hipError_tPvRmT1_T2_T3_mT4_P12ihipStream_tbEUlT_E1_NS1_11comp_targetILNS1_3genE9ELNS1_11target_archE1100ELNS1_3gpuE3ELNS1_3repE0EEENS1_30default_config_static_selectorELNS0_4arch9wavefront6targetE0EEEvSM_
                                        ; -- End function
	.section	.AMDGPU.csdata,"",@progbits
; Kernel info:
; codeLenInByte = 11700
; NumSgprs: 32
; NumVgprs: 34
; ScratchSize: 0
; MemoryBound: 0
; FloatMode: 240
; IeeeMode: 1
; LDSByteSize: 384 bytes/workgroup (compile time only)
; SGPRBlocks: 3
; VGPRBlocks: 4
; NumSGPRsForWavesPerEU: 32
; NumVGPRsForWavesPerEU: 34
; Occupancy: 16
; WaveLimiterHint : 1
; COMPUTE_PGM_RSRC2:SCRATCH_EN: 0
; COMPUTE_PGM_RSRC2:USER_SGPR: 15
; COMPUTE_PGM_RSRC2:TRAP_HANDLER: 0
; COMPUTE_PGM_RSRC2:TGID_X_EN: 1
; COMPUTE_PGM_RSRC2:TGID_Y_EN: 0
; COMPUTE_PGM_RSRC2:TGID_Z_EN: 0
; COMPUTE_PGM_RSRC2:TIDIG_COMP_CNT: 0
	.section	.text._ZN7rocprim17ROCPRIM_400000_NS6detail17trampoline_kernelINS0_14default_configENS1_22reduce_config_selectorIlEEZNS1_11reduce_implILb1ES3_PlS7_lN6hipcub16HIPCUB_304000_NS6detail34convert_binary_result_type_wrapperINS9_3SumENS9_22TransformInputIteratorIb7NonZeroIdEPdlEElEEEE10hipError_tPvRmT1_T2_T3_mT4_P12ihipStream_tbEUlT_E1_NS1_11comp_targetILNS1_3genE8ELNS1_11target_archE1030ELNS1_3gpuE2ELNS1_3repE0EEENS1_30default_config_static_selectorELNS0_4arch9wavefront6targetE0EEEvSM_,"axG",@progbits,_ZN7rocprim17ROCPRIM_400000_NS6detail17trampoline_kernelINS0_14default_configENS1_22reduce_config_selectorIlEEZNS1_11reduce_implILb1ES3_PlS7_lN6hipcub16HIPCUB_304000_NS6detail34convert_binary_result_type_wrapperINS9_3SumENS9_22TransformInputIteratorIb7NonZeroIdEPdlEElEEEE10hipError_tPvRmT1_T2_T3_mT4_P12ihipStream_tbEUlT_E1_NS1_11comp_targetILNS1_3genE8ELNS1_11target_archE1030ELNS1_3gpuE2ELNS1_3repE0EEENS1_30default_config_static_selectorELNS0_4arch9wavefront6targetE0EEEvSM_,comdat
	.protected	_ZN7rocprim17ROCPRIM_400000_NS6detail17trampoline_kernelINS0_14default_configENS1_22reduce_config_selectorIlEEZNS1_11reduce_implILb1ES3_PlS7_lN6hipcub16HIPCUB_304000_NS6detail34convert_binary_result_type_wrapperINS9_3SumENS9_22TransformInputIteratorIb7NonZeroIdEPdlEElEEEE10hipError_tPvRmT1_T2_T3_mT4_P12ihipStream_tbEUlT_E1_NS1_11comp_targetILNS1_3genE8ELNS1_11target_archE1030ELNS1_3gpuE2ELNS1_3repE0EEENS1_30default_config_static_selectorELNS0_4arch9wavefront6targetE0EEEvSM_ ; -- Begin function _ZN7rocprim17ROCPRIM_400000_NS6detail17trampoline_kernelINS0_14default_configENS1_22reduce_config_selectorIlEEZNS1_11reduce_implILb1ES3_PlS7_lN6hipcub16HIPCUB_304000_NS6detail34convert_binary_result_type_wrapperINS9_3SumENS9_22TransformInputIteratorIb7NonZeroIdEPdlEElEEEE10hipError_tPvRmT1_T2_T3_mT4_P12ihipStream_tbEUlT_E1_NS1_11comp_targetILNS1_3genE8ELNS1_11target_archE1030ELNS1_3gpuE2ELNS1_3repE0EEENS1_30default_config_static_selectorELNS0_4arch9wavefront6targetE0EEEvSM_
	.globl	_ZN7rocprim17ROCPRIM_400000_NS6detail17trampoline_kernelINS0_14default_configENS1_22reduce_config_selectorIlEEZNS1_11reduce_implILb1ES3_PlS7_lN6hipcub16HIPCUB_304000_NS6detail34convert_binary_result_type_wrapperINS9_3SumENS9_22TransformInputIteratorIb7NonZeroIdEPdlEElEEEE10hipError_tPvRmT1_T2_T3_mT4_P12ihipStream_tbEUlT_E1_NS1_11comp_targetILNS1_3genE8ELNS1_11target_archE1030ELNS1_3gpuE2ELNS1_3repE0EEENS1_30default_config_static_selectorELNS0_4arch9wavefront6targetE0EEEvSM_
	.p2align	8
	.type	_ZN7rocprim17ROCPRIM_400000_NS6detail17trampoline_kernelINS0_14default_configENS1_22reduce_config_selectorIlEEZNS1_11reduce_implILb1ES3_PlS7_lN6hipcub16HIPCUB_304000_NS6detail34convert_binary_result_type_wrapperINS9_3SumENS9_22TransformInputIteratorIb7NonZeroIdEPdlEElEEEE10hipError_tPvRmT1_T2_T3_mT4_P12ihipStream_tbEUlT_E1_NS1_11comp_targetILNS1_3genE8ELNS1_11target_archE1030ELNS1_3gpuE2ELNS1_3repE0EEENS1_30default_config_static_selectorELNS0_4arch9wavefront6targetE0EEEvSM_,@function
_ZN7rocprim17ROCPRIM_400000_NS6detail17trampoline_kernelINS0_14default_configENS1_22reduce_config_selectorIlEEZNS1_11reduce_implILb1ES3_PlS7_lN6hipcub16HIPCUB_304000_NS6detail34convert_binary_result_type_wrapperINS9_3SumENS9_22TransformInputIteratorIb7NonZeroIdEPdlEElEEEE10hipError_tPvRmT1_T2_T3_mT4_P12ihipStream_tbEUlT_E1_NS1_11comp_targetILNS1_3genE8ELNS1_11target_archE1030ELNS1_3gpuE2ELNS1_3repE0EEENS1_30default_config_static_selectorELNS0_4arch9wavefront6targetE0EEEvSM_: ; @_ZN7rocprim17ROCPRIM_400000_NS6detail17trampoline_kernelINS0_14default_configENS1_22reduce_config_selectorIlEEZNS1_11reduce_implILb1ES3_PlS7_lN6hipcub16HIPCUB_304000_NS6detail34convert_binary_result_type_wrapperINS9_3SumENS9_22TransformInputIteratorIb7NonZeroIdEPdlEElEEEE10hipError_tPvRmT1_T2_T3_mT4_P12ihipStream_tbEUlT_E1_NS1_11comp_targetILNS1_3genE8ELNS1_11target_archE1030ELNS1_3gpuE2ELNS1_3repE0EEENS1_30default_config_static_selectorELNS0_4arch9wavefront6targetE0EEEvSM_
; %bb.0:
	.section	.rodata,"a",@progbits
	.p2align	6, 0x0
	.amdhsa_kernel _ZN7rocprim17ROCPRIM_400000_NS6detail17trampoline_kernelINS0_14default_configENS1_22reduce_config_selectorIlEEZNS1_11reduce_implILb1ES3_PlS7_lN6hipcub16HIPCUB_304000_NS6detail34convert_binary_result_type_wrapperINS9_3SumENS9_22TransformInputIteratorIb7NonZeroIdEPdlEElEEEE10hipError_tPvRmT1_T2_T3_mT4_P12ihipStream_tbEUlT_E1_NS1_11comp_targetILNS1_3genE8ELNS1_11target_archE1030ELNS1_3gpuE2ELNS1_3repE0EEENS1_30default_config_static_selectorELNS0_4arch9wavefront6targetE0EEEvSM_
		.amdhsa_group_segment_fixed_size 0
		.amdhsa_private_segment_fixed_size 0
		.amdhsa_kernarg_size 48
		.amdhsa_user_sgpr_count 15
		.amdhsa_user_sgpr_dispatch_ptr 0
		.amdhsa_user_sgpr_queue_ptr 0
		.amdhsa_user_sgpr_kernarg_segment_ptr 1
		.amdhsa_user_sgpr_dispatch_id 0
		.amdhsa_user_sgpr_private_segment_size 0
		.amdhsa_wavefront_size32 1
		.amdhsa_uses_dynamic_stack 0
		.amdhsa_enable_private_segment 0
		.amdhsa_system_sgpr_workgroup_id_x 1
		.amdhsa_system_sgpr_workgroup_id_y 0
		.amdhsa_system_sgpr_workgroup_id_z 0
		.amdhsa_system_sgpr_workgroup_info 0
		.amdhsa_system_vgpr_workitem_id 0
		.amdhsa_next_free_vgpr 1
		.amdhsa_next_free_sgpr 1
		.amdhsa_reserve_vcc 0
		.amdhsa_float_round_mode_32 0
		.amdhsa_float_round_mode_16_64 0
		.amdhsa_float_denorm_mode_32 3
		.amdhsa_float_denorm_mode_16_64 3
		.amdhsa_dx10_clamp 1
		.amdhsa_ieee_mode 1
		.amdhsa_fp16_overflow 0
		.amdhsa_workgroup_processor_mode 1
		.amdhsa_memory_ordered 1
		.amdhsa_forward_progress 0
		.amdhsa_shared_vgpr_count 0
		.amdhsa_exception_fp_ieee_invalid_op 0
		.amdhsa_exception_fp_denorm_src 0
		.amdhsa_exception_fp_ieee_div_zero 0
		.amdhsa_exception_fp_ieee_overflow 0
		.amdhsa_exception_fp_ieee_underflow 0
		.amdhsa_exception_fp_ieee_inexact 0
		.amdhsa_exception_int_div_zero 0
	.end_amdhsa_kernel
	.section	.text._ZN7rocprim17ROCPRIM_400000_NS6detail17trampoline_kernelINS0_14default_configENS1_22reduce_config_selectorIlEEZNS1_11reduce_implILb1ES3_PlS7_lN6hipcub16HIPCUB_304000_NS6detail34convert_binary_result_type_wrapperINS9_3SumENS9_22TransformInputIteratorIb7NonZeroIdEPdlEElEEEE10hipError_tPvRmT1_T2_T3_mT4_P12ihipStream_tbEUlT_E1_NS1_11comp_targetILNS1_3genE8ELNS1_11target_archE1030ELNS1_3gpuE2ELNS1_3repE0EEENS1_30default_config_static_selectorELNS0_4arch9wavefront6targetE0EEEvSM_,"axG",@progbits,_ZN7rocprim17ROCPRIM_400000_NS6detail17trampoline_kernelINS0_14default_configENS1_22reduce_config_selectorIlEEZNS1_11reduce_implILb1ES3_PlS7_lN6hipcub16HIPCUB_304000_NS6detail34convert_binary_result_type_wrapperINS9_3SumENS9_22TransformInputIteratorIb7NonZeroIdEPdlEElEEEE10hipError_tPvRmT1_T2_T3_mT4_P12ihipStream_tbEUlT_E1_NS1_11comp_targetILNS1_3genE8ELNS1_11target_archE1030ELNS1_3gpuE2ELNS1_3repE0EEENS1_30default_config_static_selectorELNS0_4arch9wavefront6targetE0EEEvSM_,comdat
.Lfunc_end302:
	.size	_ZN7rocprim17ROCPRIM_400000_NS6detail17trampoline_kernelINS0_14default_configENS1_22reduce_config_selectorIlEEZNS1_11reduce_implILb1ES3_PlS7_lN6hipcub16HIPCUB_304000_NS6detail34convert_binary_result_type_wrapperINS9_3SumENS9_22TransformInputIteratorIb7NonZeroIdEPdlEElEEEE10hipError_tPvRmT1_T2_T3_mT4_P12ihipStream_tbEUlT_E1_NS1_11comp_targetILNS1_3genE8ELNS1_11target_archE1030ELNS1_3gpuE2ELNS1_3repE0EEENS1_30default_config_static_selectorELNS0_4arch9wavefront6targetE0EEEvSM_, .Lfunc_end302-_ZN7rocprim17ROCPRIM_400000_NS6detail17trampoline_kernelINS0_14default_configENS1_22reduce_config_selectorIlEEZNS1_11reduce_implILb1ES3_PlS7_lN6hipcub16HIPCUB_304000_NS6detail34convert_binary_result_type_wrapperINS9_3SumENS9_22TransformInputIteratorIb7NonZeroIdEPdlEElEEEE10hipError_tPvRmT1_T2_T3_mT4_P12ihipStream_tbEUlT_E1_NS1_11comp_targetILNS1_3genE8ELNS1_11target_archE1030ELNS1_3gpuE2ELNS1_3repE0EEENS1_30default_config_static_selectorELNS0_4arch9wavefront6targetE0EEEvSM_
                                        ; -- End function
	.section	.AMDGPU.csdata,"",@progbits
; Kernel info:
; codeLenInByte = 0
; NumSgprs: 0
; NumVgprs: 0
; ScratchSize: 0
; MemoryBound: 0
; FloatMode: 240
; IeeeMode: 1
; LDSByteSize: 0 bytes/workgroup (compile time only)
; SGPRBlocks: 0
; VGPRBlocks: 0
; NumSGPRsForWavesPerEU: 1
; NumVGPRsForWavesPerEU: 1
; Occupancy: 16
; WaveLimiterHint : 0
; COMPUTE_PGM_RSRC2:SCRATCH_EN: 0
; COMPUTE_PGM_RSRC2:USER_SGPR: 15
; COMPUTE_PGM_RSRC2:TRAP_HANDLER: 0
; COMPUTE_PGM_RSRC2:TGID_X_EN: 1
; COMPUTE_PGM_RSRC2:TGID_Y_EN: 0
; COMPUTE_PGM_RSRC2:TGID_Z_EN: 0
; COMPUTE_PGM_RSRC2:TIDIG_COMP_CNT: 0
	.section	.text._ZN7rocprim17ROCPRIM_400000_NS6detail17trampoline_kernelINS0_14default_configENS1_22reduce_config_selectorIbEEZNS1_11reduce_implILb1ES3_N6hipcub16HIPCUB_304000_NS22TransformInputIteratorIb7NonZeroIdEPdlEEPllNS8_6detail34convert_binary_result_type_wrapperINS8_3SumESD_lEEEE10hipError_tPvRmT1_T2_T3_mT4_P12ihipStream_tbEUlT_E0_NS1_11comp_targetILNS1_3genE0ELNS1_11target_archE4294967295ELNS1_3gpuE0ELNS1_3repE0EEENS1_30default_config_static_selectorELNS0_4arch9wavefront6targetE0EEEvSM_,"axG",@progbits,_ZN7rocprim17ROCPRIM_400000_NS6detail17trampoline_kernelINS0_14default_configENS1_22reduce_config_selectorIbEEZNS1_11reduce_implILb1ES3_N6hipcub16HIPCUB_304000_NS22TransformInputIteratorIb7NonZeroIdEPdlEEPllNS8_6detail34convert_binary_result_type_wrapperINS8_3SumESD_lEEEE10hipError_tPvRmT1_T2_T3_mT4_P12ihipStream_tbEUlT_E0_NS1_11comp_targetILNS1_3genE0ELNS1_11target_archE4294967295ELNS1_3gpuE0ELNS1_3repE0EEENS1_30default_config_static_selectorELNS0_4arch9wavefront6targetE0EEEvSM_,comdat
	.protected	_ZN7rocprim17ROCPRIM_400000_NS6detail17trampoline_kernelINS0_14default_configENS1_22reduce_config_selectorIbEEZNS1_11reduce_implILb1ES3_N6hipcub16HIPCUB_304000_NS22TransformInputIteratorIb7NonZeroIdEPdlEEPllNS8_6detail34convert_binary_result_type_wrapperINS8_3SumESD_lEEEE10hipError_tPvRmT1_T2_T3_mT4_P12ihipStream_tbEUlT_E0_NS1_11comp_targetILNS1_3genE0ELNS1_11target_archE4294967295ELNS1_3gpuE0ELNS1_3repE0EEENS1_30default_config_static_selectorELNS0_4arch9wavefront6targetE0EEEvSM_ ; -- Begin function _ZN7rocprim17ROCPRIM_400000_NS6detail17trampoline_kernelINS0_14default_configENS1_22reduce_config_selectorIbEEZNS1_11reduce_implILb1ES3_N6hipcub16HIPCUB_304000_NS22TransformInputIteratorIb7NonZeroIdEPdlEEPllNS8_6detail34convert_binary_result_type_wrapperINS8_3SumESD_lEEEE10hipError_tPvRmT1_T2_T3_mT4_P12ihipStream_tbEUlT_E0_NS1_11comp_targetILNS1_3genE0ELNS1_11target_archE4294967295ELNS1_3gpuE0ELNS1_3repE0EEENS1_30default_config_static_selectorELNS0_4arch9wavefront6targetE0EEEvSM_
	.globl	_ZN7rocprim17ROCPRIM_400000_NS6detail17trampoline_kernelINS0_14default_configENS1_22reduce_config_selectorIbEEZNS1_11reduce_implILb1ES3_N6hipcub16HIPCUB_304000_NS22TransformInputIteratorIb7NonZeroIdEPdlEEPllNS8_6detail34convert_binary_result_type_wrapperINS8_3SumESD_lEEEE10hipError_tPvRmT1_T2_T3_mT4_P12ihipStream_tbEUlT_E0_NS1_11comp_targetILNS1_3genE0ELNS1_11target_archE4294967295ELNS1_3gpuE0ELNS1_3repE0EEENS1_30default_config_static_selectorELNS0_4arch9wavefront6targetE0EEEvSM_
	.p2align	8
	.type	_ZN7rocprim17ROCPRIM_400000_NS6detail17trampoline_kernelINS0_14default_configENS1_22reduce_config_selectorIbEEZNS1_11reduce_implILb1ES3_N6hipcub16HIPCUB_304000_NS22TransformInputIteratorIb7NonZeroIdEPdlEEPllNS8_6detail34convert_binary_result_type_wrapperINS8_3SumESD_lEEEE10hipError_tPvRmT1_T2_T3_mT4_P12ihipStream_tbEUlT_E0_NS1_11comp_targetILNS1_3genE0ELNS1_11target_archE4294967295ELNS1_3gpuE0ELNS1_3repE0EEENS1_30default_config_static_selectorELNS0_4arch9wavefront6targetE0EEEvSM_,@function
_ZN7rocprim17ROCPRIM_400000_NS6detail17trampoline_kernelINS0_14default_configENS1_22reduce_config_selectorIbEEZNS1_11reduce_implILb1ES3_N6hipcub16HIPCUB_304000_NS22TransformInputIteratorIb7NonZeroIdEPdlEEPllNS8_6detail34convert_binary_result_type_wrapperINS8_3SumESD_lEEEE10hipError_tPvRmT1_T2_T3_mT4_P12ihipStream_tbEUlT_E0_NS1_11comp_targetILNS1_3genE0ELNS1_11target_archE4294967295ELNS1_3gpuE0ELNS1_3repE0EEENS1_30default_config_static_selectorELNS0_4arch9wavefront6targetE0EEEvSM_: ; @_ZN7rocprim17ROCPRIM_400000_NS6detail17trampoline_kernelINS0_14default_configENS1_22reduce_config_selectorIbEEZNS1_11reduce_implILb1ES3_N6hipcub16HIPCUB_304000_NS22TransformInputIteratorIb7NonZeroIdEPdlEEPllNS8_6detail34convert_binary_result_type_wrapperINS8_3SumESD_lEEEE10hipError_tPvRmT1_T2_T3_mT4_P12ihipStream_tbEUlT_E0_NS1_11comp_targetILNS1_3genE0ELNS1_11target_archE4294967295ELNS1_3gpuE0ELNS1_3repE0EEENS1_30default_config_static_selectorELNS0_4arch9wavefront6targetE0EEEvSM_
; %bb.0:
	.section	.rodata,"a",@progbits
	.p2align	6, 0x0
	.amdhsa_kernel _ZN7rocprim17ROCPRIM_400000_NS6detail17trampoline_kernelINS0_14default_configENS1_22reduce_config_selectorIbEEZNS1_11reduce_implILb1ES3_N6hipcub16HIPCUB_304000_NS22TransformInputIteratorIb7NonZeroIdEPdlEEPllNS8_6detail34convert_binary_result_type_wrapperINS8_3SumESD_lEEEE10hipError_tPvRmT1_T2_T3_mT4_P12ihipStream_tbEUlT_E0_NS1_11comp_targetILNS1_3genE0ELNS1_11target_archE4294967295ELNS1_3gpuE0ELNS1_3repE0EEENS1_30default_config_static_selectorELNS0_4arch9wavefront6targetE0EEEvSM_
		.amdhsa_group_segment_fixed_size 0
		.amdhsa_private_segment_fixed_size 0
		.amdhsa_kernarg_size 72
		.amdhsa_user_sgpr_count 15
		.amdhsa_user_sgpr_dispatch_ptr 0
		.amdhsa_user_sgpr_queue_ptr 0
		.amdhsa_user_sgpr_kernarg_segment_ptr 1
		.amdhsa_user_sgpr_dispatch_id 0
		.amdhsa_user_sgpr_private_segment_size 0
		.amdhsa_wavefront_size32 1
		.amdhsa_uses_dynamic_stack 0
		.amdhsa_enable_private_segment 0
		.amdhsa_system_sgpr_workgroup_id_x 1
		.amdhsa_system_sgpr_workgroup_id_y 0
		.amdhsa_system_sgpr_workgroup_id_z 0
		.amdhsa_system_sgpr_workgroup_info 0
		.amdhsa_system_vgpr_workitem_id 0
		.amdhsa_next_free_vgpr 1
		.amdhsa_next_free_sgpr 1
		.amdhsa_reserve_vcc 0
		.amdhsa_float_round_mode_32 0
		.amdhsa_float_round_mode_16_64 0
		.amdhsa_float_denorm_mode_32 3
		.amdhsa_float_denorm_mode_16_64 3
		.amdhsa_dx10_clamp 1
		.amdhsa_ieee_mode 1
		.amdhsa_fp16_overflow 0
		.amdhsa_workgroup_processor_mode 1
		.amdhsa_memory_ordered 1
		.amdhsa_forward_progress 0
		.amdhsa_shared_vgpr_count 0
		.amdhsa_exception_fp_ieee_invalid_op 0
		.amdhsa_exception_fp_denorm_src 0
		.amdhsa_exception_fp_ieee_div_zero 0
		.amdhsa_exception_fp_ieee_overflow 0
		.amdhsa_exception_fp_ieee_underflow 0
		.amdhsa_exception_fp_ieee_inexact 0
		.amdhsa_exception_int_div_zero 0
	.end_amdhsa_kernel
	.section	.text._ZN7rocprim17ROCPRIM_400000_NS6detail17trampoline_kernelINS0_14default_configENS1_22reduce_config_selectorIbEEZNS1_11reduce_implILb1ES3_N6hipcub16HIPCUB_304000_NS22TransformInputIteratorIb7NonZeroIdEPdlEEPllNS8_6detail34convert_binary_result_type_wrapperINS8_3SumESD_lEEEE10hipError_tPvRmT1_T2_T3_mT4_P12ihipStream_tbEUlT_E0_NS1_11comp_targetILNS1_3genE0ELNS1_11target_archE4294967295ELNS1_3gpuE0ELNS1_3repE0EEENS1_30default_config_static_selectorELNS0_4arch9wavefront6targetE0EEEvSM_,"axG",@progbits,_ZN7rocprim17ROCPRIM_400000_NS6detail17trampoline_kernelINS0_14default_configENS1_22reduce_config_selectorIbEEZNS1_11reduce_implILb1ES3_N6hipcub16HIPCUB_304000_NS22TransformInputIteratorIb7NonZeroIdEPdlEEPllNS8_6detail34convert_binary_result_type_wrapperINS8_3SumESD_lEEEE10hipError_tPvRmT1_T2_T3_mT4_P12ihipStream_tbEUlT_E0_NS1_11comp_targetILNS1_3genE0ELNS1_11target_archE4294967295ELNS1_3gpuE0ELNS1_3repE0EEENS1_30default_config_static_selectorELNS0_4arch9wavefront6targetE0EEEvSM_,comdat
.Lfunc_end303:
	.size	_ZN7rocprim17ROCPRIM_400000_NS6detail17trampoline_kernelINS0_14default_configENS1_22reduce_config_selectorIbEEZNS1_11reduce_implILb1ES3_N6hipcub16HIPCUB_304000_NS22TransformInputIteratorIb7NonZeroIdEPdlEEPllNS8_6detail34convert_binary_result_type_wrapperINS8_3SumESD_lEEEE10hipError_tPvRmT1_T2_T3_mT4_P12ihipStream_tbEUlT_E0_NS1_11comp_targetILNS1_3genE0ELNS1_11target_archE4294967295ELNS1_3gpuE0ELNS1_3repE0EEENS1_30default_config_static_selectorELNS0_4arch9wavefront6targetE0EEEvSM_, .Lfunc_end303-_ZN7rocprim17ROCPRIM_400000_NS6detail17trampoline_kernelINS0_14default_configENS1_22reduce_config_selectorIbEEZNS1_11reduce_implILb1ES3_N6hipcub16HIPCUB_304000_NS22TransformInputIteratorIb7NonZeroIdEPdlEEPllNS8_6detail34convert_binary_result_type_wrapperINS8_3SumESD_lEEEE10hipError_tPvRmT1_T2_T3_mT4_P12ihipStream_tbEUlT_E0_NS1_11comp_targetILNS1_3genE0ELNS1_11target_archE4294967295ELNS1_3gpuE0ELNS1_3repE0EEENS1_30default_config_static_selectorELNS0_4arch9wavefront6targetE0EEEvSM_
                                        ; -- End function
	.section	.AMDGPU.csdata,"",@progbits
; Kernel info:
; codeLenInByte = 0
; NumSgprs: 0
; NumVgprs: 0
; ScratchSize: 0
; MemoryBound: 0
; FloatMode: 240
; IeeeMode: 1
; LDSByteSize: 0 bytes/workgroup (compile time only)
; SGPRBlocks: 0
; VGPRBlocks: 0
; NumSGPRsForWavesPerEU: 1
; NumVGPRsForWavesPerEU: 1
; Occupancy: 16
; WaveLimiterHint : 0
; COMPUTE_PGM_RSRC2:SCRATCH_EN: 0
; COMPUTE_PGM_RSRC2:USER_SGPR: 15
; COMPUTE_PGM_RSRC2:TRAP_HANDLER: 0
; COMPUTE_PGM_RSRC2:TGID_X_EN: 1
; COMPUTE_PGM_RSRC2:TGID_Y_EN: 0
; COMPUTE_PGM_RSRC2:TGID_Z_EN: 0
; COMPUTE_PGM_RSRC2:TIDIG_COMP_CNT: 0
	.section	.text._ZN7rocprim17ROCPRIM_400000_NS6detail17trampoline_kernelINS0_14default_configENS1_22reduce_config_selectorIbEEZNS1_11reduce_implILb1ES3_N6hipcub16HIPCUB_304000_NS22TransformInputIteratorIb7NonZeroIdEPdlEEPllNS8_6detail34convert_binary_result_type_wrapperINS8_3SumESD_lEEEE10hipError_tPvRmT1_T2_T3_mT4_P12ihipStream_tbEUlT_E0_NS1_11comp_targetILNS1_3genE5ELNS1_11target_archE942ELNS1_3gpuE9ELNS1_3repE0EEENS1_30default_config_static_selectorELNS0_4arch9wavefront6targetE0EEEvSM_,"axG",@progbits,_ZN7rocprim17ROCPRIM_400000_NS6detail17trampoline_kernelINS0_14default_configENS1_22reduce_config_selectorIbEEZNS1_11reduce_implILb1ES3_N6hipcub16HIPCUB_304000_NS22TransformInputIteratorIb7NonZeroIdEPdlEEPllNS8_6detail34convert_binary_result_type_wrapperINS8_3SumESD_lEEEE10hipError_tPvRmT1_T2_T3_mT4_P12ihipStream_tbEUlT_E0_NS1_11comp_targetILNS1_3genE5ELNS1_11target_archE942ELNS1_3gpuE9ELNS1_3repE0EEENS1_30default_config_static_selectorELNS0_4arch9wavefront6targetE0EEEvSM_,comdat
	.protected	_ZN7rocprim17ROCPRIM_400000_NS6detail17trampoline_kernelINS0_14default_configENS1_22reduce_config_selectorIbEEZNS1_11reduce_implILb1ES3_N6hipcub16HIPCUB_304000_NS22TransformInputIteratorIb7NonZeroIdEPdlEEPllNS8_6detail34convert_binary_result_type_wrapperINS8_3SumESD_lEEEE10hipError_tPvRmT1_T2_T3_mT4_P12ihipStream_tbEUlT_E0_NS1_11comp_targetILNS1_3genE5ELNS1_11target_archE942ELNS1_3gpuE9ELNS1_3repE0EEENS1_30default_config_static_selectorELNS0_4arch9wavefront6targetE0EEEvSM_ ; -- Begin function _ZN7rocprim17ROCPRIM_400000_NS6detail17trampoline_kernelINS0_14default_configENS1_22reduce_config_selectorIbEEZNS1_11reduce_implILb1ES3_N6hipcub16HIPCUB_304000_NS22TransformInputIteratorIb7NonZeroIdEPdlEEPllNS8_6detail34convert_binary_result_type_wrapperINS8_3SumESD_lEEEE10hipError_tPvRmT1_T2_T3_mT4_P12ihipStream_tbEUlT_E0_NS1_11comp_targetILNS1_3genE5ELNS1_11target_archE942ELNS1_3gpuE9ELNS1_3repE0EEENS1_30default_config_static_selectorELNS0_4arch9wavefront6targetE0EEEvSM_
	.globl	_ZN7rocprim17ROCPRIM_400000_NS6detail17trampoline_kernelINS0_14default_configENS1_22reduce_config_selectorIbEEZNS1_11reduce_implILb1ES3_N6hipcub16HIPCUB_304000_NS22TransformInputIteratorIb7NonZeroIdEPdlEEPllNS8_6detail34convert_binary_result_type_wrapperINS8_3SumESD_lEEEE10hipError_tPvRmT1_T2_T3_mT4_P12ihipStream_tbEUlT_E0_NS1_11comp_targetILNS1_3genE5ELNS1_11target_archE942ELNS1_3gpuE9ELNS1_3repE0EEENS1_30default_config_static_selectorELNS0_4arch9wavefront6targetE0EEEvSM_
	.p2align	8
	.type	_ZN7rocprim17ROCPRIM_400000_NS6detail17trampoline_kernelINS0_14default_configENS1_22reduce_config_selectorIbEEZNS1_11reduce_implILb1ES3_N6hipcub16HIPCUB_304000_NS22TransformInputIteratorIb7NonZeroIdEPdlEEPllNS8_6detail34convert_binary_result_type_wrapperINS8_3SumESD_lEEEE10hipError_tPvRmT1_T2_T3_mT4_P12ihipStream_tbEUlT_E0_NS1_11comp_targetILNS1_3genE5ELNS1_11target_archE942ELNS1_3gpuE9ELNS1_3repE0EEENS1_30default_config_static_selectorELNS0_4arch9wavefront6targetE0EEEvSM_,@function
_ZN7rocprim17ROCPRIM_400000_NS6detail17trampoline_kernelINS0_14default_configENS1_22reduce_config_selectorIbEEZNS1_11reduce_implILb1ES3_N6hipcub16HIPCUB_304000_NS22TransformInputIteratorIb7NonZeroIdEPdlEEPllNS8_6detail34convert_binary_result_type_wrapperINS8_3SumESD_lEEEE10hipError_tPvRmT1_T2_T3_mT4_P12ihipStream_tbEUlT_E0_NS1_11comp_targetILNS1_3genE5ELNS1_11target_archE942ELNS1_3gpuE9ELNS1_3repE0EEENS1_30default_config_static_selectorELNS0_4arch9wavefront6targetE0EEEvSM_: ; @_ZN7rocprim17ROCPRIM_400000_NS6detail17trampoline_kernelINS0_14default_configENS1_22reduce_config_selectorIbEEZNS1_11reduce_implILb1ES3_N6hipcub16HIPCUB_304000_NS22TransformInputIteratorIb7NonZeroIdEPdlEEPllNS8_6detail34convert_binary_result_type_wrapperINS8_3SumESD_lEEEE10hipError_tPvRmT1_T2_T3_mT4_P12ihipStream_tbEUlT_E0_NS1_11comp_targetILNS1_3genE5ELNS1_11target_archE942ELNS1_3gpuE9ELNS1_3repE0EEENS1_30default_config_static_selectorELNS0_4arch9wavefront6targetE0EEEvSM_
; %bb.0:
	.section	.rodata,"a",@progbits
	.p2align	6, 0x0
	.amdhsa_kernel _ZN7rocprim17ROCPRIM_400000_NS6detail17trampoline_kernelINS0_14default_configENS1_22reduce_config_selectorIbEEZNS1_11reduce_implILb1ES3_N6hipcub16HIPCUB_304000_NS22TransformInputIteratorIb7NonZeroIdEPdlEEPllNS8_6detail34convert_binary_result_type_wrapperINS8_3SumESD_lEEEE10hipError_tPvRmT1_T2_T3_mT4_P12ihipStream_tbEUlT_E0_NS1_11comp_targetILNS1_3genE5ELNS1_11target_archE942ELNS1_3gpuE9ELNS1_3repE0EEENS1_30default_config_static_selectorELNS0_4arch9wavefront6targetE0EEEvSM_
		.amdhsa_group_segment_fixed_size 0
		.amdhsa_private_segment_fixed_size 0
		.amdhsa_kernarg_size 72
		.amdhsa_user_sgpr_count 15
		.amdhsa_user_sgpr_dispatch_ptr 0
		.amdhsa_user_sgpr_queue_ptr 0
		.amdhsa_user_sgpr_kernarg_segment_ptr 1
		.amdhsa_user_sgpr_dispatch_id 0
		.amdhsa_user_sgpr_private_segment_size 0
		.amdhsa_wavefront_size32 1
		.amdhsa_uses_dynamic_stack 0
		.amdhsa_enable_private_segment 0
		.amdhsa_system_sgpr_workgroup_id_x 1
		.amdhsa_system_sgpr_workgroup_id_y 0
		.amdhsa_system_sgpr_workgroup_id_z 0
		.amdhsa_system_sgpr_workgroup_info 0
		.amdhsa_system_vgpr_workitem_id 0
		.amdhsa_next_free_vgpr 1
		.amdhsa_next_free_sgpr 1
		.amdhsa_reserve_vcc 0
		.amdhsa_float_round_mode_32 0
		.amdhsa_float_round_mode_16_64 0
		.amdhsa_float_denorm_mode_32 3
		.amdhsa_float_denorm_mode_16_64 3
		.amdhsa_dx10_clamp 1
		.amdhsa_ieee_mode 1
		.amdhsa_fp16_overflow 0
		.amdhsa_workgroup_processor_mode 1
		.amdhsa_memory_ordered 1
		.amdhsa_forward_progress 0
		.amdhsa_shared_vgpr_count 0
		.amdhsa_exception_fp_ieee_invalid_op 0
		.amdhsa_exception_fp_denorm_src 0
		.amdhsa_exception_fp_ieee_div_zero 0
		.amdhsa_exception_fp_ieee_overflow 0
		.amdhsa_exception_fp_ieee_underflow 0
		.amdhsa_exception_fp_ieee_inexact 0
		.amdhsa_exception_int_div_zero 0
	.end_amdhsa_kernel
	.section	.text._ZN7rocprim17ROCPRIM_400000_NS6detail17trampoline_kernelINS0_14default_configENS1_22reduce_config_selectorIbEEZNS1_11reduce_implILb1ES3_N6hipcub16HIPCUB_304000_NS22TransformInputIteratorIb7NonZeroIdEPdlEEPllNS8_6detail34convert_binary_result_type_wrapperINS8_3SumESD_lEEEE10hipError_tPvRmT1_T2_T3_mT4_P12ihipStream_tbEUlT_E0_NS1_11comp_targetILNS1_3genE5ELNS1_11target_archE942ELNS1_3gpuE9ELNS1_3repE0EEENS1_30default_config_static_selectorELNS0_4arch9wavefront6targetE0EEEvSM_,"axG",@progbits,_ZN7rocprim17ROCPRIM_400000_NS6detail17trampoline_kernelINS0_14default_configENS1_22reduce_config_selectorIbEEZNS1_11reduce_implILb1ES3_N6hipcub16HIPCUB_304000_NS22TransformInputIteratorIb7NonZeroIdEPdlEEPllNS8_6detail34convert_binary_result_type_wrapperINS8_3SumESD_lEEEE10hipError_tPvRmT1_T2_T3_mT4_P12ihipStream_tbEUlT_E0_NS1_11comp_targetILNS1_3genE5ELNS1_11target_archE942ELNS1_3gpuE9ELNS1_3repE0EEENS1_30default_config_static_selectorELNS0_4arch9wavefront6targetE0EEEvSM_,comdat
.Lfunc_end304:
	.size	_ZN7rocprim17ROCPRIM_400000_NS6detail17trampoline_kernelINS0_14default_configENS1_22reduce_config_selectorIbEEZNS1_11reduce_implILb1ES3_N6hipcub16HIPCUB_304000_NS22TransformInputIteratorIb7NonZeroIdEPdlEEPllNS8_6detail34convert_binary_result_type_wrapperINS8_3SumESD_lEEEE10hipError_tPvRmT1_T2_T3_mT4_P12ihipStream_tbEUlT_E0_NS1_11comp_targetILNS1_3genE5ELNS1_11target_archE942ELNS1_3gpuE9ELNS1_3repE0EEENS1_30default_config_static_selectorELNS0_4arch9wavefront6targetE0EEEvSM_, .Lfunc_end304-_ZN7rocprim17ROCPRIM_400000_NS6detail17trampoline_kernelINS0_14default_configENS1_22reduce_config_selectorIbEEZNS1_11reduce_implILb1ES3_N6hipcub16HIPCUB_304000_NS22TransformInputIteratorIb7NonZeroIdEPdlEEPllNS8_6detail34convert_binary_result_type_wrapperINS8_3SumESD_lEEEE10hipError_tPvRmT1_T2_T3_mT4_P12ihipStream_tbEUlT_E0_NS1_11comp_targetILNS1_3genE5ELNS1_11target_archE942ELNS1_3gpuE9ELNS1_3repE0EEENS1_30default_config_static_selectorELNS0_4arch9wavefront6targetE0EEEvSM_
                                        ; -- End function
	.section	.AMDGPU.csdata,"",@progbits
; Kernel info:
; codeLenInByte = 0
; NumSgprs: 0
; NumVgprs: 0
; ScratchSize: 0
; MemoryBound: 0
; FloatMode: 240
; IeeeMode: 1
; LDSByteSize: 0 bytes/workgroup (compile time only)
; SGPRBlocks: 0
; VGPRBlocks: 0
; NumSGPRsForWavesPerEU: 1
; NumVGPRsForWavesPerEU: 1
; Occupancy: 16
; WaveLimiterHint : 0
; COMPUTE_PGM_RSRC2:SCRATCH_EN: 0
; COMPUTE_PGM_RSRC2:USER_SGPR: 15
; COMPUTE_PGM_RSRC2:TRAP_HANDLER: 0
; COMPUTE_PGM_RSRC2:TGID_X_EN: 1
; COMPUTE_PGM_RSRC2:TGID_Y_EN: 0
; COMPUTE_PGM_RSRC2:TGID_Z_EN: 0
; COMPUTE_PGM_RSRC2:TIDIG_COMP_CNT: 0
	.section	.text._ZN7rocprim17ROCPRIM_400000_NS6detail17trampoline_kernelINS0_14default_configENS1_22reduce_config_selectorIbEEZNS1_11reduce_implILb1ES3_N6hipcub16HIPCUB_304000_NS22TransformInputIteratorIb7NonZeroIdEPdlEEPllNS8_6detail34convert_binary_result_type_wrapperINS8_3SumESD_lEEEE10hipError_tPvRmT1_T2_T3_mT4_P12ihipStream_tbEUlT_E0_NS1_11comp_targetILNS1_3genE4ELNS1_11target_archE910ELNS1_3gpuE8ELNS1_3repE0EEENS1_30default_config_static_selectorELNS0_4arch9wavefront6targetE0EEEvSM_,"axG",@progbits,_ZN7rocprim17ROCPRIM_400000_NS6detail17trampoline_kernelINS0_14default_configENS1_22reduce_config_selectorIbEEZNS1_11reduce_implILb1ES3_N6hipcub16HIPCUB_304000_NS22TransformInputIteratorIb7NonZeroIdEPdlEEPllNS8_6detail34convert_binary_result_type_wrapperINS8_3SumESD_lEEEE10hipError_tPvRmT1_T2_T3_mT4_P12ihipStream_tbEUlT_E0_NS1_11comp_targetILNS1_3genE4ELNS1_11target_archE910ELNS1_3gpuE8ELNS1_3repE0EEENS1_30default_config_static_selectorELNS0_4arch9wavefront6targetE0EEEvSM_,comdat
	.protected	_ZN7rocprim17ROCPRIM_400000_NS6detail17trampoline_kernelINS0_14default_configENS1_22reduce_config_selectorIbEEZNS1_11reduce_implILb1ES3_N6hipcub16HIPCUB_304000_NS22TransformInputIteratorIb7NonZeroIdEPdlEEPllNS8_6detail34convert_binary_result_type_wrapperINS8_3SumESD_lEEEE10hipError_tPvRmT1_T2_T3_mT4_P12ihipStream_tbEUlT_E0_NS1_11comp_targetILNS1_3genE4ELNS1_11target_archE910ELNS1_3gpuE8ELNS1_3repE0EEENS1_30default_config_static_selectorELNS0_4arch9wavefront6targetE0EEEvSM_ ; -- Begin function _ZN7rocprim17ROCPRIM_400000_NS6detail17trampoline_kernelINS0_14default_configENS1_22reduce_config_selectorIbEEZNS1_11reduce_implILb1ES3_N6hipcub16HIPCUB_304000_NS22TransformInputIteratorIb7NonZeroIdEPdlEEPllNS8_6detail34convert_binary_result_type_wrapperINS8_3SumESD_lEEEE10hipError_tPvRmT1_T2_T3_mT4_P12ihipStream_tbEUlT_E0_NS1_11comp_targetILNS1_3genE4ELNS1_11target_archE910ELNS1_3gpuE8ELNS1_3repE0EEENS1_30default_config_static_selectorELNS0_4arch9wavefront6targetE0EEEvSM_
	.globl	_ZN7rocprim17ROCPRIM_400000_NS6detail17trampoline_kernelINS0_14default_configENS1_22reduce_config_selectorIbEEZNS1_11reduce_implILb1ES3_N6hipcub16HIPCUB_304000_NS22TransformInputIteratorIb7NonZeroIdEPdlEEPllNS8_6detail34convert_binary_result_type_wrapperINS8_3SumESD_lEEEE10hipError_tPvRmT1_T2_T3_mT4_P12ihipStream_tbEUlT_E0_NS1_11comp_targetILNS1_3genE4ELNS1_11target_archE910ELNS1_3gpuE8ELNS1_3repE0EEENS1_30default_config_static_selectorELNS0_4arch9wavefront6targetE0EEEvSM_
	.p2align	8
	.type	_ZN7rocprim17ROCPRIM_400000_NS6detail17trampoline_kernelINS0_14default_configENS1_22reduce_config_selectorIbEEZNS1_11reduce_implILb1ES3_N6hipcub16HIPCUB_304000_NS22TransformInputIteratorIb7NonZeroIdEPdlEEPllNS8_6detail34convert_binary_result_type_wrapperINS8_3SumESD_lEEEE10hipError_tPvRmT1_T2_T3_mT4_P12ihipStream_tbEUlT_E0_NS1_11comp_targetILNS1_3genE4ELNS1_11target_archE910ELNS1_3gpuE8ELNS1_3repE0EEENS1_30default_config_static_selectorELNS0_4arch9wavefront6targetE0EEEvSM_,@function
_ZN7rocprim17ROCPRIM_400000_NS6detail17trampoline_kernelINS0_14default_configENS1_22reduce_config_selectorIbEEZNS1_11reduce_implILb1ES3_N6hipcub16HIPCUB_304000_NS22TransformInputIteratorIb7NonZeroIdEPdlEEPllNS8_6detail34convert_binary_result_type_wrapperINS8_3SumESD_lEEEE10hipError_tPvRmT1_T2_T3_mT4_P12ihipStream_tbEUlT_E0_NS1_11comp_targetILNS1_3genE4ELNS1_11target_archE910ELNS1_3gpuE8ELNS1_3repE0EEENS1_30default_config_static_selectorELNS0_4arch9wavefront6targetE0EEEvSM_: ; @_ZN7rocprim17ROCPRIM_400000_NS6detail17trampoline_kernelINS0_14default_configENS1_22reduce_config_selectorIbEEZNS1_11reduce_implILb1ES3_N6hipcub16HIPCUB_304000_NS22TransformInputIteratorIb7NonZeroIdEPdlEEPllNS8_6detail34convert_binary_result_type_wrapperINS8_3SumESD_lEEEE10hipError_tPvRmT1_T2_T3_mT4_P12ihipStream_tbEUlT_E0_NS1_11comp_targetILNS1_3genE4ELNS1_11target_archE910ELNS1_3gpuE8ELNS1_3repE0EEENS1_30default_config_static_selectorELNS0_4arch9wavefront6targetE0EEEvSM_
; %bb.0:
	.section	.rodata,"a",@progbits
	.p2align	6, 0x0
	.amdhsa_kernel _ZN7rocprim17ROCPRIM_400000_NS6detail17trampoline_kernelINS0_14default_configENS1_22reduce_config_selectorIbEEZNS1_11reduce_implILb1ES3_N6hipcub16HIPCUB_304000_NS22TransformInputIteratorIb7NonZeroIdEPdlEEPllNS8_6detail34convert_binary_result_type_wrapperINS8_3SumESD_lEEEE10hipError_tPvRmT1_T2_T3_mT4_P12ihipStream_tbEUlT_E0_NS1_11comp_targetILNS1_3genE4ELNS1_11target_archE910ELNS1_3gpuE8ELNS1_3repE0EEENS1_30default_config_static_selectorELNS0_4arch9wavefront6targetE0EEEvSM_
		.amdhsa_group_segment_fixed_size 0
		.amdhsa_private_segment_fixed_size 0
		.amdhsa_kernarg_size 72
		.amdhsa_user_sgpr_count 15
		.amdhsa_user_sgpr_dispatch_ptr 0
		.amdhsa_user_sgpr_queue_ptr 0
		.amdhsa_user_sgpr_kernarg_segment_ptr 1
		.amdhsa_user_sgpr_dispatch_id 0
		.amdhsa_user_sgpr_private_segment_size 0
		.amdhsa_wavefront_size32 1
		.amdhsa_uses_dynamic_stack 0
		.amdhsa_enable_private_segment 0
		.amdhsa_system_sgpr_workgroup_id_x 1
		.amdhsa_system_sgpr_workgroup_id_y 0
		.amdhsa_system_sgpr_workgroup_id_z 0
		.amdhsa_system_sgpr_workgroup_info 0
		.amdhsa_system_vgpr_workitem_id 0
		.amdhsa_next_free_vgpr 1
		.amdhsa_next_free_sgpr 1
		.amdhsa_reserve_vcc 0
		.amdhsa_float_round_mode_32 0
		.amdhsa_float_round_mode_16_64 0
		.amdhsa_float_denorm_mode_32 3
		.amdhsa_float_denorm_mode_16_64 3
		.amdhsa_dx10_clamp 1
		.amdhsa_ieee_mode 1
		.amdhsa_fp16_overflow 0
		.amdhsa_workgroup_processor_mode 1
		.amdhsa_memory_ordered 1
		.amdhsa_forward_progress 0
		.amdhsa_shared_vgpr_count 0
		.amdhsa_exception_fp_ieee_invalid_op 0
		.amdhsa_exception_fp_denorm_src 0
		.amdhsa_exception_fp_ieee_div_zero 0
		.amdhsa_exception_fp_ieee_overflow 0
		.amdhsa_exception_fp_ieee_underflow 0
		.amdhsa_exception_fp_ieee_inexact 0
		.amdhsa_exception_int_div_zero 0
	.end_amdhsa_kernel
	.section	.text._ZN7rocprim17ROCPRIM_400000_NS6detail17trampoline_kernelINS0_14default_configENS1_22reduce_config_selectorIbEEZNS1_11reduce_implILb1ES3_N6hipcub16HIPCUB_304000_NS22TransformInputIteratorIb7NonZeroIdEPdlEEPllNS8_6detail34convert_binary_result_type_wrapperINS8_3SumESD_lEEEE10hipError_tPvRmT1_T2_T3_mT4_P12ihipStream_tbEUlT_E0_NS1_11comp_targetILNS1_3genE4ELNS1_11target_archE910ELNS1_3gpuE8ELNS1_3repE0EEENS1_30default_config_static_selectorELNS0_4arch9wavefront6targetE0EEEvSM_,"axG",@progbits,_ZN7rocprim17ROCPRIM_400000_NS6detail17trampoline_kernelINS0_14default_configENS1_22reduce_config_selectorIbEEZNS1_11reduce_implILb1ES3_N6hipcub16HIPCUB_304000_NS22TransformInputIteratorIb7NonZeroIdEPdlEEPllNS8_6detail34convert_binary_result_type_wrapperINS8_3SumESD_lEEEE10hipError_tPvRmT1_T2_T3_mT4_P12ihipStream_tbEUlT_E0_NS1_11comp_targetILNS1_3genE4ELNS1_11target_archE910ELNS1_3gpuE8ELNS1_3repE0EEENS1_30default_config_static_selectorELNS0_4arch9wavefront6targetE0EEEvSM_,comdat
.Lfunc_end305:
	.size	_ZN7rocprim17ROCPRIM_400000_NS6detail17trampoline_kernelINS0_14default_configENS1_22reduce_config_selectorIbEEZNS1_11reduce_implILb1ES3_N6hipcub16HIPCUB_304000_NS22TransformInputIteratorIb7NonZeroIdEPdlEEPllNS8_6detail34convert_binary_result_type_wrapperINS8_3SumESD_lEEEE10hipError_tPvRmT1_T2_T3_mT4_P12ihipStream_tbEUlT_E0_NS1_11comp_targetILNS1_3genE4ELNS1_11target_archE910ELNS1_3gpuE8ELNS1_3repE0EEENS1_30default_config_static_selectorELNS0_4arch9wavefront6targetE0EEEvSM_, .Lfunc_end305-_ZN7rocprim17ROCPRIM_400000_NS6detail17trampoline_kernelINS0_14default_configENS1_22reduce_config_selectorIbEEZNS1_11reduce_implILb1ES3_N6hipcub16HIPCUB_304000_NS22TransformInputIteratorIb7NonZeroIdEPdlEEPllNS8_6detail34convert_binary_result_type_wrapperINS8_3SumESD_lEEEE10hipError_tPvRmT1_T2_T3_mT4_P12ihipStream_tbEUlT_E0_NS1_11comp_targetILNS1_3genE4ELNS1_11target_archE910ELNS1_3gpuE8ELNS1_3repE0EEENS1_30default_config_static_selectorELNS0_4arch9wavefront6targetE0EEEvSM_
                                        ; -- End function
	.section	.AMDGPU.csdata,"",@progbits
; Kernel info:
; codeLenInByte = 0
; NumSgprs: 0
; NumVgprs: 0
; ScratchSize: 0
; MemoryBound: 0
; FloatMode: 240
; IeeeMode: 1
; LDSByteSize: 0 bytes/workgroup (compile time only)
; SGPRBlocks: 0
; VGPRBlocks: 0
; NumSGPRsForWavesPerEU: 1
; NumVGPRsForWavesPerEU: 1
; Occupancy: 16
; WaveLimiterHint : 0
; COMPUTE_PGM_RSRC2:SCRATCH_EN: 0
; COMPUTE_PGM_RSRC2:USER_SGPR: 15
; COMPUTE_PGM_RSRC2:TRAP_HANDLER: 0
; COMPUTE_PGM_RSRC2:TGID_X_EN: 1
; COMPUTE_PGM_RSRC2:TGID_Y_EN: 0
; COMPUTE_PGM_RSRC2:TGID_Z_EN: 0
; COMPUTE_PGM_RSRC2:TIDIG_COMP_CNT: 0
	.section	.text._ZN7rocprim17ROCPRIM_400000_NS6detail17trampoline_kernelINS0_14default_configENS1_22reduce_config_selectorIbEEZNS1_11reduce_implILb1ES3_N6hipcub16HIPCUB_304000_NS22TransformInputIteratorIb7NonZeroIdEPdlEEPllNS8_6detail34convert_binary_result_type_wrapperINS8_3SumESD_lEEEE10hipError_tPvRmT1_T2_T3_mT4_P12ihipStream_tbEUlT_E0_NS1_11comp_targetILNS1_3genE3ELNS1_11target_archE908ELNS1_3gpuE7ELNS1_3repE0EEENS1_30default_config_static_selectorELNS0_4arch9wavefront6targetE0EEEvSM_,"axG",@progbits,_ZN7rocprim17ROCPRIM_400000_NS6detail17trampoline_kernelINS0_14default_configENS1_22reduce_config_selectorIbEEZNS1_11reduce_implILb1ES3_N6hipcub16HIPCUB_304000_NS22TransformInputIteratorIb7NonZeroIdEPdlEEPllNS8_6detail34convert_binary_result_type_wrapperINS8_3SumESD_lEEEE10hipError_tPvRmT1_T2_T3_mT4_P12ihipStream_tbEUlT_E0_NS1_11comp_targetILNS1_3genE3ELNS1_11target_archE908ELNS1_3gpuE7ELNS1_3repE0EEENS1_30default_config_static_selectorELNS0_4arch9wavefront6targetE0EEEvSM_,comdat
	.protected	_ZN7rocprim17ROCPRIM_400000_NS6detail17trampoline_kernelINS0_14default_configENS1_22reduce_config_selectorIbEEZNS1_11reduce_implILb1ES3_N6hipcub16HIPCUB_304000_NS22TransformInputIteratorIb7NonZeroIdEPdlEEPllNS8_6detail34convert_binary_result_type_wrapperINS8_3SumESD_lEEEE10hipError_tPvRmT1_T2_T3_mT4_P12ihipStream_tbEUlT_E0_NS1_11comp_targetILNS1_3genE3ELNS1_11target_archE908ELNS1_3gpuE7ELNS1_3repE0EEENS1_30default_config_static_selectorELNS0_4arch9wavefront6targetE0EEEvSM_ ; -- Begin function _ZN7rocprim17ROCPRIM_400000_NS6detail17trampoline_kernelINS0_14default_configENS1_22reduce_config_selectorIbEEZNS1_11reduce_implILb1ES3_N6hipcub16HIPCUB_304000_NS22TransformInputIteratorIb7NonZeroIdEPdlEEPllNS8_6detail34convert_binary_result_type_wrapperINS8_3SumESD_lEEEE10hipError_tPvRmT1_T2_T3_mT4_P12ihipStream_tbEUlT_E0_NS1_11comp_targetILNS1_3genE3ELNS1_11target_archE908ELNS1_3gpuE7ELNS1_3repE0EEENS1_30default_config_static_selectorELNS0_4arch9wavefront6targetE0EEEvSM_
	.globl	_ZN7rocprim17ROCPRIM_400000_NS6detail17trampoline_kernelINS0_14default_configENS1_22reduce_config_selectorIbEEZNS1_11reduce_implILb1ES3_N6hipcub16HIPCUB_304000_NS22TransformInputIteratorIb7NonZeroIdEPdlEEPllNS8_6detail34convert_binary_result_type_wrapperINS8_3SumESD_lEEEE10hipError_tPvRmT1_T2_T3_mT4_P12ihipStream_tbEUlT_E0_NS1_11comp_targetILNS1_3genE3ELNS1_11target_archE908ELNS1_3gpuE7ELNS1_3repE0EEENS1_30default_config_static_selectorELNS0_4arch9wavefront6targetE0EEEvSM_
	.p2align	8
	.type	_ZN7rocprim17ROCPRIM_400000_NS6detail17trampoline_kernelINS0_14default_configENS1_22reduce_config_selectorIbEEZNS1_11reduce_implILb1ES3_N6hipcub16HIPCUB_304000_NS22TransformInputIteratorIb7NonZeroIdEPdlEEPllNS8_6detail34convert_binary_result_type_wrapperINS8_3SumESD_lEEEE10hipError_tPvRmT1_T2_T3_mT4_P12ihipStream_tbEUlT_E0_NS1_11comp_targetILNS1_3genE3ELNS1_11target_archE908ELNS1_3gpuE7ELNS1_3repE0EEENS1_30default_config_static_selectorELNS0_4arch9wavefront6targetE0EEEvSM_,@function
_ZN7rocprim17ROCPRIM_400000_NS6detail17trampoline_kernelINS0_14default_configENS1_22reduce_config_selectorIbEEZNS1_11reduce_implILb1ES3_N6hipcub16HIPCUB_304000_NS22TransformInputIteratorIb7NonZeroIdEPdlEEPllNS8_6detail34convert_binary_result_type_wrapperINS8_3SumESD_lEEEE10hipError_tPvRmT1_T2_T3_mT4_P12ihipStream_tbEUlT_E0_NS1_11comp_targetILNS1_3genE3ELNS1_11target_archE908ELNS1_3gpuE7ELNS1_3repE0EEENS1_30default_config_static_selectorELNS0_4arch9wavefront6targetE0EEEvSM_: ; @_ZN7rocprim17ROCPRIM_400000_NS6detail17trampoline_kernelINS0_14default_configENS1_22reduce_config_selectorIbEEZNS1_11reduce_implILb1ES3_N6hipcub16HIPCUB_304000_NS22TransformInputIteratorIb7NonZeroIdEPdlEEPllNS8_6detail34convert_binary_result_type_wrapperINS8_3SumESD_lEEEE10hipError_tPvRmT1_T2_T3_mT4_P12ihipStream_tbEUlT_E0_NS1_11comp_targetILNS1_3genE3ELNS1_11target_archE908ELNS1_3gpuE7ELNS1_3repE0EEENS1_30default_config_static_selectorELNS0_4arch9wavefront6targetE0EEEvSM_
; %bb.0:
	.section	.rodata,"a",@progbits
	.p2align	6, 0x0
	.amdhsa_kernel _ZN7rocprim17ROCPRIM_400000_NS6detail17trampoline_kernelINS0_14default_configENS1_22reduce_config_selectorIbEEZNS1_11reduce_implILb1ES3_N6hipcub16HIPCUB_304000_NS22TransformInputIteratorIb7NonZeroIdEPdlEEPllNS8_6detail34convert_binary_result_type_wrapperINS8_3SumESD_lEEEE10hipError_tPvRmT1_T2_T3_mT4_P12ihipStream_tbEUlT_E0_NS1_11comp_targetILNS1_3genE3ELNS1_11target_archE908ELNS1_3gpuE7ELNS1_3repE0EEENS1_30default_config_static_selectorELNS0_4arch9wavefront6targetE0EEEvSM_
		.amdhsa_group_segment_fixed_size 0
		.amdhsa_private_segment_fixed_size 0
		.amdhsa_kernarg_size 72
		.amdhsa_user_sgpr_count 15
		.amdhsa_user_sgpr_dispatch_ptr 0
		.amdhsa_user_sgpr_queue_ptr 0
		.amdhsa_user_sgpr_kernarg_segment_ptr 1
		.amdhsa_user_sgpr_dispatch_id 0
		.amdhsa_user_sgpr_private_segment_size 0
		.amdhsa_wavefront_size32 1
		.amdhsa_uses_dynamic_stack 0
		.amdhsa_enable_private_segment 0
		.amdhsa_system_sgpr_workgroup_id_x 1
		.amdhsa_system_sgpr_workgroup_id_y 0
		.amdhsa_system_sgpr_workgroup_id_z 0
		.amdhsa_system_sgpr_workgroup_info 0
		.amdhsa_system_vgpr_workitem_id 0
		.amdhsa_next_free_vgpr 1
		.amdhsa_next_free_sgpr 1
		.amdhsa_reserve_vcc 0
		.amdhsa_float_round_mode_32 0
		.amdhsa_float_round_mode_16_64 0
		.amdhsa_float_denorm_mode_32 3
		.amdhsa_float_denorm_mode_16_64 3
		.amdhsa_dx10_clamp 1
		.amdhsa_ieee_mode 1
		.amdhsa_fp16_overflow 0
		.amdhsa_workgroup_processor_mode 1
		.amdhsa_memory_ordered 1
		.amdhsa_forward_progress 0
		.amdhsa_shared_vgpr_count 0
		.amdhsa_exception_fp_ieee_invalid_op 0
		.amdhsa_exception_fp_denorm_src 0
		.amdhsa_exception_fp_ieee_div_zero 0
		.amdhsa_exception_fp_ieee_overflow 0
		.amdhsa_exception_fp_ieee_underflow 0
		.amdhsa_exception_fp_ieee_inexact 0
		.amdhsa_exception_int_div_zero 0
	.end_amdhsa_kernel
	.section	.text._ZN7rocprim17ROCPRIM_400000_NS6detail17trampoline_kernelINS0_14default_configENS1_22reduce_config_selectorIbEEZNS1_11reduce_implILb1ES3_N6hipcub16HIPCUB_304000_NS22TransformInputIteratorIb7NonZeroIdEPdlEEPllNS8_6detail34convert_binary_result_type_wrapperINS8_3SumESD_lEEEE10hipError_tPvRmT1_T2_T3_mT4_P12ihipStream_tbEUlT_E0_NS1_11comp_targetILNS1_3genE3ELNS1_11target_archE908ELNS1_3gpuE7ELNS1_3repE0EEENS1_30default_config_static_selectorELNS0_4arch9wavefront6targetE0EEEvSM_,"axG",@progbits,_ZN7rocprim17ROCPRIM_400000_NS6detail17trampoline_kernelINS0_14default_configENS1_22reduce_config_selectorIbEEZNS1_11reduce_implILb1ES3_N6hipcub16HIPCUB_304000_NS22TransformInputIteratorIb7NonZeroIdEPdlEEPllNS8_6detail34convert_binary_result_type_wrapperINS8_3SumESD_lEEEE10hipError_tPvRmT1_T2_T3_mT4_P12ihipStream_tbEUlT_E0_NS1_11comp_targetILNS1_3genE3ELNS1_11target_archE908ELNS1_3gpuE7ELNS1_3repE0EEENS1_30default_config_static_selectorELNS0_4arch9wavefront6targetE0EEEvSM_,comdat
.Lfunc_end306:
	.size	_ZN7rocprim17ROCPRIM_400000_NS6detail17trampoline_kernelINS0_14default_configENS1_22reduce_config_selectorIbEEZNS1_11reduce_implILb1ES3_N6hipcub16HIPCUB_304000_NS22TransformInputIteratorIb7NonZeroIdEPdlEEPllNS8_6detail34convert_binary_result_type_wrapperINS8_3SumESD_lEEEE10hipError_tPvRmT1_T2_T3_mT4_P12ihipStream_tbEUlT_E0_NS1_11comp_targetILNS1_3genE3ELNS1_11target_archE908ELNS1_3gpuE7ELNS1_3repE0EEENS1_30default_config_static_selectorELNS0_4arch9wavefront6targetE0EEEvSM_, .Lfunc_end306-_ZN7rocprim17ROCPRIM_400000_NS6detail17trampoline_kernelINS0_14default_configENS1_22reduce_config_selectorIbEEZNS1_11reduce_implILb1ES3_N6hipcub16HIPCUB_304000_NS22TransformInputIteratorIb7NonZeroIdEPdlEEPllNS8_6detail34convert_binary_result_type_wrapperINS8_3SumESD_lEEEE10hipError_tPvRmT1_T2_T3_mT4_P12ihipStream_tbEUlT_E0_NS1_11comp_targetILNS1_3genE3ELNS1_11target_archE908ELNS1_3gpuE7ELNS1_3repE0EEENS1_30default_config_static_selectorELNS0_4arch9wavefront6targetE0EEEvSM_
                                        ; -- End function
	.section	.AMDGPU.csdata,"",@progbits
; Kernel info:
; codeLenInByte = 0
; NumSgprs: 0
; NumVgprs: 0
; ScratchSize: 0
; MemoryBound: 0
; FloatMode: 240
; IeeeMode: 1
; LDSByteSize: 0 bytes/workgroup (compile time only)
; SGPRBlocks: 0
; VGPRBlocks: 0
; NumSGPRsForWavesPerEU: 1
; NumVGPRsForWavesPerEU: 1
; Occupancy: 16
; WaveLimiterHint : 0
; COMPUTE_PGM_RSRC2:SCRATCH_EN: 0
; COMPUTE_PGM_RSRC2:USER_SGPR: 15
; COMPUTE_PGM_RSRC2:TRAP_HANDLER: 0
; COMPUTE_PGM_RSRC2:TGID_X_EN: 1
; COMPUTE_PGM_RSRC2:TGID_Y_EN: 0
; COMPUTE_PGM_RSRC2:TGID_Z_EN: 0
; COMPUTE_PGM_RSRC2:TIDIG_COMP_CNT: 0
	.section	.text._ZN7rocprim17ROCPRIM_400000_NS6detail17trampoline_kernelINS0_14default_configENS1_22reduce_config_selectorIbEEZNS1_11reduce_implILb1ES3_N6hipcub16HIPCUB_304000_NS22TransformInputIteratorIb7NonZeroIdEPdlEEPllNS8_6detail34convert_binary_result_type_wrapperINS8_3SumESD_lEEEE10hipError_tPvRmT1_T2_T3_mT4_P12ihipStream_tbEUlT_E0_NS1_11comp_targetILNS1_3genE2ELNS1_11target_archE906ELNS1_3gpuE6ELNS1_3repE0EEENS1_30default_config_static_selectorELNS0_4arch9wavefront6targetE0EEEvSM_,"axG",@progbits,_ZN7rocprim17ROCPRIM_400000_NS6detail17trampoline_kernelINS0_14default_configENS1_22reduce_config_selectorIbEEZNS1_11reduce_implILb1ES3_N6hipcub16HIPCUB_304000_NS22TransformInputIteratorIb7NonZeroIdEPdlEEPllNS8_6detail34convert_binary_result_type_wrapperINS8_3SumESD_lEEEE10hipError_tPvRmT1_T2_T3_mT4_P12ihipStream_tbEUlT_E0_NS1_11comp_targetILNS1_3genE2ELNS1_11target_archE906ELNS1_3gpuE6ELNS1_3repE0EEENS1_30default_config_static_selectorELNS0_4arch9wavefront6targetE0EEEvSM_,comdat
	.protected	_ZN7rocprim17ROCPRIM_400000_NS6detail17trampoline_kernelINS0_14default_configENS1_22reduce_config_selectorIbEEZNS1_11reduce_implILb1ES3_N6hipcub16HIPCUB_304000_NS22TransformInputIteratorIb7NonZeroIdEPdlEEPllNS8_6detail34convert_binary_result_type_wrapperINS8_3SumESD_lEEEE10hipError_tPvRmT1_T2_T3_mT4_P12ihipStream_tbEUlT_E0_NS1_11comp_targetILNS1_3genE2ELNS1_11target_archE906ELNS1_3gpuE6ELNS1_3repE0EEENS1_30default_config_static_selectorELNS0_4arch9wavefront6targetE0EEEvSM_ ; -- Begin function _ZN7rocprim17ROCPRIM_400000_NS6detail17trampoline_kernelINS0_14default_configENS1_22reduce_config_selectorIbEEZNS1_11reduce_implILb1ES3_N6hipcub16HIPCUB_304000_NS22TransformInputIteratorIb7NonZeroIdEPdlEEPllNS8_6detail34convert_binary_result_type_wrapperINS8_3SumESD_lEEEE10hipError_tPvRmT1_T2_T3_mT4_P12ihipStream_tbEUlT_E0_NS1_11comp_targetILNS1_3genE2ELNS1_11target_archE906ELNS1_3gpuE6ELNS1_3repE0EEENS1_30default_config_static_selectorELNS0_4arch9wavefront6targetE0EEEvSM_
	.globl	_ZN7rocprim17ROCPRIM_400000_NS6detail17trampoline_kernelINS0_14default_configENS1_22reduce_config_selectorIbEEZNS1_11reduce_implILb1ES3_N6hipcub16HIPCUB_304000_NS22TransformInputIteratorIb7NonZeroIdEPdlEEPllNS8_6detail34convert_binary_result_type_wrapperINS8_3SumESD_lEEEE10hipError_tPvRmT1_T2_T3_mT4_P12ihipStream_tbEUlT_E0_NS1_11comp_targetILNS1_3genE2ELNS1_11target_archE906ELNS1_3gpuE6ELNS1_3repE0EEENS1_30default_config_static_selectorELNS0_4arch9wavefront6targetE0EEEvSM_
	.p2align	8
	.type	_ZN7rocprim17ROCPRIM_400000_NS6detail17trampoline_kernelINS0_14default_configENS1_22reduce_config_selectorIbEEZNS1_11reduce_implILb1ES3_N6hipcub16HIPCUB_304000_NS22TransformInputIteratorIb7NonZeroIdEPdlEEPllNS8_6detail34convert_binary_result_type_wrapperINS8_3SumESD_lEEEE10hipError_tPvRmT1_T2_T3_mT4_P12ihipStream_tbEUlT_E0_NS1_11comp_targetILNS1_3genE2ELNS1_11target_archE906ELNS1_3gpuE6ELNS1_3repE0EEENS1_30default_config_static_selectorELNS0_4arch9wavefront6targetE0EEEvSM_,@function
_ZN7rocprim17ROCPRIM_400000_NS6detail17trampoline_kernelINS0_14default_configENS1_22reduce_config_selectorIbEEZNS1_11reduce_implILb1ES3_N6hipcub16HIPCUB_304000_NS22TransformInputIteratorIb7NonZeroIdEPdlEEPllNS8_6detail34convert_binary_result_type_wrapperINS8_3SumESD_lEEEE10hipError_tPvRmT1_T2_T3_mT4_P12ihipStream_tbEUlT_E0_NS1_11comp_targetILNS1_3genE2ELNS1_11target_archE906ELNS1_3gpuE6ELNS1_3repE0EEENS1_30default_config_static_selectorELNS0_4arch9wavefront6targetE0EEEvSM_: ; @_ZN7rocprim17ROCPRIM_400000_NS6detail17trampoline_kernelINS0_14default_configENS1_22reduce_config_selectorIbEEZNS1_11reduce_implILb1ES3_N6hipcub16HIPCUB_304000_NS22TransformInputIteratorIb7NonZeroIdEPdlEEPllNS8_6detail34convert_binary_result_type_wrapperINS8_3SumESD_lEEEE10hipError_tPvRmT1_T2_T3_mT4_P12ihipStream_tbEUlT_E0_NS1_11comp_targetILNS1_3genE2ELNS1_11target_archE906ELNS1_3gpuE6ELNS1_3repE0EEENS1_30default_config_static_selectorELNS0_4arch9wavefront6targetE0EEEvSM_
; %bb.0:
	.section	.rodata,"a",@progbits
	.p2align	6, 0x0
	.amdhsa_kernel _ZN7rocprim17ROCPRIM_400000_NS6detail17trampoline_kernelINS0_14default_configENS1_22reduce_config_selectorIbEEZNS1_11reduce_implILb1ES3_N6hipcub16HIPCUB_304000_NS22TransformInputIteratorIb7NonZeroIdEPdlEEPllNS8_6detail34convert_binary_result_type_wrapperINS8_3SumESD_lEEEE10hipError_tPvRmT1_T2_T3_mT4_P12ihipStream_tbEUlT_E0_NS1_11comp_targetILNS1_3genE2ELNS1_11target_archE906ELNS1_3gpuE6ELNS1_3repE0EEENS1_30default_config_static_selectorELNS0_4arch9wavefront6targetE0EEEvSM_
		.amdhsa_group_segment_fixed_size 0
		.amdhsa_private_segment_fixed_size 0
		.amdhsa_kernarg_size 72
		.amdhsa_user_sgpr_count 15
		.amdhsa_user_sgpr_dispatch_ptr 0
		.amdhsa_user_sgpr_queue_ptr 0
		.amdhsa_user_sgpr_kernarg_segment_ptr 1
		.amdhsa_user_sgpr_dispatch_id 0
		.amdhsa_user_sgpr_private_segment_size 0
		.amdhsa_wavefront_size32 1
		.amdhsa_uses_dynamic_stack 0
		.amdhsa_enable_private_segment 0
		.amdhsa_system_sgpr_workgroup_id_x 1
		.amdhsa_system_sgpr_workgroup_id_y 0
		.amdhsa_system_sgpr_workgroup_id_z 0
		.amdhsa_system_sgpr_workgroup_info 0
		.amdhsa_system_vgpr_workitem_id 0
		.amdhsa_next_free_vgpr 1
		.amdhsa_next_free_sgpr 1
		.amdhsa_reserve_vcc 0
		.amdhsa_float_round_mode_32 0
		.amdhsa_float_round_mode_16_64 0
		.amdhsa_float_denorm_mode_32 3
		.amdhsa_float_denorm_mode_16_64 3
		.amdhsa_dx10_clamp 1
		.amdhsa_ieee_mode 1
		.amdhsa_fp16_overflow 0
		.amdhsa_workgroup_processor_mode 1
		.amdhsa_memory_ordered 1
		.amdhsa_forward_progress 0
		.amdhsa_shared_vgpr_count 0
		.amdhsa_exception_fp_ieee_invalid_op 0
		.amdhsa_exception_fp_denorm_src 0
		.amdhsa_exception_fp_ieee_div_zero 0
		.amdhsa_exception_fp_ieee_overflow 0
		.amdhsa_exception_fp_ieee_underflow 0
		.amdhsa_exception_fp_ieee_inexact 0
		.amdhsa_exception_int_div_zero 0
	.end_amdhsa_kernel
	.section	.text._ZN7rocprim17ROCPRIM_400000_NS6detail17trampoline_kernelINS0_14default_configENS1_22reduce_config_selectorIbEEZNS1_11reduce_implILb1ES3_N6hipcub16HIPCUB_304000_NS22TransformInputIteratorIb7NonZeroIdEPdlEEPllNS8_6detail34convert_binary_result_type_wrapperINS8_3SumESD_lEEEE10hipError_tPvRmT1_T2_T3_mT4_P12ihipStream_tbEUlT_E0_NS1_11comp_targetILNS1_3genE2ELNS1_11target_archE906ELNS1_3gpuE6ELNS1_3repE0EEENS1_30default_config_static_selectorELNS0_4arch9wavefront6targetE0EEEvSM_,"axG",@progbits,_ZN7rocprim17ROCPRIM_400000_NS6detail17trampoline_kernelINS0_14default_configENS1_22reduce_config_selectorIbEEZNS1_11reduce_implILb1ES3_N6hipcub16HIPCUB_304000_NS22TransformInputIteratorIb7NonZeroIdEPdlEEPllNS8_6detail34convert_binary_result_type_wrapperINS8_3SumESD_lEEEE10hipError_tPvRmT1_T2_T3_mT4_P12ihipStream_tbEUlT_E0_NS1_11comp_targetILNS1_3genE2ELNS1_11target_archE906ELNS1_3gpuE6ELNS1_3repE0EEENS1_30default_config_static_selectorELNS0_4arch9wavefront6targetE0EEEvSM_,comdat
.Lfunc_end307:
	.size	_ZN7rocprim17ROCPRIM_400000_NS6detail17trampoline_kernelINS0_14default_configENS1_22reduce_config_selectorIbEEZNS1_11reduce_implILb1ES3_N6hipcub16HIPCUB_304000_NS22TransformInputIteratorIb7NonZeroIdEPdlEEPllNS8_6detail34convert_binary_result_type_wrapperINS8_3SumESD_lEEEE10hipError_tPvRmT1_T2_T3_mT4_P12ihipStream_tbEUlT_E0_NS1_11comp_targetILNS1_3genE2ELNS1_11target_archE906ELNS1_3gpuE6ELNS1_3repE0EEENS1_30default_config_static_selectorELNS0_4arch9wavefront6targetE0EEEvSM_, .Lfunc_end307-_ZN7rocprim17ROCPRIM_400000_NS6detail17trampoline_kernelINS0_14default_configENS1_22reduce_config_selectorIbEEZNS1_11reduce_implILb1ES3_N6hipcub16HIPCUB_304000_NS22TransformInputIteratorIb7NonZeroIdEPdlEEPllNS8_6detail34convert_binary_result_type_wrapperINS8_3SumESD_lEEEE10hipError_tPvRmT1_T2_T3_mT4_P12ihipStream_tbEUlT_E0_NS1_11comp_targetILNS1_3genE2ELNS1_11target_archE906ELNS1_3gpuE6ELNS1_3repE0EEENS1_30default_config_static_selectorELNS0_4arch9wavefront6targetE0EEEvSM_
                                        ; -- End function
	.section	.AMDGPU.csdata,"",@progbits
; Kernel info:
; codeLenInByte = 0
; NumSgprs: 0
; NumVgprs: 0
; ScratchSize: 0
; MemoryBound: 0
; FloatMode: 240
; IeeeMode: 1
; LDSByteSize: 0 bytes/workgroup (compile time only)
; SGPRBlocks: 0
; VGPRBlocks: 0
; NumSGPRsForWavesPerEU: 1
; NumVGPRsForWavesPerEU: 1
; Occupancy: 16
; WaveLimiterHint : 0
; COMPUTE_PGM_RSRC2:SCRATCH_EN: 0
; COMPUTE_PGM_RSRC2:USER_SGPR: 15
; COMPUTE_PGM_RSRC2:TRAP_HANDLER: 0
; COMPUTE_PGM_RSRC2:TGID_X_EN: 1
; COMPUTE_PGM_RSRC2:TGID_Y_EN: 0
; COMPUTE_PGM_RSRC2:TGID_Z_EN: 0
; COMPUTE_PGM_RSRC2:TIDIG_COMP_CNT: 0
	.section	.text._ZN7rocprim17ROCPRIM_400000_NS6detail17trampoline_kernelINS0_14default_configENS1_22reduce_config_selectorIbEEZNS1_11reduce_implILb1ES3_N6hipcub16HIPCUB_304000_NS22TransformInputIteratorIb7NonZeroIdEPdlEEPllNS8_6detail34convert_binary_result_type_wrapperINS8_3SumESD_lEEEE10hipError_tPvRmT1_T2_T3_mT4_P12ihipStream_tbEUlT_E0_NS1_11comp_targetILNS1_3genE10ELNS1_11target_archE1201ELNS1_3gpuE5ELNS1_3repE0EEENS1_30default_config_static_selectorELNS0_4arch9wavefront6targetE0EEEvSM_,"axG",@progbits,_ZN7rocprim17ROCPRIM_400000_NS6detail17trampoline_kernelINS0_14default_configENS1_22reduce_config_selectorIbEEZNS1_11reduce_implILb1ES3_N6hipcub16HIPCUB_304000_NS22TransformInputIteratorIb7NonZeroIdEPdlEEPllNS8_6detail34convert_binary_result_type_wrapperINS8_3SumESD_lEEEE10hipError_tPvRmT1_T2_T3_mT4_P12ihipStream_tbEUlT_E0_NS1_11comp_targetILNS1_3genE10ELNS1_11target_archE1201ELNS1_3gpuE5ELNS1_3repE0EEENS1_30default_config_static_selectorELNS0_4arch9wavefront6targetE0EEEvSM_,comdat
	.protected	_ZN7rocprim17ROCPRIM_400000_NS6detail17trampoline_kernelINS0_14default_configENS1_22reduce_config_selectorIbEEZNS1_11reduce_implILb1ES3_N6hipcub16HIPCUB_304000_NS22TransformInputIteratorIb7NonZeroIdEPdlEEPllNS8_6detail34convert_binary_result_type_wrapperINS8_3SumESD_lEEEE10hipError_tPvRmT1_T2_T3_mT4_P12ihipStream_tbEUlT_E0_NS1_11comp_targetILNS1_3genE10ELNS1_11target_archE1201ELNS1_3gpuE5ELNS1_3repE0EEENS1_30default_config_static_selectorELNS0_4arch9wavefront6targetE0EEEvSM_ ; -- Begin function _ZN7rocprim17ROCPRIM_400000_NS6detail17trampoline_kernelINS0_14default_configENS1_22reduce_config_selectorIbEEZNS1_11reduce_implILb1ES3_N6hipcub16HIPCUB_304000_NS22TransformInputIteratorIb7NonZeroIdEPdlEEPllNS8_6detail34convert_binary_result_type_wrapperINS8_3SumESD_lEEEE10hipError_tPvRmT1_T2_T3_mT4_P12ihipStream_tbEUlT_E0_NS1_11comp_targetILNS1_3genE10ELNS1_11target_archE1201ELNS1_3gpuE5ELNS1_3repE0EEENS1_30default_config_static_selectorELNS0_4arch9wavefront6targetE0EEEvSM_
	.globl	_ZN7rocprim17ROCPRIM_400000_NS6detail17trampoline_kernelINS0_14default_configENS1_22reduce_config_selectorIbEEZNS1_11reduce_implILb1ES3_N6hipcub16HIPCUB_304000_NS22TransformInputIteratorIb7NonZeroIdEPdlEEPllNS8_6detail34convert_binary_result_type_wrapperINS8_3SumESD_lEEEE10hipError_tPvRmT1_T2_T3_mT4_P12ihipStream_tbEUlT_E0_NS1_11comp_targetILNS1_3genE10ELNS1_11target_archE1201ELNS1_3gpuE5ELNS1_3repE0EEENS1_30default_config_static_selectorELNS0_4arch9wavefront6targetE0EEEvSM_
	.p2align	8
	.type	_ZN7rocprim17ROCPRIM_400000_NS6detail17trampoline_kernelINS0_14default_configENS1_22reduce_config_selectorIbEEZNS1_11reduce_implILb1ES3_N6hipcub16HIPCUB_304000_NS22TransformInputIteratorIb7NonZeroIdEPdlEEPllNS8_6detail34convert_binary_result_type_wrapperINS8_3SumESD_lEEEE10hipError_tPvRmT1_T2_T3_mT4_P12ihipStream_tbEUlT_E0_NS1_11comp_targetILNS1_3genE10ELNS1_11target_archE1201ELNS1_3gpuE5ELNS1_3repE0EEENS1_30default_config_static_selectorELNS0_4arch9wavefront6targetE0EEEvSM_,@function
_ZN7rocprim17ROCPRIM_400000_NS6detail17trampoline_kernelINS0_14default_configENS1_22reduce_config_selectorIbEEZNS1_11reduce_implILb1ES3_N6hipcub16HIPCUB_304000_NS22TransformInputIteratorIb7NonZeroIdEPdlEEPllNS8_6detail34convert_binary_result_type_wrapperINS8_3SumESD_lEEEE10hipError_tPvRmT1_T2_T3_mT4_P12ihipStream_tbEUlT_E0_NS1_11comp_targetILNS1_3genE10ELNS1_11target_archE1201ELNS1_3gpuE5ELNS1_3repE0EEENS1_30default_config_static_selectorELNS0_4arch9wavefront6targetE0EEEvSM_: ; @_ZN7rocprim17ROCPRIM_400000_NS6detail17trampoline_kernelINS0_14default_configENS1_22reduce_config_selectorIbEEZNS1_11reduce_implILb1ES3_N6hipcub16HIPCUB_304000_NS22TransformInputIteratorIb7NonZeroIdEPdlEEPllNS8_6detail34convert_binary_result_type_wrapperINS8_3SumESD_lEEEE10hipError_tPvRmT1_T2_T3_mT4_P12ihipStream_tbEUlT_E0_NS1_11comp_targetILNS1_3genE10ELNS1_11target_archE1201ELNS1_3gpuE5ELNS1_3repE0EEENS1_30default_config_static_selectorELNS0_4arch9wavefront6targetE0EEEvSM_
; %bb.0:
	.section	.rodata,"a",@progbits
	.p2align	6, 0x0
	.amdhsa_kernel _ZN7rocprim17ROCPRIM_400000_NS6detail17trampoline_kernelINS0_14default_configENS1_22reduce_config_selectorIbEEZNS1_11reduce_implILb1ES3_N6hipcub16HIPCUB_304000_NS22TransformInputIteratorIb7NonZeroIdEPdlEEPllNS8_6detail34convert_binary_result_type_wrapperINS8_3SumESD_lEEEE10hipError_tPvRmT1_T2_T3_mT4_P12ihipStream_tbEUlT_E0_NS1_11comp_targetILNS1_3genE10ELNS1_11target_archE1201ELNS1_3gpuE5ELNS1_3repE0EEENS1_30default_config_static_selectorELNS0_4arch9wavefront6targetE0EEEvSM_
		.amdhsa_group_segment_fixed_size 0
		.amdhsa_private_segment_fixed_size 0
		.amdhsa_kernarg_size 72
		.amdhsa_user_sgpr_count 15
		.amdhsa_user_sgpr_dispatch_ptr 0
		.amdhsa_user_sgpr_queue_ptr 0
		.amdhsa_user_sgpr_kernarg_segment_ptr 1
		.amdhsa_user_sgpr_dispatch_id 0
		.amdhsa_user_sgpr_private_segment_size 0
		.amdhsa_wavefront_size32 1
		.amdhsa_uses_dynamic_stack 0
		.amdhsa_enable_private_segment 0
		.amdhsa_system_sgpr_workgroup_id_x 1
		.amdhsa_system_sgpr_workgroup_id_y 0
		.amdhsa_system_sgpr_workgroup_id_z 0
		.amdhsa_system_sgpr_workgroup_info 0
		.amdhsa_system_vgpr_workitem_id 0
		.amdhsa_next_free_vgpr 1
		.amdhsa_next_free_sgpr 1
		.amdhsa_reserve_vcc 0
		.amdhsa_float_round_mode_32 0
		.amdhsa_float_round_mode_16_64 0
		.amdhsa_float_denorm_mode_32 3
		.amdhsa_float_denorm_mode_16_64 3
		.amdhsa_dx10_clamp 1
		.amdhsa_ieee_mode 1
		.amdhsa_fp16_overflow 0
		.amdhsa_workgroup_processor_mode 1
		.amdhsa_memory_ordered 1
		.amdhsa_forward_progress 0
		.amdhsa_shared_vgpr_count 0
		.amdhsa_exception_fp_ieee_invalid_op 0
		.amdhsa_exception_fp_denorm_src 0
		.amdhsa_exception_fp_ieee_div_zero 0
		.amdhsa_exception_fp_ieee_overflow 0
		.amdhsa_exception_fp_ieee_underflow 0
		.amdhsa_exception_fp_ieee_inexact 0
		.amdhsa_exception_int_div_zero 0
	.end_amdhsa_kernel
	.section	.text._ZN7rocprim17ROCPRIM_400000_NS6detail17trampoline_kernelINS0_14default_configENS1_22reduce_config_selectorIbEEZNS1_11reduce_implILb1ES3_N6hipcub16HIPCUB_304000_NS22TransformInputIteratorIb7NonZeroIdEPdlEEPllNS8_6detail34convert_binary_result_type_wrapperINS8_3SumESD_lEEEE10hipError_tPvRmT1_T2_T3_mT4_P12ihipStream_tbEUlT_E0_NS1_11comp_targetILNS1_3genE10ELNS1_11target_archE1201ELNS1_3gpuE5ELNS1_3repE0EEENS1_30default_config_static_selectorELNS0_4arch9wavefront6targetE0EEEvSM_,"axG",@progbits,_ZN7rocprim17ROCPRIM_400000_NS6detail17trampoline_kernelINS0_14default_configENS1_22reduce_config_selectorIbEEZNS1_11reduce_implILb1ES3_N6hipcub16HIPCUB_304000_NS22TransformInputIteratorIb7NonZeroIdEPdlEEPllNS8_6detail34convert_binary_result_type_wrapperINS8_3SumESD_lEEEE10hipError_tPvRmT1_T2_T3_mT4_P12ihipStream_tbEUlT_E0_NS1_11comp_targetILNS1_3genE10ELNS1_11target_archE1201ELNS1_3gpuE5ELNS1_3repE0EEENS1_30default_config_static_selectorELNS0_4arch9wavefront6targetE0EEEvSM_,comdat
.Lfunc_end308:
	.size	_ZN7rocprim17ROCPRIM_400000_NS6detail17trampoline_kernelINS0_14default_configENS1_22reduce_config_selectorIbEEZNS1_11reduce_implILb1ES3_N6hipcub16HIPCUB_304000_NS22TransformInputIteratorIb7NonZeroIdEPdlEEPllNS8_6detail34convert_binary_result_type_wrapperINS8_3SumESD_lEEEE10hipError_tPvRmT1_T2_T3_mT4_P12ihipStream_tbEUlT_E0_NS1_11comp_targetILNS1_3genE10ELNS1_11target_archE1201ELNS1_3gpuE5ELNS1_3repE0EEENS1_30default_config_static_selectorELNS0_4arch9wavefront6targetE0EEEvSM_, .Lfunc_end308-_ZN7rocprim17ROCPRIM_400000_NS6detail17trampoline_kernelINS0_14default_configENS1_22reduce_config_selectorIbEEZNS1_11reduce_implILb1ES3_N6hipcub16HIPCUB_304000_NS22TransformInputIteratorIb7NonZeroIdEPdlEEPllNS8_6detail34convert_binary_result_type_wrapperINS8_3SumESD_lEEEE10hipError_tPvRmT1_T2_T3_mT4_P12ihipStream_tbEUlT_E0_NS1_11comp_targetILNS1_3genE10ELNS1_11target_archE1201ELNS1_3gpuE5ELNS1_3repE0EEENS1_30default_config_static_selectorELNS0_4arch9wavefront6targetE0EEEvSM_
                                        ; -- End function
	.section	.AMDGPU.csdata,"",@progbits
; Kernel info:
; codeLenInByte = 0
; NumSgprs: 0
; NumVgprs: 0
; ScratchSize: 0
; MemoryBound: 0
; FloatMode: 240
; IeeeMode: 1
; LDSByteSize: 0 bytes/workgroup (compile time only)
; SGPRBlocks: 0
; VGPRBlocks: 0
; NumSGPRsForWavesPerEU: 1
; NumVGPRsForWavesPerEU: 1
; Occupancy: 16
; WaveLimiterHint : 0
; COMPUTE_PGM_RSRC2:SCRATCH_EN: 0
; COMPUTE_PGM_RSRC2:USER_SGPR: 15
; COMPUTE_PGM_RSRC2:TRAP_HANDLER: 0
; COMPUTE_PGM_RSRC2:TGID_X_EN: 1
; COMPUTE_PGM_RSRC2:TGID_Y_EN: 0
; COMPUTE_PGM_RSRC2:TGID_Z_EN: 0
; COMPUTE_PGM_RSRC2:TIDIG_COMP_CNT: 0
	.section	.text._ZN7rocprim17ROCPRIM_400000_NS6detail17trampoline_kernelINS0_14default_configENS1_22reduce_config_selectorIbEEZNS1_11reduce_implILb1ES3_N6hipcub16HIPCUB_304000_NS22TransformInputIteratorIb7NonZeroIdEPdlEEPllNS8_6detail34convert_binary_result_type_wrapperINS8_3SumESD_lEEEE10hipError_tPvRmT1_T2_T3_mT4_P12ihipStream_tbEUlT_E0_NS1_11comp_targetILNS1_3genE10ELNS1_11target_archE1200ELNS1_3gpuE4ELNS1_3repE0EEENS1_30default_config_static_selectorELNS0_4arch9wavefront6targetE0EEEvSM_,"axG",@progbits,_ZN7rocprim17ROCPRIM_400000_NS6detail17trampoline_kernelINS0_14default_configENS1_22reduce_config_selectorIbEEZNS1_11reduce_implILb1ES3_N6hipcub16HIPCUB_304000_NS22TransformInputIteratorIb7NonZeroIdEPdlEEPllNS8_6detail34convert_binary_result_type_wrapperINS8_3SumESD_lEEEE10hipError_tPvRmT1_T2_T3_mT4_P12ihipStream_tbEUlT_E0_NS1_11comp_targetILNS1_3genE10ELNS1_11target_archE1200ELNS1_3gpuE4ELNS1_3repE0EEENS1_30default_config_static_selectorELNS0_4arch9wavefront6targetE0EEEvSM_,comdat
	.protected	_ZN7rocprim17ROCPRIM_400000_NS6detail17trampoline_kernelINS0_14default_configENS1_22reduce_config_selectorIbEEZNS1_11reduce_implILb1ES3_N6hipcub16HIPCUB_304000_NS22TransformInputIteratorIb7NonZeroIdEPdlEEPllNS8_6detail34convert_binary_result_type_wrapperINS8_3SumESD_lEEEE10hipError_tPvRmT1_T2_T3_mT4_P12ihipStream_tbEUlT_E0_NS1_11comp_targetILNS1_3genE10ELNS1_11target_archE1200ELNS1_3gpuE4ELNS1_3repE0EEENS1_30default_config_static_selectorELNS0_4arch9wavefront6targetE0EEEvSM_ ; -- Begin function _ZN7rocprim17ROCPRIM_400000_NS6detail17trampoline_kernelINS0_14default_configENS1_22reduce_config_selectorIbEEZNS1_11reduce_implILb1ES3_N6hipcub16HIPCUB_304000_NS22TransformInputIteratorIb7NonZeroIdEPdlEEPllNS8_6detail34convert_binary_result_type_wrapperINS8_3SumESD_lEEEE10hipError_tPvRmT1_T2_T3_mT4_P12ihipStream_tbEUlT_E0_NS1_11comp_targetILNS1_3genE10ELNS1_11target_archE1200ELNS1_3gpuE4ELNS1_3repE0EEENS1_30default_config_static_selectorELNS0_4arch9wavefront6targetE0EEEvSM_
	.globl	_ZN7rocprim17ROCPRIM_400000_NS6detail17trampoline_kernelINS0_14default_configENS1_22reduce_config_selectorIbEEZNS1_11reduce_implILb1ES3_N6hipcub16HIPCUB_304000_NS22TransformInputIteratorIb7NonZeroIdEPdlEEPllNS8_6detail34convert_binary_result_type_wrapperINS8_3SumESD_lEEEE10hipError_tPvRmT1_T2_T3_mT4_P12ihipStream_tbEUlT_E0_NS1_11comp_targetILNS1_3genE10ELNS1_11target_archE1200ELNS1_3gpuE4ELNS1_3repE0EEENS1_30default_config_static_selectorELNS0_4arch9wavefront6targetE0EEEvSM_
	.p2align	8
	.type	_ZN7rocprim17ROCPRIM_400000_NS6detail17trampoline_kernelINS0_14default_configENS1_22reduce_config_selectorIbEEZNS1_11reduce_implILb1ES3_N6hipcub16HIPCUB_304000_NS22TransformInputIteratorIb7NonZeroIdEPdlEEPllNS8_6detail34convert_binary_result_type_wrapperINS8_3SumESD_lEEEE10hipError_tPvRmT1_T2_T3_mT4_P12ihipStream_tbEUlT_E0_NS1_11comp_targetILNS1_3genE10ELNS1_11target_archE1200ELNS1_3gpuE4ELNS1_3repE0EEENS1_30default_config_static_selectorELNS0_4arch9wavefront6targetE0EEEvSM_,@function
_ZN7rocprim17ROCPRIM_400000_NS6detail17trampoline_kernelINS0_14default_configENS1_22reduce_config_selectorIbEEZNS1_11reduce_implILb1ES3_N6hipcub16HIPCUB_304000_NS22TransformInputIteratorIb7NonZeroIdEPdlEEPllNS8_6detail34convert_binary_result_type_wrapperINS8_3SumESD_lEEEE10hipError_tPvRmT1_T2_T3_mT4_P12ihipStream_tbEUlT_E0_NS1_11comp_targetILNS1_3genE10ELNS1_11target_archE1200ELNS1_3gpuE4ELNS1_3repE0EEENS1_30default_config_static_selectorELNS0_4arch9wavefront6targetE0EEEvSM_: ; @_ZN7rocprim17ROCPRIM_400000_NS6detail17trampoline_kernelINS0_14default_configENS1_22reduce_config_selectorIbEEZNS1_11reduce_implILb1ES3_N6hipcub16HIPCUB_304000_NS22TransformInputIteratorIb7NonZeroIdEPdlEEPllNS8_6detail34convert_binary_result_type_wrapperINS8_3SumESD_lEEEE10hipError_tPvRmT1_T2_T3_mT4_P12ihipStream_tbEUlT_E0_NS1_11comp_targetILNS1_3genE10ELNS1_11target_archE1200ELNS1_3gpuE4ELNS1_3repE0EEENS1_30default_config_static_selectorELNS0_4arch9wavefront6targetE0EEEvSM_
; %bb.0:
	.section	.rodata,"a",@progbits
	.p2align	6, 0x0
	.amdhsa_kernel _ZN7rocprim17ROCPRIM_400000_NS6detail17trampoline_kernelINS0_14default_configENS1_22reduce_config_selectorIbEEZNS1_11reduce_implILb1ES3_N6hipcub16HIPCUB_304000_NS22TransformInputIteratorIb7NonZeroIdEPdlEEPllNS8_6detail34convert_binary_result_type_wrapperINS8_3SumESD_lEEEE10hipError_tPvRmT1_T2_T3_mT4_P12ihipStream_tbEUlT_E0_NS1_11comp_targetILNS1_3genE10ELNS1_11target_archE1200ELNS1_3gpuE4ELNS1_3repE0EEENS1_30default_config_static_selectorELNS0_4arch9wavefront6targetE0EEEvSM_
		.amdhsa_group_segment_fixed_size 0
		.amdhsa_private_segment_fixed_size 0
		.amdhsa_kernarg_size 72
		.amdhsa_user_sgpr_count 15
		.amdhsa_user_sgpr_dispatch_ptr 0
		.amdhsa_user_sgpr_queue_ptr 0
		.amdhsa_user_sgpr_kernarg_segment_ptr 1
		.amdhsa_user_sgpr_dispatch_id 0
		.amdhsa_user_sgpr_private_segment_size 0
		.amdhsa_wavefront_size32 1
		.amdhsa_uses_dynamic_stack 0
		.amdhsa_enable_private_segment 0
		.amdhsa_system_sgpr_workgroup_id_x 1
		.amdhsa_system_sgpr_workgroup_id_y 0
		.amdhsa_system_sgpr_workgroup_id_z 0
		.amdhsa_system_sgpr_workgroup_info 0
		.amdhsa_system_vgpr_workitem_id 0
		.amdhsa_next_free_vgpr 1
		.amdhsa_next_free_sgpr 1
		.amdhsa_reserve_vcc 0
		.amdhsa_float_round_mode_32 0
		.amdhsa_float_round_mode_16_64 0
		.amdhsa_float_denorm_mode_32 3
		.amdhsa_float_denorm_mode_16_64 3
		.amdhsa_dx10_clamp 1
		.amdhsa_ieee_mode 1
		.amdhsa_fp16_overflow 0
		.amdhsa_workgroup_processor_mode 1
		.amdhsa_memory_ordered 1
		.amdhsa_forward_progress 0
		.amdhsa_shared_vgpr_count 0
		.amdhsa_exception_fp_ieee_invalid_op 0
		.amdhsa_exception_fp_denorm_src 0
		.amdhsa_exception_fp_ieee_div_zero 0
		.amdhsa_exception_fp_ieee_overflow 0
		.amdhsa_exception_fp_ieee_underflow 0
		.amdhsa_exception_fp_ieee_inexact 0
		.amdhsa_exception_int_div_zero 0
	.end_amdhsa_kernel
	.section	.text._ZN7rocprim17ROCPRIM_400000_NS6detail17trampoline_kernelINS0_14default_configENS1_22reduce_config_selectorIbEEZNS1_11reduce_implILb1ES3_N6hipcub16HIPCUB_304000_NS22TransformInputIteratorIb7NonZeroIdEPdlEEPllNS8_6detail34convert_binary_result_type_wrapperINS8_3SumESD_lEEEE10hipError_tPvRmT1_T2_T3_mT4_P12ihipStream_tbEUlT_E0_NS1_11comp_targetILNS1_3genE10ELNS1_11target_archE1200ELNS1_3gpuE4ELNS1_3repE0EEENS1_30default_config_static_selectorELNS0_4arch9wavefront6targetE0EEEvSM_,"axG",@progbits,_ZN7rocprim17ROCPRIM_400000_NS6detail17trampoline_kernelINS0_14default_configENS1_22reduce_config_selectorIbEEZNS1_11reduce_implILb1ES3_N6hipcub16HIPCUB_304000_NS22TransformInputIteratorIb7NonZeroIdEPdlEEPllNS8_6detail34convert_binary_result_type_wrapperINS8_3SumESD_lEEEE10hipError_tPvRmT1_T2_T3_mT4_P12ihipStream_tbEUlT_E0_NS1_11comp_targetILNS1_3genE10ELNS1_11target_archE1200ELNS1_3gpuE4ELNS1_3repE0EEENS1_30default_config_static_selectorELNS0_4arch9wavefront6targetE0EEEvSM_,comdat
.Lfunc_end309:
	.size	_ZN7rocprim17ROCPRIM_400000_NS6detail17trampoline_kernelINS0_14default_configENS1_22reduce_config_selectorIbEEZNS1_11reduce_implILb1ES3_N6hipcub16HIPCUB_304000_NS22TransformInputIteratorIb7NonZeroIdEPdlEEPllNS8_6detail34convert_binary_result_type_wrapperINS8_3SumESD_lEEEE10hipError_tPvRmT1_T2_T3_mT4_P12ihipStream_tbEUlT_E0_NS1_11comp_targetILNS1_3genE10ELNS1_11target_archE1200ELNS1_3gpuE4ELNS1_3repE0EEENS1_30default_config_static_selectorELNS0_4arch9wavefront6targetE0EEEvSM_, .Lfunc_end309-_ZN7rocprim17ROCPRIM_400000_NS6detail17trampoline_kernelINS0_14default_configENS1_22reduce_config_selectorIbEEZNS1_11reduce_implILb1ES3_N6hipcub16HIPCUB_304000_NS22TransformInputIteratorIb7NonZeroIdEPdlEEPllNS8_6detail34convert_binary_result_type_wrapperINS8_3SumESD_lEEEE10hipError_tPvRmT1_T2_T3_mT4_P12ihipStream_tbEUlT_E0_NS1_11comp_targetILNS1_3genE10ELNS1_11target_archE1200ELNS1_3gpuE4ELNS1_3repE0EEENS1_30default_config_static_selectorELNS0_4arch9wavefront6targetE0EEEvSM_
                                        ; -- End function
	.section	.AMDGPU.csdata,"",@progbits
; Kernel info:
; codeLenInByte = 0
; NumSgprs: 0
; NumVgprs: 0
; ScratchSize: 0
; MemoryBound: 0
; FloatMode: 240
; IeeeMode: 1
; LDSByteSize: 0 bytes/workgroup (compile time only)
; SGPRBlocks: 0
; VGPRBlocks: 0
; NumSGPRsForWavesPerEU: 1
; NumVGPRsForWavesPerEU: 1
; Occupancy: 16
; WaveLimiterHint : 0
; COMPUTE_PGM_RSRC2:SCRATCH_EN: 0
; COMPUTE_PGM_RSRC2:USER_SGPR: 15
; COMPUTE_PGM_RSRC2:TRAP_HANDLER: 0
; COMPUTE_PGM_RSRC2:TGID_X_EN: 1
; COMPUTE_PGM_RSRC2:TGID_Y_EN: 0
; COMPUTE_PGM_RSRC2:TGID_Z_EN: 0
; COMPUTE_PGM_RSRC2:TIDIG_COMP_CNT: 0
	.section	.text._ZN7rocprim17ROCPRIM_400000_NS6detail17trampoline_kernelINS0_14default_configENS1_22reduce_config_selectorIbEEZNS1_11reduce_implILb1ES3_N6hipcub16HIPCUB_304000_NS22TransformInputIteratorIb7NonZeroIdEPdlEEPllNS8_6detail34convert_binary_result_type_wrapperINS8_3SumESD_lEEEE10hipError_tPvRmT1_T2_T3_mT4_P12ihipStream_tbEUlT_E0_NS1_11comp_targetILNS1_3genE9ELNS1_11target_archE1100ELNS1_3gpuE3ELNS1_3repE0EEENS1_30default_config_static_selectorELNS0_4arch9wavefront6targetE0EEEvSM_,"axG",@progbits,_ZN7rocprim17ROCPRIM_400000_NS6detail17trampoline_kernelINS0_14default_configENS1_22reduce_config_selectorIbEEZNS1_11reduce_implILb1ES3_N6hipcub16HIPCUB_304000_NS22TransformInputIteratorIb7NonZeroIdEPdlEEPllNS8_6detail34convert_binary_result_type_wrapperINS8_3SumESD_lEEEE10hipError_tPvRmT1_T2_T3_mT4_P12ihipStream_tbEUlT_E0_NS1_11comp_targetILNS1_3genE9ELNS1_11target_archE1100ELNS1_3gpuE3ELNS1_3repE0EEENS1_30default_config_static_selectorELNS0_4arch9wavefront6targetE0EEEvSM_,comdat
	.protected	_ZN7rocprim17ROCPRIM_400000_NS6detail17trampoline_kernelINS0_14default_configENS1_22reduce_config_selectorIbEEZNS1_11reduce_implILb1ES3_N6hipcub16HIPCUB_304000_NS22TransformInputIteratorIb7NonZeroIdEPdlEEPllNS8_6detail34convert_binary_result_type_wrapperINS8_3SumESD_lEEEE10hipError_tPvRmT1_T2_T3_mT4_P12ihipStream_tbEUlT_E0_NS1_11comp_targetILNS1_3genE9ELNS1_11target_archE1100ELNS1_3gpuE3ELNS1_3repE0EEENS1_30default_config_static_selectorELNS0_4arch9wavefront6targetE0EEEvSM_ ; -- Begin function _ZN7rocprim17ROCPRIM_400000_NS6detail17trampoline_kernelINS0_14default_configENS1_22reduce_config_selectorIbEEZNS1_11reduce_implILb1ES3_N6hipcub16HIPCUB_304000_NS22TransformInputIteratorIb7NonZeroIdEPdlEEPllNS8_6detail34convert_binary_result_type_wrapperINS8_3SumESD_lEEEE10hipError_tPvRmT1_T2_T3_mT4_P12ihipStream_tbEUlT_E0_NS1_11comp_targetILNS1_3genE9ELNS1_11target_archE1100ELNS1_3gpuE3ELNS1_3repE0EEENS1_30default_config_static_selectorELNS0_4arch9wavefront6targetE0EEEvSM_
	.globl	_ZN7rocprim17ROCPRIM_400000_NS6detail17trampoline_kernelINS0_14default_configENS1_22reduce_config_selectorIbEEZNS1_11reduce_implILb1ES3_N6hipcub16HIPCUB_304000_NS22TransformInputIteratorIb7NonZeroIdEPdlEEPllNS8_6detail34convert_binary_result_type_wrapperINS8_3SumESD_lEEEE10hipError_tPvRmT1_T2_T3_mT4_P12ihipStream_tbEUlT_E0_NS1_11comp_targetILNS1_3genE9ELNS1_11target_archE1100ELNS1_3gpuE3ELNS1_3repE0EEENS1_30default_config_static_selectorELNS0_4arch9wavefront6targetE0EEEvSM_
	.p2align	8
	.type	_ZN7rocprim17ROCPRIM_400000_NS6detail17trampoline_kernelINS0_14default_configENS1_22reduce_config_selectorIbEEZNS1_11reduce_implILb1ES3_N6hipcub16HIPCUB_304000_NS22TransformInputIteratorIb7NonZeroIdEPdlEEPllNS8_6detail34convert_binary_result_type_wrapperINS8_3SumESD_lEEEE10hipError_tPvRmT1_T2_T3_mT4_P12ihipStream_tbEUlT_E0_NS1_11comp_targetILNS1_3genE9ELNS1_11target_archE1100ELNS1_3gpuE3ELNS1_3repE0EEENS1_30default_config_static_selectorELNS0_4arch9wavefront6targetE0EEEvSM_,@function
_ZN7rocprim17ROCPRIM_400000_NS6detail17trampoline_kernelINS0_14default_configENS1_22reduce_config_selectorIbEEZNS1_11reduce_implILb1ES3_N6hipcub16HIPCUB_304000_NS22TransformInputIteratorIb7NonZeroIdEPdlEEPllNS8_6detail34convert_binary_result_type_wrapperINS8_3SumESD_lEEEE10hipError_tPvRmT1_T2_T3_mT4_P12ihipStream_tbEUlT_E0_NS1_11comp_targetILNS1_3genE9ELNS1_11target_archE1100ELNS1_3gpuE3ELNS1_3repE0EEENS1_30default_config_static_selectorELNS0_4arch9wavefront6targetE0EEEvSM_: ; @_ZN7rocprim17ROCPRIM_400000_NS6detail17trampoline_kernelINS0_14default_configENS1_22reduce_config_selectorIbEEZNS1_11reduce_implILb1ES3_N6hipcub16HIPCUB_304000_NS22TransformInputIteratorIb7NonZeroIdEPdlEEPllNS8_6detail34convert_binary_result_type_wrapperINS8_3SumESD_lEEEE10hipError_tPvRmT1_T2_T3_mT4_P12ihipStream_tbEUlT_E0_NS1_11comp_targetILNS1_3genE9ELNS1_11target_archE1100ELNS1_3gpuE3ELNS1_3repE0EEENS1_30default_config_static_selectorELNS0_4arch9wavefront6targetE0EEEvSM_
; %bb.0:
	s_clause 0x2
	s_load_b256 s[16:23], s[0:1], 0x10
	s_load_b64 s[4:5], s[0:1], 0x0
	s_load_b128 s[24:27], s[0:1], 0x30
	s_mov_b32 s3, 0
	v_lshlrev_b32_e32 v34, 3, v0
	v_mbcnt_lo_u32_b32 v33, -1, 0
	s_mov_b32 s28, s15
	s_mov_b32 s29, s3
	s_waitcnt lgkmcnt(0)
	s_lshl_b64 s[0:1], s[16:17], 3
	s_delay_alu instid0(SALU_CYCLE_1) | instskip(SKIP_4) | instid1(SALU_CYCLE_1)
	s_add_u32 s6, s4, s0
	s_addc_u32 s7, s5, s1
	s_lshl_b32 s2, s15, 11
	s_lshr_b64 s[4:5], s[18:19], 11
	s_lshl_b64 s[0:1], s[2:3], 3
	s_add_u32 s14, s6, s0
	s_addc_u32 s15, s7, s1
	s_cmp_lg_u64 s[4:5], s[28:29]
	s_cbranch_scc0 .LBB310_6
; %bb.1:
	s_clause 0x2
	global_load_b64 v[1:2], v34, s[14:15]
	global_load_b64 v[3:4], v34, s[14:15] offset:1024
	global_load_b64 v[5:6], v34, s[14:15] offset:2048
	v_add_co_u32 v25, s0, s14, v34
	s_delay_alu instid0(VALU_DEP_1) | instskip(NEXT) | instid1(VALU_DEP_2)
	v_add_co_ci_u32_e64 v26, null, s15, 0, s0
	v_add_co_u32 v7, vcc_lo, v25, 0x2000
	s_delay_alu instid0(VALU_DEP_2)
	v_add_co_ci_u32_e32 v8, vcc_lo, 0, v26, vcc_lo
	s_clause 0x1
	global_load_b64 v[9:10], v34, s[14:15] offset:3072
	global_load_b64 v[11:12], v[7:8], off offset:-4096
	v_add_co_u32 v13, vcc_lo, 0x1000, v25
	v_add_co_ci_u32_e32 v14, vcc_lo, 0, v26, vcc_lo
	s_clause 0x3
	global_load_b64 v[15:16], v[13:14], off offset:1024
	global_load_b64 v[17:18], v[13:14], off offset:2048
	;; [unrolled: 1-line block ×3, first 2 shown]
	global_load_b64 v[7:8], v[7:8], off
	v_add_co_u32 v19, vcc_lo, 0x2000, v25
	v_add_co_ci_u32_e32 v20, vcc_lo, 0, v26, vcc_lo
	s_clause 0x2
	global_load_b64 v[21:22], v[19:20], off offset:1024
	global_load_b64 v[23:24], v[19:20], off offset:2048
	;; [unrolled: 1-line block ×3, first 2 shown]
	v_add_co_u32 v25, vcc_lo, 0x3000, v25
	v_add_co_ci_u32_e32 v26, vcc_lo, 0, v26, vcc_lo
	s_clause 0x3
	global_load_b64 v[27:28], v[25:26], off
	global_load_b64 v[29:30], v[25:26], off offset:1024
	global_load_b64 v[31:32], v[25:26], off offset:2048
	;; [unrolled: 1-line block ×3, first 2 shown]
	s_waitcnt vmcnt(15)
	v_cmp_neq_f64_e32 vcc_lo, 0, v[1:2]
	v_cndmask_b32_e64 v1, 0, 1, vcc_lo
	s_waitcnt vmcnt(14)
	v_cmp_neq_f64_e32 vcc_lo, 0, v[3:4]
	v_cndmask_b32_e64 v2, 0, 1, vcc_lo
	s_waitcnt vmcnt(13)
	v_cmp_neq_f64_e32 vcc_lo, 0, v[5:6]
	s_delay_alu instid0(VALU_DEP_2) | instskip(NEXT) | instid1(VALU_DEP_1)
	v_add_co_u32 v1, s0, v2, v1
	v_add_co_ci_u32_e64 v4, null, 0, 0, s0
	s_waitcnt vmcnt(11)
	v_cmp_neq_f64_e64 s0, 0, v[11:12]
	v_cndmask_b32_e64 v3, 0, 1, vcc_lo
	v_cmp_neq_f64_e32 vcc_lo, 0, v[9:10]
	v_cndmask_b32_e64 v2, 0, 1, vcc_lo
	s_delay_alu instid0(VALU_DEP_3)
	v_add_co_u32 v1, vcc_lo, v1, v3
	v_cndmask_b32_e64 v3, 0, 1, s0
	s_waitcnt vmcnt(10)
	v_cmp_neq_f64_e64 s0, 0, v[15:16]
	v_add_co_ci_u32_e32 v4, vcc_lo, 0, v4, vcc_lo
	v_add_co_u32 v1, vcc_lo, v1, v2
	s_delay_alu instid0(VALU_DEP_2) | instskip(NEXT) | instid1(VALU_DEP_2)
	v_add_co_ci_u32_e32 v4, vcc_lo, 0, v4, vcc_lo
	v_add_co_u32 v1, vcc_lo, v1, v3
	s_delay_alu instid0(VALU_DEP_2) | instskip(SKIP_3) | instid1(VALU_DEP_2)
	v_add_co_ci_u32_e32 v4, vcc_lo, 0, v4, vcc_lo
	v_cndmask_b32_e64 v2, 0, 1, s0
	s_waitcnt vmcnt(9)
	v_cmp_neq_f64_e64 s0, 0, v[17:18]
	v_add_co_u32 v1, vcc_lo, v1, v2
	v_add_co_ci_u32_e32 v4, vcc_lo, 0, v4, vcc_lo
	s_delay_alu instid0(VALU_DEP_3) | instskip(SKIP_2) | instid1(VALU_DEP_2)
	v_cndmask_b32_e64 v3, 0, 1, s0
	s_waitcnt vmcnt(8)
	v_cmp_neq_f64_e64 s0, 0, v[13:14]
	v_add_co_u32 v1, vcc_lo, v1, v3
	v_add_co_ci_u32_e32 v4, vcc_lo, 0, v4, vcc_lo
	s_delay_alu instid0(VALU_DEP_3) | instskip(SKIP_2) | instid1(VALU_DEP_2)
	;; [unrolled: 6-line block ×9, first 2 shown]
	v_cndmask_b32_e64 v3, 0, 1, s0
	s_waitcnt vmcnt(0)
	v_cmp_neq_f64_e64 s0, 0, v[25:26]
	v_add_co_u32 v1, vcc_lo, v1, v3
	v_add_co_ci_u32_e32 v3, vcc_lo, 0, v4, vcc_lo
	v_mov_b32_e32 v4, 0
	s_delay_alu instid0(VALU_DEP_4) | instskip(SKIP_1) | instid1(VALU_DEP_1)
	v_cndmask_b32_e64 v2, 0, 1, s0
	s_mov_b32 s0, exec_lo
	v_add_co_u32 v1, vcc_lo, v1, v2
	v_add_co_ci_u32_e32 v2, vcc_lo, 0, v3, vcc_lo
	s_delay_alu instid0(VALU_DEP_2) | instskip(NEXT) | instid1(VALU_DEP_1)
	v_mov_b32_dpp v3, v1 quad_perm:[1,0,3,2] row_mask:0xf bank_mask:0xf
	v_add_co_u32 v1, vcc_lo, v1, v3
	v_mov_b32_dpp v3, v4 quad_perm:[1,0,3,2] row_mask:0xf bank_mask:0xf
	s_delay_alu instid0(VALU_DEP_4) | instskip(NEXT) | instid1(VALU_DEP_3)
	v_add_co_ci_u32_e32 v2, vcc_lo, 0, v2, vcc_lo
	v_mov_b32_dpp v5, v1 quad_perm:[2,3,0,1] row_mask:0xf bank_mask:0xf
	v_add_co_u32 v1, vcc_lo, 0, v1
	s_delay_alu instid0(VALU_DEP_3) | instskip(NEXT) | instid1(VALU_DEP_2)
	v_add_co_ci_u32_e32 v2, vcc_lo, v3, v2, vcc_lo
	v_add_co_u32 v1, vcc_lo, v1, v5
	s_delay_alu instid0(VALU_DEP_2) | instskip(SKIP_1) | instid1(VALU_DEP_3)
	v_mov_b32_dpp v3, v2 quad_perm:[2,3,0,1] row_mask:0xf bank_mask:0xf
	v_add_co_ci_u32_e32 v2, vcc_lo, 0, v2, vcc_lo
	v_mov_b32_dpp v5, v1 row_ror:4 row_mask:0xf bank_mask:0xf
	v_add_co_u32 v1, vcc_lo, v1, 0
	s_delay_alu instid0(VALU_DEP_3) | instskip(NEXT) | instid1(VALU_DEP_2)
	v_add_co_ci_u32_e32 v2, vcc_lo, v2, v3, vcc_lo
	v_add_co_u32 v1, vcc_lo, v1, v5
	s_delay_alu instid0(VALU_DEP_2) | instskip(SKIP_1) | instid1(VALU_DEP_3)
	v_mov_b32_dpp v3, v2 row_ror:4 row_mask:0xf bank_mask:0xf
	v_add_co_ci_u32_e32 v2, vcc_lo, 0, v2, vcc_lo
	v_mov_b32_dpp v5, v1 row_ror:8 row_mask:0xf bank_mask:0xf
	v_add_co_u32 v1, vcc_lo, v1, 0
	s_delay_alu instid0(VALU_DEP_3) | instskip(NEXT) | instid1(VALU_DEP_2)
	v_add_co_ci_u32_e32 v2, vcc_lo, v2, v3, vcc_lo
	v_add_co_u32 v1, vcc_lo, v1, v5
	s_delay_alu instid0(VALU_DEP_2)
	v_mov_b32_dpp v3, v2 row_ror:8 row_mask:0xf bank_mask:0xf
	v_add_co_ci_u32_e32 v2, vcc_lo, 0, v2, vcc_lo
	ds_swizzle_b32 v5, v1 offset:swizzle(BROADCAST,32,15)
	v_add_co_u32 v1, vcc_lo, v1, 0
	v_add_co_ci_u32_e32 v2, vcc_lo, v2, v3, vcc_lo
	ds_swizzle_b32 v3, v2 offset:swizzle(BROADCAST,32,15)
	s_waitcnt lgkmcnt(1)
	v_add_co_u32 v1, vcc_lo, v1, v5
	v_add_co_ci_u32_e32 v2, vcc_lo, 0, v2, vcc_lo
	ds_bpermute_b32 v1, v4, v1 offset:124
	s_waitcnt lgkmcnt(1)
	v_add_nc_u32_e32 v2, v3, v2
	ds_bpermute_b32 v2, v4, v2 offset:124
	v_cmpx_eq_u32_e32 0, v33
	s_cbranch_execz .LBB310_3
; %bb.2:
	v_lshrrev_b32_e32 v3, 2, v0
	s_delay_alu instid0(VALU_DEP_1)
	v_and_b32_e32 v3, 24, v3
	s_waitcnt lgkmcnt(0)
	ds_store_b64 v3, v[1:2]
.LBB310_3:
	s_or_b32 exec_lo, exec_lo, s0
	s_delay_alu instid0(SALU_CYCLE_1)
	s_mov_b32 s0, exec_lo
	s_waitcnt lgkmcnt(0)
	s_barrier
	buffer_gl0_inv
	v_cmpx_gt_u32_e32 32, v0
	s_cbranch_execz .LBB310_5
; %bb.4:
	v_and_b32_e32 v3, 3, v33
	s_delay_alu instid0(VALU_DEP_1) | instskip(SKIP_4) | instid1(VALU_DEP_2)
	v_lshlrev_b32_e32 v1, 3, v3
	v_cmp_ne_u32_e32 vcc_lo, 3, v3
	ds_load_b64 v[1:2], v1
	v_add_co_ci_u32_e32 v4, vcc_lo, 0, v33, vcc_lo
	v_cmp_gt_u32_e32 vcc_lo, 2, v3
	v_lshlrev_b32_e32 v4, 2, v4
	v_cndmask_b32_e64 v3, 0, 1, vcc_lo
	s_delay_alu instid0(VALU_DEP_1) | instskip(NEXT) | instid1(VALU_DEP_1)
	v_lshlrev_b32_e32 v3, 1, v3
	v_add_lshl_u32 v3, v3, v33, 2
	s_waitcnt lgkmcnt(0)
	ds_bpermute_b32 v5, v4, v1
	ds_bpermute_b32 v4, v4, v2
	s_waitcnt lgkmcnt(1)
	v_add_co_u32 v1, vcc_lo, v1, v5
	v_add_co_ci_u32_e32 v2, vcc_lo, 0, v2, vcc_lo
	ds_bpermute_b32 v5, v3, v1
	v_add_co_u32 v1, vcc_lo, 0, v1
	s_waitcnt lgkmcnt(1)
	v_add_co_ci_u32_e32 v2, vcc_lo, v4, v2, vcc_lo
	ds_bpermute_b32 v3, v3, v2
	s_waitcnt lgkmcnt(1)
	v_add_co_u32 v1, vcc_lo, v1, v5
	v_add_co_ci_u32_e32 v2, vcc_lo, 0, v2, vcc_lo
	s_delay_alu instid0(VALU_DEP_2) | instskip(SKIP_1) | instid1(VALU_DEP_2)
	v_add_co_u32 v1, vcc_lo, v1, 0
	s_waitcnt lgkmcnt(0)
	v_add_co_ci_u32_e32 v2, vcc_lo, v2, v3, vcc_lo
.LBB310_5:
	s_or_b32 exec_lo, exec_lo, s0
	s_branch .LBB310_58
.LBB310_6:
                                        ; implicit-def: $vgpr1_vgpr2
	s_cbranch_execz .LBB310_58
; %bb.7:
	s_sub_i32 s16, s18, s2
	s_mov_b32 s0, exec_lo
                                        ; implicit-def: $vgpr1_vgpr2_vgpr3_vgpr4_vgpr5_vgpr6_vgpr7_vgpr8_vgpr9_vgpr10_vgpr11_vgpr12_vgpr13_vgpr14_vgpr15_vgpr16_vgpr17_vgpr18_vgpr19_vgpr20_vgpr21_vgpr22_vgpr23_vgpr24_vgpr25_vgpr26_vgpr27_vgpr28_vgpr29_vgpr30_vgpr31_vgpr32
	v_cmpx_gt_u32_e64 s16, v0
	s_cbranch_execz .LBB310_9
; %bb.8:
	global_load_b64 v[1:2], v34, s[14:15]
	s_waitcnt vmcnt(0)
	v_cmp_neq_f64_e32 vcc_lo, 0, v[1:2]
	v_mov_b32_e32 v2, 0
	v_cndmask_b32_e64 v1, 0, 1, vcc_lo
.LBB310_9:
	s_or_b32 exec_lo, exec_lo, s0
	v_or_b32_e32 v35, 0x80, v0
	s_delay_alu instid0(VALU_DEP_1)
	v_cmp_gt_u32_e32 vcc_lo, s16, v35
	s_and_saveexec_b32 s1, vcc_lo
	s_cbranch_execz .LBB310_11
; %bb.10:
	global_load_b64 v[3:4], v34, s[14:15] offset:1024
	s_waitcnt vmcnt(0)
	v_cmp_neq_f64_e64 s0, 0, v[3:4]
	v_mov_b32_e32 v4, 0
	s_delay_alu instid0(VALU_DEP_2)
	v_cndmask_b32_e64 v3, 0, 1, s0
.LBB310_11:
	s_or_b32 exec_lo, exec_lo, s1
	v_or_b32_e32 v35, 0x100, v0
	s_delay_alu instid0(VALU_DEP_1) | instskip(NEXT) | instid1(VALU_DEP_1)
	v_cmp_gt_u32_e64 s0, s16, v35
	s_and_saveexec_b32 s2, s0
	s_cbranch_execz .LBB310_13
; %bb.12:
	global_load_b64 v[5:6], v34, s[14:15] offset:2048
	s_waitcnt vmcnt(0)
	v_cmp_neq_f64_e64 s1, 0, v[5:6]
	v_mov_b32_e32 v6, 0
	s_delay_alu instid0(VALU_DEP_2)
	v_cndmask_b32_e64 v5, 0, 1, s1
.LBB310_13:
	s_or_b32 exec_lo, exec_lo, s2
	v_or_b32_e32 v35, 0x180, v0
	s_delay_alu instid0(VALU_DEP_1) | instskip(NEXT) | instid1(VALU_DEP_1)
	v_cmp_gt_u32_e64 s1, s16, v35
	s_and_saveexec_b32 s3, s1
	;; [unrolled: 14-line block ×3, first 2 shown]
	s_cbranch_execz .LBB310_17
; %bb.16:
	v_lshlrev_b32_e32 v9, 3, v34
	global_load_b64 v[9:10], v9, s[14:15]
	s_waitcnt vmcnt(0)
	v_cmp_neq_f64_e64 s3, 0, v[9:10]
	v_mov_b32_e32 v10, 0
	s_delay_alu instid0(VALU_DEP_2)
	v_cndmask_b32_e64 v9, 0, 1, s3
.LBB310_17:
	s_or_b32 exec_lo, exec_lo, s4
	v_or_b32_e32 v34, 0x280, v0
	s_delay_alu instid0(VALU_DEP_1) | instskip(NEXT) | instid1(VALU_DEP_1)
	v_cmp_gt_u32_e64 s3, s16, v34
	s_and_saveexec_b32 s5, s3
	s_cbranch_execz .LBB310_19
; %bb.18:
	v_lshlrev_b32_e32 v11, 3, v34
	global_load_b64 v[11:12], v11, s[14:15]
	s_waitcnt vmcnt(0)
	v_cmp_neq_f64_e64 s4, 0, v[11:12]
	v_mov_b32_e32 v12, 0
	s_delay_alu instid0(VALU_DEP_2)
	v_cndmask_b32_e64 v11, 0, 1, s4
.LBB310_19:
	s_or_b32 exec_lo, exec_lo, s5
	v_or_b32_e32 v34, 0x300, v0
	s_delay_alu instid0(VALU_DEP_1) | instskip(NEXT) | instid1(VALU_DEP_1)
	v_cmp_gt_u32_e64 s4, s16, v34
	s_and_saveexec_b32 s6, s4
	;; [unrolled: 15-line block ×11, first 2 shown]
	s_cbranch_execz .LBB310_39
; %bb.38:
	v_lshlrev_b32_e32 v31, 3, v34
	global_load_b64 v[31:32], v31, s[14:15]
	s_waitcnt vmcnt(0)
	v_cmp_neq_f64_e64 s14, 0, v[31:32]
	v_mov_b32_e32 v32, 0
	s_delay_alu instid0(VALU_DEP_2)
	v_cndmask_b32_e64 v31, 0, 1, s14
.LBB310_39:
	s_or_b32 exec_lo, exec_lo, s17
	v_dual_cndmask_b32 v3, 0, v3 :: v_dual_cndmask_b32 v4, 0, v4
	v_cndmask_b32_e64 v5, 0, v5, s0
	v_cndmask_b32_e64 v6, 0, v6, s0
	s_min_u32 s0, s16, 0x80
	s_delay_alu instid0(VALU_DEP_3) | instskip(SKIP_2) | instid1(VALU_DEP_3)
	v_add_co_u32 v1, vcc_lo, v3, v1
	v_add_co_ci_u32_e32 v2, vcc_lo, v4, v2, vcc_lo
	v_cndmask_b32_e64 v3, 0, v7, s1
	v_add_co_u32 v1, vcc_lo, v1, v5
	s_delay_alu instid0(VALU_DEP_3) | instskip(SKIP_2) | instid1(VALU_DEP_4)
	v_add_co_ci_u32_e32 v2, vcc_lo, v2, v6, vcc_lo
	v_cndmask_b32_e64 v4, 0, v8, s1
	v_cndmask_b32_e64 v5, 0, v9, s2
	v_add_co_u32 v1, vcc_lo, v1, v3
	v_cndmask_b32_e64 v3, 0, v10, s2
	s_delay_alu instid0(VALU_DEP_4) | instskip(SKIP_1) | instid1(VALU_DEP_4)
	v_add_co_ci_u32_e32 v2, vcc_lo, v2, v4, vcc_lo
	v_cndmask_b32_e64 v4, 0, v11, s3
	v_add_co_u32 v1, vcc_lo, v1, v5
	s_delay_alu instid0(VALU_DEP_3) | instskip(SKIP_2) | instid1(VALU_DEP_4)
	v_add_co_ci_u32_e32 v2, vcc_lo, v2, v3, vcc_lo
	v_cndmask_b32_e64 v3, 0, v12, s3
	v_cndmask_b32_e64 v5, 0, v13, s4
	v_add_co_u32 v1, vcc_lo, v1, v4
	v_cndmask_b32_e64 v4, 0, v15, s5
	s_delay_alu instid0(VALU_DEP_4) | instskip(SKIP_1) | instid1(VALU_DEP_4)
	v_add_co_ci_u32_e32 v2, vcc_lo, v2, v3, vcc_lo
	v_cndmask_b32_e64 v3, 0, v14, s4
	v_add_co_u32 v1, vcc_lo, v1, v5
	v_cndmask_b32_e64 v5, 0, v17, s6
	s_delay_alu instid0(VALU_DEP_3) | instskip(SKIP_1) | instid1(VALU_DEP_4)
	v_add_co_ci_u32_e32 v2, vcc_lo, v2, v3, vcc_lo
	v_cndmask_b32_e64 v3, 0, v16, s5
	v_add_co_u32 v1, vcc_lo, v1, v4
	v_cndmask_b32_e64 v4, 0, v19, s7
	s_delay_alu instid0(VALU_DEP_3) | instskip(SKIP_1) | instid1(VALU_DEP_4)
	v_add_co_ci_u32_e32 v2, vcc_lo, v2, v3, vcc_lo
	v_cndmask_b32_e64 v3, 0, v18, s6
	v_add_co_u32 v1, vcc_lo, v1, v5
	v_cndmask_b32_e64 v5, 0, v21, s8
	s_delay_alu instid0(VALU_DEP_3) | instskip(SKIP_1) | instid1(VALU_DEP_4)
	v_add_co_ci_u32_e32 v2, vcc_lo, v2, v3, vcc_lo
	v_cndmask_b32_e64 v3, 0, v20, s7
	v_add_co_u32 v1, vcc_lo, v1, v4
	v_cndmask_b32_e64 v4, 0, v23, s9
	s_delay_alu instid0(VALU_DEP_3) | instskip(SKIP_1) | instid1(VALU_DEP_4)
	v_add_co_ci_u32_e32 v2, vcc_lo, v2, v3, vcc_lo
	v_cndmask_b32_e64 v3, 0, v22, s8
	v_add_co_u32 v1, vcc_lo, v1, v5
	v_cndmask_b32_e64 v5, 0, v25, s10
	s_delay_alu instid0(VALU_DEP_3) | instskip(SKIP_1) | instid1(VALU_DEP_4)
	v_add_co_ci_u32_e32 v2, vcc_lo, v2, v3, vcc_lo
	v_cndmask_b32_e64 v3, 0, v24, s9
	v_add_co_u32 v1, vcc_lo, v1, v4
	v_cndmask_b32_e64 v4, 0, v27, s11
	s_delay_alu instid0(VALU_DEP_3) | instskip(SKIP_1) | instid1(VALU_DEP_4)
	v_add_co_ci_u32_e32 v2, vcc_lo, v2, v3, vcc_lo
	v_cndmask_b32_e64 v3, 0, v26, s10
	v_add_co_u32 v1, vcc_lo, v1, v5
	v_cndmask_b32_e64 v5, 0, v31, s13
	s_delay_alu instid0(VALU_DEP_3) | instskip(SKIP_1) | instid1(VALU_DEP_4)
	v_add_co_ci_u32_e32 v2, vcc_lo, v2, v3, vcc_lo
	v_cndmask_b32_e64 v3, 0, v28, s11
	v_add_co_u32 v1, vcc_lo, v1, v4
	v_cndmask_b32_e64 v4, 0, v29, s12
	s_delay_alu instid0(VALU_DEP_3) | instskip(SKIP_4) | instid1(VALU_DEP_3)
	v_add_co_ci_u32_e32 v2, vcc_lo, v2, v3, vcc_lo
	v_cmp_ne_u32_e32 vcc_lo, 31, v33
	v_cndmask_b32_e64 v3, 0, v30, s12
	v_add_co_ci_u32_e32 v6, vcc_lo, 0, v33, vcc_lo
	v_add_co_u32 v1, vcc_lo, v1, v4
	v_add_co_ci_u32_e32 v2, vcc_lo, v2, v3, vcc_lo
	v_cndmask_b32_e64 v3, 0, v32, s13
	s_delay_alu instid0(VALU_DEP_3) | instskip(SKIP_1) | instid1(VALU_DEP_3)
	v_add_co_u32 v1, vcc_lo, v1, v5
	v_lshlrev_b32_e32 v4, 2, v6
	v_add_co_ci_u32_e32 v2, vcc_lo, v2, v3, vcc_lo
	v_and_b32_e32 v3, 0x60, v0
	ds_bpermute_b32 v6, v4, v1
	ds_bpermute_b32 v5, v4, v2
	v_add_nc_u32_e32 v4, 1, v33
	v_sub_nc_u32_e64 v3, s0, v3 clamp
	s_delay_alu instid0(VALU_DEP_1)
	v_cmp_lt_u32_e32 vcc_lo, v4, v3
	v_mov_b32_e32 v4, v1
	s_and_saveexec_b32 s1, vcc_lo
	s_cbranch_execz .LBB310_41
; %bb.40:
	s_waitcnt lgkmcnt(1)
	v_add_co_u32 v4, vcc_lo, v1, v6
	v_add_co_ci_u32_e32 v2, vcc_lo, 0, v2, vcc_lo
	s_delay_alu instid0(VALU_DEP_2) | instskip(SKIP_1) | instid1(VALU_DEP_2)
	v_add_co_u32 v1, vcc_lo, v4, 0
	s_waitcnt lgkmcnt(0)
	v_add_co_ci_u32_e32 v2, vcc_lo, v2, v5, vcc_lo
.LBB310_41:
	s_or_b32 exec_lo, exec_lo, s1
	v_cmp_gt_u32_e32 vcc_lo, 30, v33
	v_add_nc_u32_e32 v7, 2, v33
	s_mov_b32 s1, exec_lo
	s_waitcnt lgkmcnt(0)
	v_cndmask_b32_e64 v5, 0, 1, vcc_lo
	s_delay_alu instid0(VALU_DEP_1) | instskip(NEXT) | instid1(VALU_DEP_1)
	v_lshlrev_b32_e32 v5, 1, v5
	v_add_lshl_u32 v5, v5, v33, 2
	ds_bpermute_b32 v6, v5, v4
	ds_bpermute_b32 v5, v5, v2
	v_cmpx_lt_u32_e64 v7, v3
	s_cbranch_execz .LBB310_43
; %bb.42:
	s_waitcnt lgkmcnt(1)
	v_add_co_u32 v4, vcc_lo, v1, v6
	v_add_co_ci_u32_e32 v2, vcc_lo, 0, v2, vcc_lo
	s_delay_alu instid0(VALU_DEP_2) | instskip(SKIP_1) | instid1(VALU_DEP_2)
	v_add_co_u32 v1, vcc_lo, 0, v4
	s_waitcnt lgkmcnt(0)
	v_add_co_ci_u32_e32 v2, vcc_lo, v5, v2, vcc_lo
.LBB310_43:
	s_or_b32 exec_lo, exec_lo, s1
	v_cmp_gt_u32_e32 vcc_lo, 28, v33
	v_add_nc_u32_e32 v7, 4, v33
	s_mov_b32 s1, exec_lo
	s_waitcnt lgkmcnt(0)
	v_cndmask_b32_e64 v5, 0, 1, vcc_lo
	s_delay_alu instid0(VALU_DEP_1) | instskip(NEXT) | instid1(VALU_DEP_1)
	v_lshlrev_b32_e32 v5, 2, v5
	v_add_lshl_u32 v5, v5, v33, 2
	ds_bpermute_b32 v6, v5, v4
	ds_bpermute_b32 v5, v5, v2
	v_cmpx_lt_u32_e64 v7, v3
	;; [unrolled: 22-line block ×3, first 2 shown]
	s_cbranch_execz .LBB310_47
; %bb.46:
	s_waitcnt lgkmcnt(1)
	v_add_co_u32 v4, vcc_lo, v1, v6
	v_add_co_ci_u32_e32 v2, vcc_lo, 0, v2, vcc_lo
	s_delay_alu instid0(VALU_DEP_2) | instskip(SKIP_1) | instid1(VALU_DEP_2)
	v_add_co_u32 v1, vcc_lo, 0, v4
	s_waitcnt lgkmcnt(0)
	v_add_co_ci_u32_e32 v2, vcc_lo, v5, v2, vcc_lo
.LBB310_47:
	s_or_b32 exec_lo, exec_lo, s1
	v_cmp_gt_u32_e32 vcc_lo, 16, v33
	s_mov_b32 s1, exec_lo
	s_waitcnt lgkmcnt(0)
	v_cndmask_b32_e64 v5, 0, 1, vcc_lo
	s_delay_alu instid0(VALU_DEP_1) | instskip(NEXT) | instid1(VALU_DEP_1)
	v_lshlrev_b32_e32 v5, 4, v5
	v_add_lshl_u32 v6, v5, v33, 2
	ds_bpermute_b32 v5, v6, v4
	ds_bpermute_b32 v4, v6, v2
	v_add_nc_u32_e32 v6, 16, v33
	s_delay_alu instid0(VALU_DEP_1)
	v_cmpx_lt_u32_e64 v6, v3
	s_cbranch_execz .LBB310_49
; %bb.48:
	s_waitcnt lgkmcnt(1)
	v_add_co_u32 v1, vcc_lo, v1, v5
	v_add_co_ci_u32_e32 v2, vcc_lo, 0, v2, vcc_lo
	s_delay_alu instid0(VALU_DEP_2) | instskip(SKIP_1) | instid1(VALU_DEP_2)
	v_add_co_u32 v1, vcc_lo, v1, 0
	s_waitcnt lgkmcnt(0)
	v_add_co_ci_u32_e32 v2, vcc_lo, v2, v4, vcc_lo
.LBB310_49:
	s_or_b32 exec_lo, exec_lo, s1
	s_delay_alu instid0(SALU_CYCLE_1)
	s_mov_b32 s1, exec_lo
	v_cmpx_eq_u32_e32 0, v33
	s_cbranch_execz .LBB310_51
; %bb.50:
	v_lshrrev_b32_e32 v3, 2, v0
	s_delay_alu instid0(VALU_DEP_1)
	v_and_b32_e32 v3, 24, v3
	ds_store_b64 v3, v[1:2] offset:32
.LBB310_51:
	s_or_b32 exec_lo, exec_lo, s1
	s_delay_alu instid0(SALU_CYCLE_1)
	s_mov_b32 s1, exec_lo
	s_waitcnt lgkmcnt(0)
	s_barrier
	buffer_gl0_inv
	v_cmpx_gt_u32_e32 4, v0
	s_cbranch_execz .LBB310_57
; %bb.52:
	v_lshlrev_b32_e32 v1, 3, v33
	s_add_i32 s0, s0, 31
	s_delay_alu instid0(SALU_CYCLE_1) | instskip(SKIP_2) | instid1(VALU_DEP_1)
	s_lshr_b32 s0, s0, 5
	ds_load_b64 v[1:2], v1 offset:32
	v_and_b32_e32 v3, 3, v33
	v_cmp_ne_u32_e32 vcc_lo, 3, v3
	v_add_co_ci_u32_e32 v4, vcc_lo, 0, v33, vcc_lo
	s_delay_alu instid0(VALU_DEP_1) | instskip(SKIP_4) | instid1(VALU_DEP_1)
	v_lshlrev_b32_e32 v4, 2, v4
	s_waitcnt lgkmcnt(0)
	ds_bpermute_b32 v6, v4, v1
	ds_bpermute_b32 v5, v4, v2
	v_add_nc_u32_e32 v4, 1, v3
	v_cmp_gt_u32_e32 vcc_lo, s0, v4
	v_mov_b32_e32 v4, v1
	s_and_saveexec_b32 s2, vcc_lo
	s_cbranch_execz .LBB310_54
; %bb.53:
	s_waitcnt lgkmcnt(1)
	v_add_co_u32 v4, vcc_lo, v1, v6
	v_add_co_ci_u32_e32 v2, vcc_lo, 0, v2, vcc_lo
	s_delay_alu instid0(VALU_DEP_2) | instskip(SKIP_1) | instid1(VALU_DEP_2)
	v_add_co_u32 v1, vcc_lo, 0, v4
	s_waitcnt lgkmcnt(0)
	v_add_co_ci_u32_e32 v2, vcc_lo, v5, v2, vcc_lo
.LBB310_54:
	s_or_b32 exec_lo, exec_lo, s2
	v_cmp_gt_u32_e32 vcc_lo, 2, v3
	v_add_nc_u32_e32 v3, 2, v3
	s_waitcnt lgkmcnt(0)
	v_cndmask_b32_e64 v5, 0, 1, vcc_lo
	s_delay_alu instid0(VALU_DEP_2) | instskip(NEXT) | instid1(VALU_DEP_2)
	v_cmp_gt_u32_e32 vcc_lo, s0, v3
	v_lshlrev_b32_e32 v5, 1, v5
	s_delay_alu instid0(VALU_DEP_1)
	v_add_lshl_u32 v6, v5, v33, 2
	ds_bpermute_b32 v5, v6, v4
	ds_bpermute_b32 v4, v6, v2
	s_and_saveexec_b32 s0, vcc_lo
	s_cbranch_execz .LBB310_56
; %bb.55:
	s_waitcnt lgkmcnt(1)
	v_add_co_u32 v1, vcc_lo, v1, v5
	v_add_co_ci_u32_e32 v2, vcc_lo, 0, v2, vcc_lo
	s_delay_alu instid0(VALU_DEP_2) | instskip(SKIP_1) | instid1(VALU_DEP_2)
	v_add_co_u32 v1, vcc_lo, v1, 0
	s_waitcnt lgkmcnt(0)
	v_add_co_ci_u32_e32 v2, vcc_lo, v2, v4, vcc_lo
.LBB310_56:
	s_or_b32 exec_lo, exec_lo, s0
.LBB310_57:
	s_delay_alu instid0(SALU_CYCLE_1)
	s_or_b32 exec_lo, exec_lo, s1
.LBB310_58:
	s_delay_alu instid0(SALU_CYCLE_1)
	s_mov_b32 s0, exec_lo
	v_cmpx_eq_u32_e32 0, v0
	s_cbranch_execz .LBB310_60
; %bb.59:
	s_mul_i32 s0, s24, s23
	s_mul_hi_u32 s1, s24, s22
	s_mul_i32 s2, s25, s22
	s_add_i32 s1, s1, s0
	s_mul_i32 s0, s24, s22
	s_add_i32 s1, s1, s2
	v_mov_b32_e32 v0, 0
	s_lshl_b64 s[0:1], s[0:1], 3
	s_delay_alu instid0(SALU_CYCLE_1)
	s_add_u32 s2, s20, s0
	s_addc_u32 s3, s21, s1
	s_cmp_eq_u64 s[18:19], 0
	s_cselect_b32 s4, -1, 0
	s_lshl_b64 s[0:1], s[28:29], 3
	v_cndmask_b32_e64 v2, v2, s27, s4
	v_cndmask_b32_e64 v1, v1, s26, s4
	s_add_u32 s0, s2, s0
	s_addc_u32 s1, s3, s1
	global_store_b64 v0, v[1:2], s[0:1]
.LBB310_60:
	s_nop 0
	s_sendmsg sendmsg(MSG_DEALLOC_VGPRS)
	s_endpgm
	.section	.rodata,"a",@progbits
	.p2align	6, 0x0
	.amdhsa_kernel _ZN7rocprim17ROCPRIM_400000_NS6detail17trampoline_kernelINS0_14default_configENS1_22reduce_config_selectorIbEEZNS1_11reduce_implILb1ES3_N6hipcub16HIPCUB_304000_NS22TransformInputIteratorIb7NonZeroIdEPdlEEPllNS8_6detail34convert_binary_result_type_wrapperINS8_3SumESD_lEEEE10hipError_tPvRmT1_T2_T3_mT4_P12ihipStream_tbEUlT_E0_NS1_11comp_targetILNS1_3genE9ELNS1_11target_archE1100ELNS1_3gpuE3ELNS1_3repE0EEENS1_30default_config_static_selectorELNS0_4arch9wavefront6targetE0EEEvSM_
		.amdhsa_group_segment_fixed_size 64
		.amdhsa_private_segment_fixed_size 0
		.amdhsa_kernarg_size 72
		.amdhsa_user_sgpr_count 15
		.amdhsa_user_sgpr_dispatch_ptr 0
		.amdhsa_user_sgpr_queue_ptr 0
		.amdhsa_user_sgpr_kernarg_segment_ptr 1
		.amdhsa_user_sgpr_dispatch_id 0
		.amdhsa_user_sgpr_private_segment_size 0
		.amdhsa_wavefront_size32 1
		.amdhsa_uses_dynamic_stack 0
		.amdhsa_enable_private_segment 0
		.amdhsa_system_sgpr_workgroup_id_x 1
		.amdhsa_system_sgpr_workgroup_id_y 0
		.amdhsa_system_sgpr_workgroup_id_z 0
		.amdhsa_system_sgpr_workgroup_info 0
		.amdhsa_system_vgpr_workitem_id 0
		.amdhsa_next_free_vgpr 36
		.amdhsa_next_free_sgpr 30
		.amdhsa_reserve_vcc 1
		.amdhsa_float_round_mode_32 0
		.amdhsa_float_round_mode_16_64 0
		.amdhsa_float_denorm_mode_32 3
		.amdhsa_float_denorm_mode_16_64 3
		.amdhsa_dx10_clamp 1
		.amdhsa_ieee_mode 1
		.amdhsa_fp16_overflow 0
		.amdhsa_workgroup_processor_mode 1
		.amdhsa_memory_ordered 1
		.amdhsa_forward_progress 0
		.amdhsa_shared_vgpr_count 0
		.amdhsa_exception_fp_ieee_invalid_op 0
		.amdhsa_exception_fp_denorm_src 0
		.amdhsa_exception_fp_ieee_div_zero 0
		.amdhsa_exception_fp_ieee_overflow 0
		.amdhsa_exception_fp_ieee_underflow 0
		.amdhsa_exception_fp_ieee_inexact 0
		.amdhsa_exception_int_div_zero 0
	.end_amdhsa_kernel
	.section	.text._ZN7rocprim17ROCPRIM_400000_NS6detail17trampoline_kernelINS0_14default_configENS1_22reduce_config_selectorIbEEZNS1_11reduce_implILb1ES3_N6hipcub16HIPCUB_304000_NS22TransformInputIteratorIb7NonZeroIdEPdlEEPllNS8_6detail34convert_binary_result_type_wrapperINS8_3SumESD_lEEEE10hipError_tPvRmT1_T2_T3_mT4_P12ihipStream_tbEUlT_E0_NS1_11comp_targetILNS1_3genE9ELNS1_11target_archE1100ELNS1_3gpuE3ELNS1_3repE0EEENS1_30default_config_static_selectorELNS0_4arch9wavefront6targetE0EEEvSM_,"axG",@progbits,_ZN7rocprim17ROCPRIM_400000_NS6detail17trampoline_kernelINS0_14default_configENS1_22reduce_config_selectorIbEEZNS1_11reduce_implILb1ES3_N6hipcub16HIPCUB_304000_NS22TransformInputIteratorIb7NonZeroIdEPdlEEPllNS8_6detail34convert_binary_result_type_wrapperINS8_3SumESD_lEEEE10hipError_tPvRmT1_T2_T3_mT4_P12ihipStream_tbEUlT_E0_NS1_11comp_targetILNS1_3genE9ELNS1_11target_archE1100ELNS1_3gpuE3ELNS1_3repE0EEENS1_30default_config_static_selectorELNS0_4arch9wavefront6targetE0EEEvSM_,comdat
.Lfunc_end310:
	.size	_ZN7rocprim17ROCPRIM_400000_NS6detail17trampoline_kernelINS0_14default_configENS1_22reduce_config_selectorIbEEZNS1_11reduce_implILb1ES3_N6hipcub16HIPCUB_304000_NS22TransformInputIteratorIb7NonZeroIdEPdlEEPllNS8_6detail34convert_binary_result_type_wrapperINS8_3SumESD_lEEEE10hipError_tPvRmT1_T2_T3_mT4_P12ihipStream_tbEUlT_E0_NS1_11comp_targetILNS1_3genE9ELNS1_11target_archE1100ELNS1_3gpuE3ELNS1_3repE0EEENS1_30default_config_static_selectorELNS0_4arch9wavefront6targetE0EEEvSM_, .Lfunc_end310-_ZN7rocprim17ROCPRIM_400000_NS6detail17trampoline_kernelINS0_14default_configENS1_22reduce_config_selectorIbEEZNS1_11reduce_implILb1ES3_N6hipcub16HIPCUB_304000_NS22TransformInputIteratorIb7NonZeroIdEPdlEEPllNS8_6detail34convert_binary_result_type_wrapperINS8_3SumESD_lEEEE10hipError_tPvRmT1_T2_T3_mT4_P12ihipStream_tbEUlT_E0_NS1_11comp_targetILNS1_3genE9ELNS1_11target_archE1100ELNS1_3gpuE3ELNS1_3repE0EEENS1_30default_config_static_selectorELNS0_4arch9wavefront6targetE0EEEvSM_
                                        ; -- End function
	.section	.AMDGPU.csdata,"",@progbits
; Kernel info:
; codeLenInByte = 3940
; NumSgprs: 32
; NumVgprs: 36
; ScratchSize: 0
; MemoryBound: 0
; FloatMode: 240
; IeeeMode: 1
; LDSByteSize: 64 bytes/workgroup (compile time only)
; SGPRBlocks: 3
; VGPRBlocks: 4
; NumSGPRsForWavesPerEU: 32
; NumVGPRsForWavesPerEU: 36
; Occupancy: 16
; WaveLimiterHint : 1
; COMPUTE_PGM_RSRC2:SCRATCH_EN: 0
; COMPUTE_PGM_RSRC2:USER_SGPR: 15
; COMPUTE_PGM_RSRC2:TRAP_HANDLER: 0
; COMPUTE_PGM_RSRC2:TGID_X_EN: 1
; COMPUTE_PGM_RSRC2:TGID_Y_EN: 0
; COMPUTE_PGM_RSRC2:TGID_Z_EN: 0
; COMPUTE_PGM_RSRC2:TIDIG_COMP_CNT: 0
	.section	.text._ZN7rocprim17ROCPRIM_400000_NS6detail17trampoline_kernelINS0_14default_configENS1_22reduce_config_selectorIbEEZNS1_11reduce_implILb1ES3_N6hipcub16HIPCUB_304000_NS22TransformInputIteratorIb7NonZeroIdEPdlEEPllNS8_6detail34convert_binary_result_type_wrapperINS8_3SumESD_lEEEE10hipError_tPvRmT1_T2_T3_mT4_P12ihipStream_tbEUlT_E0_NS1_11comp_targetILNS1_3genE8ELNS1_11target_archE1030ELNS1_3gpuE2ELNS1_3repE0EEENS1_30default_config_static_selectorELNS0_4arch9wavefront6targetE0EEEvSM_,"axG",@progbits,_ZN7rocprim17ROCPRIM_400000_NS6detail17trampoline_kernelINS0_14default_configENS1_22reduce_config_selectorIbEEZNS1_11reduce_implILb1ES3_N6hipcub16HIPCUB_304000_NS22TransformInputIteratorIb7NonZeroIdEPdlEEPllNS8_6detail34convert_binary_result_type_wrapperINS8_3SumESD_lEEEE10hipError_tPvRmT1_T2_T3_mT4_P12ihipStream_tbEUlT_E0_NS1_11comp_targetILNS1_3genE8ELNS1_11target_archE1030ELNS1_3gpuE2ELNS1_3repE0EEENS1_30default_config_static_selectorELNS0_4arch9wavefront6targetE0EEEvSM_,comdat
	.protected	_ZN7rocprim17ROCPRIM_400000_NS6detail17trampoline_kernelINS0_14default_configENS1_22reduce_config_selectorIbEEZNS1_11reduce_implILb1ES3_N6hipcub16HIPCUB_304000_NS22TransformInputIteratorIb7NonZeroIdEPdlEEPllNS8_6detail34convert_binary_result_type_wrapperINS8_3SumESD_lEEEE10hipError_tPvRmT1_T2_T3_mT4_P12ihipStream_tbEUlT_E0_NS1_11comp_targetILNS1_3genE8ELNS1_11target_archE1030ELNS1_3gpuE2ELNS1_3repE0EEENS1_30default_config_static_selectorELNS0_4arch9wavefront6targetE0EEEvSM_ ; -- Begin function _ZN7rocprim17ROCPRIM_400000_NS6detail17trampoline_kernelINS0_14default_configENS1_22reduce_config_selectorIbEEZNS1_11reduce_implILb1ES3_N6hipcub16HIPCUB_304000_NS22TransformInputIteratorIb7NonZeroIdEPdlEEPllNS8_6detail34convert_binary_result_type_wrapperINS8_3SumESD_lEEEE10hipError_tPvRmT1_T2_T3_mT4_P12ihipStream_tbEUlT_E0_NS1_11comp_targetILNS1_3genE8ELNS1_11target_archE1030ELNS1_3gpuE2ELNS1_3repE0EEENS1_30default_config_static_selectorELNS0_4arch9wavefront6targetE0EEEvSM_
	.globl	_ZN7rocprim17ROCPRIM_400000_NS6detail17trampoline_kernelINS0_14default_configENS1_22reduce_config_selectorIbEEZNS1_11reduce_implILb1ES3_N6hipcub16HIPCUB_304000_NS22TransformInputIteratorIb7NonZeroIdEPdlEEPllNS8_6detail34convert_binary_result_type_wrapperINS8_3SumESD_lEEEE10hipError_tPvRmT1_T2_T3_mT4_P12ihipStream_tbEUlT_E0_NS1_11comp_targetILNS1_3genE8ELNS1_11target_archE1030ELNS1_3gpuE2ELNS1_3repE0EEENS1_30default_config_static_selectorELNS0_4arch9wavefront6targetE0EEEvSM_
	.p2align	8
	.type	_ZN7rocprim17ROCPRIM_400000_NS6detail17trampoline_kernelINS0_14default_configENS1_22reduce_config_selectorIbEEZNS1_11reduce_implILb1ES3_N6hipcub16HIPCUB_304000_NS22TransformInputIteratorIb7NonZeroIdEPdlEEPllNS8_6detail34convert_binary_result_type_wrapperINS8_3SumESD_lEEEE10hipError_tPvRmT1_T2_T3_mT4_P12ihipStream_tbEUlT_E0_NS1_11comp_targetILNS1_3genE8ELNS1_11target_archE1030ELNS1_3gpuE2ELNS1_3repE0EEENS1_30default_config_static_selectorELNS0_4arch9wavefront6targetE0EEEvSM_,@function
_ZN7rocprim17ROCPRIM_400000_NS6detail17trampoline_kernelINS0_14default_configENS1_22reduce_config_selectorIbEEZNS1_11reduce_implILb1ES3_N6hipcub16HIPCUB_304000_NS22TransformInputIteratorIb7NonZeroIdEPdlEEPllNS8_6detail34convert_binary_result_type_wrapperINS8_3SumESD_lEEEE10hipError_tPvRmT1_T2_T3_mT4_P12ihipStream_tbEUlT_E0_NS1_11comp_targetILNS1_3genE8ELNS1_11target_archE1030ELNS1_3gpuE2ELNS1_3repE0EEENS1_30default_config_static_selectorELNS0_4arch9wavefront6targetE0EEEvSM_: ; @_ZN7rocprim17ROCPRIM_400000_NS6detail17trampoline_kernelINS0_14default_configENS1_22reduce_config_selectorIbEEZNS1_11reduce_implILb1ES3_N6hipcub16HIPCUB_304000_NS22TransformInputIteratorIb7NonZeroIdEPdlEEPllNS8_6detail34convert_binary_result_type_wrapperINS8_3SumESD_lEEEE10hipError_tPvRmT1_T2_T3_mT4_P12ihipStream_tbEUlT_E0_NS1_11comp_targetILNS1_3genE8ELNS1_11target_archE1030ELNS1_3gpuE2ELNS1_3repE0EEENS1_30default_config_static_selectorELNS0_4arch9wavefront6targetE0EEEvSM_
; %bb.0:
	.section	.rodata,"a",@progbits
	.p2align	6, 0x0
	.amdhsa_kernel _ZN7rocprim17ROCPRIM_400000_NS6detail17trampoline_kernelINS0_14default_configENS1_22reduce_config_selectorIbEEZNS1_11reduce_implILb1ES3_N6hipcub16HIPCUB_304000_NS22TransformInputIteratorIb7NonZeroIdEPdlEEPllNS8_6detail34convert_binary_result_type_wrapperINS8_3SumESD_lEEEE10hipError_tPvRmT1_T2_T3_mT4_P12ihipStream_tbEUlT_E0_NS1_11comp_targetILNS1_3genE8ELNS1_11target_archE1030ELNS1_3gpuE2ELNS1_3repE0EEENS1_30default_config_static_selectorELNS0_4arch9wavefront6targetE0EEEvSM_
		.amdhsa_group_segment_fixed_size 0
		.amdhsa_private_segment_fixed_size 0
		.amdhsa_kernarg_size 72
		.amdhsa_user_sgpr_count 15
		.amdhsa_user_sgpr_dispatch_ptr 0
		.amdhsa_user_sgpr_queue_ptr 0
		.amdhsa_user_sgpr_kernarg_segment_ptr 1
		.amdhsa_user_sgpr_dispatch_id 0
		.amdhsa_user_sgpr_private_segment_size 0
		.amdhsa_wavefront_size32 1
		.amdhsa_uses_dynamic_stack 0
		.amdhsa_enable_private_segment 0
		.amdhsa_system_sgpr_workgroup_id_x 1
		.amdhsa_system_sgpr_workgroup_id_y 0
		.amdhsa_system_sgpr_workgroup_id_z 0
		.amdhsa_system_sgpr_workgroup_info 0
		.amdhsa_system_vgpr_workitem_id 0
		.amdhsa_next_free_vgpr 1
		.amdhsa_next_free_sgpr 1
		.amdhsa_reserve_vcc 0
		.amdhsa_float_round_mode_32 0
		.amdhsa_float_round_mode_16_64 0
		.amdhsa_float_denorm_mode_32 3
		.amdhsa_float_denorm_mode_16_64 3
		.amdhsa_dx10_clamp 1
		.amdhsa_ieee_mode 1
		.amdhsa_fp16_overflow 0
		.amdhsa_workgroup_processor_mode 1
		.amdhsa_memory_ordered 1
		.amdhsa_forward_progress 0
		.amdhsa_shared_vgpr_count 0
		.amdhsa_exception_fp_ieee_invalid_op 0
		.amdhsa_exception_fp_denorm_src 0
		.amdhsa_exception_fp_ieee_div_zero 0
		.amdhsa_exception_fp_ieee_overflow 0
		.amdhsa_exception_fp_ieee_underflow 0
		.amdhsa_exception_fp_ieee_inexact 0
		.amdhsa_exception_int_div_zero 0
	.end_amdhsa_kernel
	.section	.text._ZN7rocprim17ROCPRIM_400000_NS6detail17trampoline_kernelINS0_14default_configENS1_22reduce_config_selectorIbEEZNS1_11reduce_implILb1ES3_N6hipcub16HIPCUB_304000_NS22TransformInputIteratorIb7NonZeroIdEPdlEEPllNS8_6detail34convert_binary_result_type_wrapperINS8_3SumESD_lEEEE10hipError_tPvRmT1_T2_T3_mT4_P12ihipStream_tbEUlT_E0_NS1_11comp_targetILNS1_3genE8ELNS1_11target_archE1030ELNS1_3gpuE2ELNS1_3repE0EEENS1_30default_config_static_selectorELNS0_4arch9wavefront6targetE0EEEvSM_,"axG",@progbits,_ZN7rocprim17ROCPRIM_400000_NS6detail17trampoline_kernelINS0_14default_configENS1_22reduce_config_selectorIbEEZNS1_11reduce_implILb1ES3_N6hipcub16HIPCUB_304000_NS22TransformInputIteratorIb7NonZeroIdEPdlEEPllNS8_6detail34convert_binary_result_type_wrapperINS8_3SumESD_lEEEE10hipError_tPvRmT1_T2_T3_mT4_P12ihipStream_tbEUlT_E0_NS1_11comp_targetILNS1_3genE8ELNS1_11target_archE1030ELNS1_3gpuE2ELNS1_3repE0EEENS1_30default_config_static_selectorELNS0_4arch9wavefront6targetE0EEEvSM_,comdat
.Lfunc_end311:
	.size	_ZN7rocprim17ROCPRIM_400000_NS6detail17trampoline_kernelINS0_14default_configENS1_22reduce_config_selectorIbEEZNS1_11reduce_implILb1ES3_N6hipcub16HIPCUB_304000_NS22TransformInputIteratorIb7NonZeroIdEPdlEEPllNS8_6detail34convert_binary_result_type_wrapperINS8_3SumESD_lEEEE10hipError_tPvRmT1_T2_T3_mT4_P12ihipStream_tbEUlT_E0_NS1_11comp_targetILNS1_3genE8ELNS1_11target_archE1030ELNS1_3gpuE2ELNS1_3repE0EEENS1_30default_config_static_selectorELNS0_4arch9wavefront6targetE0EEEvSM_, .Lfunc_end311-_ZN7rocprim17ROCPRIM_400000_NS6detail17trampoline_kernelINS0_14default_configENS1_22reduce_config_selectorIbEEZNS1_11reduce_implILb1ES3_N6hipcub16HIPCUB_304000_NS22TransformInputIteratorIb7NonZeroIdEPdlEEPllNS8_6detail34convert_binary_result_type_wrapperINS8_3SumESD_lEEEE10hipError_tPvRmT1_T2_T3_mT4_P12ihipStream_tbEUlT_E0_NS1_11comp_targetILNS1_3genE8ELNS1_11target_archE1030ELNS1_3gpuE2ELNS1_3repE0EEENS1_30default_config_static_selectorELNS0_4arch9wavefront6targetE0EEEvSM_
                                        ; -- End function
	.section	.AMDGPU.csdata,"",@progbits
; Kernel info:
; codeLenInByte = 0
; NumSgprs: 0
; NumVgprs: 0
; ScratchSize: 0
; MemoryBound: 0
; FloatMode: 240
; IeeeMode: 1
; LDSByteSize: 0 bytes/workgroup (compile time only)
; SGPRBlocks: 0
; VGPRBlocks: 0
; NumSGPRsForWavesPerEU: 1
; NumVGPRsForWavesPerEU: 1
; Occupancy: 16
; WaveLimiterHint : 0
; COMPUTE_PGM_RSRC2:SCRATCH_EN: 0
; COMPUTE_PGM_RSRC2:USER_SGPR: 15
; COMPUTE_PGM_RSRC2:TRAP_HANDLER: 0
; COMPUTE_PGM_RSRC2:TGID_X_EN: 1
; COMPUTE_PGM_RSRC2:TGID_Y_EN: 0
; COMPUTE_PGM_RSRC2:TGID_Z_EN: 0
; COMPUTE_PGM_RSRC2:TIDIG_COMP_CNT: 0
	.section	.text._ZN7rocprim17ROCPRIM_400000_NS6detail17trampoline_kernelINS0_14default_configENS1_22reduce_config_selectorIbEEZNS1_11reduce_implILb1ES3_N6hipcub16HIPCUB_304000_NS22TransformInputIteratorIb7NonZeroIdEPdlEEPllNS8_6detail34convert_binary_result_type_wrapperINS8_3SumESD_lEEEE10hipError_tPvRmT1_T2_T3_mT4_P12ihipStream_tbEUlT_E1_NS1_11comp_targetILNS1_3genE0ELNS1_11target_archE4294967295ELNS1_3gpuE0ELNS1_3repE0EEENS1_30default_config_static_selectorELNS0_4arch9wavefront6targetE0EEEvSM_,"axG",@progbits,_ZN7rocprim17ROCPRIM_400000_NS6detail17trampoline_kernelINS0_14default_configENS1_22reduce_config_selectorIbEEZNS1_11reduce_implILb1ES3_N6hipcub16HIPCUB_304000_NS22TransformInputIteratorIb7NonZeroIdEPdlEEPllNS8_6detail34convert_binary_result_type_wrapperINS8_3SumESD_lEEEE10hipError_tPvRmT1_T2_T3_mT4_P12ihipStream_tbEUlT_E1_NS1_11comp_targetILNS1_3genE0ELNS1_11target_archE4294967295ELNS1_3gpuE0ELNS1_3repE0EEENS1_30default_config_static_selectorELNS0_4arch9wavefront6targetE0EEEvSM_,comdat
	.protected	_ZN7rocprim17ROCPRIM_400000_NS6detail17trampoline_kernelINS0_14default_configENS1_22reduce_config_selectorIbEEZNS1_11reduce_implILb1ES3_N6hipcub16HIPCUB_304000_NS22TransformInputIteratorIb7NonZeroIdEPdlEEPllNS8_6detail34convert_binary_result_type_wrapperINS8_3SumESD_lEEEE10hipError_tPvRmT1_T2_T3_mT4_P12ihipStream_tbEUlT_E1_NS1_11comp_targetILNS1_3genE0ELNS1_11target_archE4294967295ELNS1_3gpuE0ELNS1_3repE0EEENS1_30default_config_static_selectorELNS0_4arch9wavefront6targetE0EEEvSM_ ; -- Begin function _ZN7rocprim17ROCPRIM_400000_NS6detail17trampoline_kernelINS0_14default_configENS1_22reduce_config_selectorIbEEZNS1_11reduce_implILb1ES3_N6hipcub16HIPCUB_304000_NS22TransformInputIteratorIb7NonZeroIdEPdlEEPllNS8_6detail34convert_binary_result_type_wrapperINS8_3SumESD_lEEEE10hipError_tPvRmT1_T2_T3_mT4_P12ihipStream_tbEUlT_E1_NS1_11comp_targetILNS1_3genE0ELNS1_11target_archE4294967295ELNS1_3gpuE0ELNS1_3repE0EEENS1_30default_config_static_selectorELNS0_4arch9wavefront6targetE0EEEvSM_
	.globl	_ZN7rocprim17ROCPRIM_400000_NS6detail17trampoline_kernelINS0_14default_configENS1_22reduce_config_selectorIbEEZNS1_11reduce_implILb1ES3_N6hipcub16HIPCUB_304000_NS22TransformInputIteratorIb7NonZeroIdEPdlEEPllNS8_6detail34convert_binary_result_type_wrapperINS8_3SumESD_lEEEE10hipError_tPvRmT1_T2_T3_mT4_P12ihipStream_tbEUlT_E1_NS1_11comp_targetILNS1_3genE0ELNS1_11target_archE4294967295ELNS1_3gpuE0ELNS1_3repE0EEENS1_30default_config_static_selectorELNS0_4arch9wavefront6targetE0EEEvSM_
	.p2align	8
	.type	_ZN7rocprim17ROCPRIM_400000_NS6detail17trampoline_kernelINS0_14default_configENS1_22reduce_config_selectorIbEEZNS1_11reduce_implILb1ES3_N6hipcub16HIPCUB_304000_NS22TransformInputIteratorIb7NonZeroIdEPdlEEPllNS8_6detail34convert_binary_result_type_wrapperINS8_3SumESD_lEEEE10hipError_tPvRmT1_T2_T3_mT4_P12ihipStream_tbEUlT_E1_NS1_11comp_targetILNS1_3genE0ELNS1_11target_archE4294967295ELNS1_3gpuE0ELNS1_3repE0EEENS1_30default_config_static_selectorELNS0_4arch9wavefront6targetE0EEEvSM_,@function
_ZN7rocprim17ROCPRIM_400000_NS6detail17trampoline_kernelINS0_14default_configENS1_22reduce_config_selectorIbEEZNS1_11reduce_implILb1ES3_N6hipcub16HIPCUB_304000_NS22TransformInputIteratorIb7NonZeroIdEPdlEEPllNS8_6detail34convert_binary_result_type_wrapperINS8_3SumESD_lEEEE10hipError_tPvRmT1_T2_T3_mT4_P12ihipStream_tbEUlT_E1_NS1_11comp_targetILNS1_3genE0ELNS1_11target_archE4294967295ELNS1_3gpuE0ELNS1_3repE0EEENS1_30default_config_static_selectorELNS0_4arch9wavefront6targetE0EEEvSM_: ; @_ZN7rocprim17ROCPRIM_400000_NS6detail17trampoline_kernelINS0_14default_configENS1_22reduce_config_selectorIbEEZNS1_11reduce_implILb1ES3_N6hipcub16HIPCUB_304000_NS22TransformInputIteratorIb7NonZeroIdEPdlEEPllNS8_6detail34convert_binary_result_type_wrapperINS8_3SumESD_lEEEE10hipError_tPvRmT1_T2_T3_mT4_P12ihipStream_tbEUlT_E1_NS1_11comp_targetILNS1_3genE0ELNS1_11target_archE4294967295ELNS1_3gpuE0ELNS1_3repE0EEENS1_30default_config_static_selectorELNS0_4arch9wavefront6targetE0EEEvSM_
; %bb.0:
	.section	.rodata,"a",@progbits
	.p2align	6, 0x0
	.amdhsa_kernel _ZN7rocprim17ROCPRIM_400000_NS6detail17trampoline_kernelINS0_14default_configENS1_22reduce_config_selectorIbEEZNS1_11reduce_implILb1ES3_N6hipcub16HIPCUB_304000_NS22TransformInputIteratorIb7NonZeroIdEPdlEEPllNS8_6detail34convert_binary_result_type_wrapperINS8_3SumESD_lEEEE10hipError_tPvRmT1_T2_T3_mT4_P12ihipStream_tbEUlT_E1_NS1_11comp_targetILNS1_3genE0ELNS1_11target_archE4294967295ELNS1_3gpuE0ELNS1_3repE0EEENS1_30default_config_static_selectorELNS0_4arch9wavefront6targetE0EEEvSM_
		.amdhsa_group_segment_fixed_size 0
		.amdhsa_private_segment_fixed_size 0
		.amdhsa_kernarg_size 56
		.amdhsa_user_sgpr_count 15
		.amdhsa_user_sgpr_dispatch_ptr 0
		.amdhsa_user_sgpr_queue_ptr 0
		.amdhsa_user_sgpr_kernarg_segment_ptr 1
		.amdhsa_user_sgpr_dispatch_id 0
		.amdhsa_user_sgpr_private_segment_size 0
		.amdhsa_wavefront_size32 1
		.amdhsa_uses_dynamic_stack 0
		.amdhsa_enable_private_segment 0
		.amdhsa_system_sgpr_workgroup_id_x 1
		.amdhsa_system_sgpr_workgroup_id_y 0
		.amdhsa_system_sgpr_workgroup_id_z 0
		.amdhsa_system_sgpr_workgroup_info 0
		.amdhsa_system_vgpr_workitem_id 0
		.amdhsa_next_free_vgpr 1
		.amdhsa_next_free_sgpr 1
		.amdhsa_reserve_vcc 0
		.amdhsa_float_round_mode_32 0
		.amdhsa_float_round_mode_16_64 0
		.amdhsa_float_denorm_mode_32 3
		.amdhsa_float_denorm_mode_16_64 3
		.amdhsa_dx10_clamp 1
		.amdhsa_ieee_mode 1
		.amdhsa_fp16_overflow 0
		.amdhsa_workgroup_processor_mode 1
		.amdhsa_memory_ordered 1
		.amdhsa_forward_progress 0
		.amdhsa_shared_vgpr_count 0
		.amdhsa_exception_fp_ieee_invalid_op 0
		.amdhsa_exception_fp_denorm_src 0
		.amdhsa_exception_fp_ieee_div_zero 0
		.amdhsa_exception_fp_ieee_overflow 0
		.amdhsa_exception_fp_ieee_underflow 0
		.amdhsa_exception_fp_ieee_inexact 0
		.amdhsa_exception_int_div_zero 0
	.end_amdhsa_kernel
	.section	.text._ZN7rocprim17ROCPRIM_400000_NS6detail17trampoline_kernelINS0_14default_configENS1_22reduce_config_selectorIbEEZNS1_11reduce_implILb1ES3_N6hipcub16HIPCUB_304000_NS22TransformInputIteratorIb7NonZeroIdEPdlEEPllNS8_6detail34convert_binary_result_type_wrapperINS8_3SumESD_lEEEE10hipError_tPvRmT1_T2_T3_mT4_P12ihipStream_tbEUlT_E1_NS1_11comp_targetILNS1_3genE0ELNS1_11target_archE4294967295ELNS1_3gpuE0ELNS1_3repE0EEENS1_30default_config_static_selectorELNS0_4arch9wavefront6targetE0EEEvSM_,"axG",@progbits,_ZN7rocprim17ROCPRIM_400000_NS6detail17trampoline_kernelINS0_14default_configENS1_22reduce_config_selectorIbEEZNS1_11reduce_implILb1ES3_N6hipcub16HIPCUB_304000_NS22TransformInputIteratorIb7NonZeroIdEPdlEEPllNS8_6detail34convert_binary_result_type_wrapperINS8_3SumESD_lEEEE10hipError_tPvRmT1_T2_T3_mT4_P12ihipStream_tbEUlT_E1_NS1_11comp_targetILNS1_3genE0ELNS1_11target_archE4294967295ELNS1_3gpuE0ELNS1_3repE0EEENS1_30default_config_static_selectorELNS0_4arch9wavefront6targetE0EEEvSM_,comdat
.Lfunc_end312:
	.size	_ZN7rocprim17ROCPRIM_400000_NS6detail17trampoline_kernelINS0_14default_configENS1_22reduce_config_selectorIbEEZNS1_11reduce_implILb1ES3_N6hipcub16HIPCUB_304000_NS22TransformInputIteratorIb7NonZeroIdEPdlEEPllNS8_6detail34convert_binary_result_type_wrapperINS8_3SumESD_lEEEE10hipError_tPvRmT1_T2_T3_mT4_P12ihipStream_tbEUlT_E1_NS1_11comp_targetILNS1_3genE0ELNS1_11target_archE4294967295ELNS1_3gpuE0ELNS1_3repE0EEENS1_30default_config_static_selectorELNS0_4arch9wavefront6targetE0EEEvSM_, .Lfunc_end312-_ZN7rocprim17ROCPRIM_400000_NS6detail17trampoline_kernelINS0_14default_configENS1_22reduce_config_selectorIbEEZNS1_11reduce_implILb1ES3_N6hipcub16HIPCUB_304000_NS22TransformInputIteratorIb7NonZeroIdEPdlEEPllNS8_6detail34convert_binary_result_type_wrapperINS8_3SumESD_lEEEE10hipError_tPvRmT1_T2_T3_mT4_P12ihipStream_tbEUlT_E1_NS1_11comp_targetILNS1_3genE0ELNS1_11target_archE4294967295ELNS1_3gpuE0ELNS1_3repE0EEENS1_30default_config_static_selectorELNS0_4arch9wavefront6targetE0EEEvSM_
                                        ; -- End function
	.section	.AMDGPU.csdata,"",@progbits
; Kernel info:
; codeLenInByte = 0
; NumSgprs: 0
; NumVgprs: 0
; ScratchSize: 0
; MemoryBound: 0
; FloatMode: 240
; IeeeMode: 1
; LDSByteSize: 0 bytes/workgroup (compile time only)
; SGPRBlocks: 0
; VGPRBlocks: 0
; NumSGPRsForWavesPerEU: 1
; NumVGPRsForWavesPerEU: 1
; Occupancy: 16
; WaveLimiterHint : 0
; COMPUTE_PGM_RSRC2:SCRATCH_EN: 0
; COMPUTE_PGM_RSRC2:USER_SGPR: 15
; COMPUTE_PGM_RSRC2:TRAP_HANDLER: 0
; COMPUTE_PGM_RSRC2:TGID_X_EN: 1
; COMPUTE_PGM_RSRC2:TGID_Y_EN: 0
; COMPUTE_PGM_RSRC2:TGID_Z_EN: 0
; COMPUTE_PGM_RSRC2:TIDIG_COMP_CNT: 0
	.section	.text._ZN7rocprim17ROCPRIM_400000_NS6detail17trampoline_kernelINS0_14default_configENS1_22reduce_config_selectorIbEEZNS1_11reduce_implILb1ES3_N6hipcub16HIPCUB_304000_NS22TransformInputIteratorIb7NonZeroIdEPdlEEPllNS8_6detail34convert_binary_result_type_wrapperINS8_3SumESD_lEEEE10hipError_tPvRmT1_T2_T3_mT4_P12ihipStream_tbEUlT_E1_NS1_11comp_targetILNS1_3genE5ELNS1_11target_archE942ELNS1_3gpuE9ELNS1_3repE0EEENS1_30default_config_static_selectorELNS0_4arch9wavefront6targetE0EEEvSM_,"axG",@progbits,_ZN7rocprim17ROCPRIM_400000_NS6detail17trampoline_kernelINS0_14default_configENS1_22reduce_config_selectorIbEEZNS1_11reduce_implILb1ES3_N6hipcub16HIPCUB_304000_NS22TransformInputIteratorIb7NonZeroIdEPdlEEPllNS8_6detail34convert_binary_result_type_wrapperINS8_3SumESD_lEEEE10hipError_tPvRmT1_T2_T3_mT4_P12ihipStream_tbEUlT_E1_NS1_11comp_targetILNS1_3genE5ELNS1_11target_archE942ELNS1_3gpuE9ELNS1_3repE0EEENS1_30default_config_static_selectorELNS0_4arch9wavefront6targetE0EEEvSM_,comdat
	.protected	_ZN7rocprim17ROCPRIM_400000_NS6detail17trampoline_kernelINS0_14default_configENS1_22reduce_config_selectorIbEEZNS1_11reduce_implILb1ES3_N6hipcub16HIPCUB_304000_NS22TransformInputIteratorIb7NonZeroIdEPdlEEPllNS8_6detail34convert_binary_result_type_wrapperINS8_3SumESD_lEEEE10hipError_tPvRmT1_T2_T3_mT4_P12ihipStream_tbEUlT_E1_NS1_11comp_targetILNS1_3genE5ELNS1_11target_archE942ELNS1_3gpuE9ELNS1_3repE0EEENS1_30default_config_static_selectorELNS0_4arch9wavefront6targetE0EEEvSM_ ; -- Begin function _ZN7rocprim17ROCPRIM_400000_NS6detail17trampoline_kernelINS0_14default_configENS1_22reduce_config_selectorIbEEZNS1_11reduce_implILb1ES3_N6hipcub16HIPCUB_304000_NS22TransformInputIteratorIb7NonZeroIdEPdlEEPllNS8_6detail34convert_binary_result_type_wrapperINS8_3SumESD_lEEEE10hipError_tPvRmT1_T2_T3_mT4_P12ihipStream_tbEUlT_E1_NS1_11comp_targetILNS1_3genE5ELNS1_11target_archE942ELNS1_3gpuE9ELNS1_3repE0EEENS1_30default_config_static_selectorELNS0_4arch9wavefront6targetE0EEEvSM_
	.globl	_ZN7rocprim17ROCPRIM_400000_NS6detail17trampoline_kernelINS0_14default_configENS1_22reduce_config_selectorIbEEZNS1_11reduce_implILb1ES3_N6hipcub16HIPCUB_304000_NS22TransformInputIteratorIb7NonZeroIdEPdlEEPllNS8_6detail34convert_binary_result_type_wrapperINS8_3SumESD_lEEEE10hipError_tPvRmT1_T2_T3_mT4_P12ihipStream_tbEUlT_E1_NS1_11comp_targetILNS1_3genE5ELNS1_11target_archE942ELNS1_3gpuE9ELNS1_3repE0EEENS1_30default_config_static_selectorELNS0_4arch9wavefront6targetE0EEEvSM_
	.p2align	8
	.type	_ZN7rocprim17ROCPRIM_400000_NS6detail17trampoline_kernelINS0_14default_configENS1_22reduce_config_selectorIbEEZNS1_11reduce_implILb1ES3_N6hipcub16HIPCUB_304000_NS22TransformInputIteratorIb7NonZeroIdEPdlEEPllNS8_6detail34convert_binary_result_type_wrapperINS8_3SumESD_lEEEE10hipError_tPvRmT1_T2_T3_mT4_P12ihipStream_tbEUlT_E1_NS1_11comp_targetILNS1_3genE5ELNS1_11target_archE942ELNS1_3gpuE9ELNS1_3repE0EEENS1_30default_config_static_selectorELNS0_4arch9wavefront6targetE0EEEvSM_,@function
_ZN7rocprim17ROCPRIM_400000_NS6detail17trampoline_kernelINS0_14default_configENS1_22reduce_config_selectorIbEEZNS1_11reduce_implILb1ES3_N6hipcub16HIPCUB_304000_NS22TransformInputIteratorIb7NonZeroIdEPdlEEPllNS8_6detail34convert_binary_result_type_wrapperINS8_3SumESD_lEEEE10hipError_tPvRmT1_T2_T3_mT4_P12ihipStream_tbEUlT_E1_NS1_11comp_targetILNS1_3genE5ELNS1_11target_archE942ELNS1_3gpuE9ELNS1_3repE0EEENS1_30default_config_static_selectorELNS0_4arch9wavefront6targetE0EEEvSM_: ; @_ZN7rocprim17ROCPRIM_400000_NS6detail17trampoline_kernelINS0_14default_configENS1_22reduce_config_selectorIbEEZNS1_11reduce_implILb1ES3_N6hipcub16HIPCUB_304000_NS22TransformInputIteratorIb7NonZeroIdEPdlEEPllNS8_6detail34convert_binary_result_type_wrapperINS8_3SumESD_lEEEE10hipError_tPvRmT1_T2_T3_mT4_P12ihipStream_tbEUlT_E1_NS1_11comp_targetILNS1_3genE5ELNS1_11target_archE942ELNS1_3gpuE9ELNS1_3repE0EEENS1_30default_config_static_selectorELNS0_4arch9wavefront6targetE0EEEvSM_
; %bb.0:
	.section	.rodata,"a",@progbits
	.p2align	6, 0x0
	.amdhsa_kernel _ZN7rocprim17ROCPRIM_400000_NS6detail17trampoline_kernelINS0_14default_configENS1_22reduce_config_selectorIbEEZNS1_11reduce_implILb1ES3_N6hipcub16HIPCUB_304000_NS22TransformInputIteratorIb7NonZeroIdEPdlEEPllNS8_6detail34convert_binary_result_type_wrapperINS8_3SumESD_lEEEE10hipError_tPvRmT1_T2_T3_mT4_P12ihipStream_tbEUlT_E1_NS1_11comp_targetILNS1_3genE5ELNS1_11target_archE942ELNS1_3gpuE9ELNS1_3repE0EEENS1_30default_config_static_selectorELNS0_4arch9wavefront6targetE0EEEvSM_
		.amdhsa_group_segment_fixed_size 0
		.amdhsa_private_segment_fixed_size 0
		.amdhsa_kernarg_size 56
		.amdhsa_user_sgpr_count 15
		.amdhsa_user_sgpr_dispatch_ptr 0
		.amdhsa_user_sgpr_queue_ptr 0
		.amdhsa_user_sgpr_kernarg_segment_ptr 1
		.amdhsa_user_sgpr_dispatch_id 0
		.amdhsa_user_sgpr_private_segment_size 0
		.amdhsa_wavefront_size32 1
		.amdhsa_uses_dynamic_stack 0
		.amdhsa_enable_private_segment 0
		.amdhsa_system_sgpr_workgroup_id_x 1
		.amdhsa_system_sgpr_workgroup_id_y 0
		.amdhsa_system_sgpr_workgroup_id_z 0
		.amdhsa_system_sgpr_workgroup_info 0
		.amdhsa_system_vgpr_workitem_id 0
		.amdhsa_next_free_vgpr 1
		.amdhsa_next_free_sgpr 1
		.amdhsa_reserve_vcc 0
		.amdhsa_float_round_mode_32 0
		.amdhsa_float_round_mode_16_64 0
		.amdhsa_float_denorm_mode_32 3
		.amdhsa_float_denorm_mode_16_64 3
		.amdhsa_dx10_clamp 1
		.amdhsa_ieee_mode 1
		.amdhsa_fp16_overflow 0
		.amdhsa_workgroup_processor_mode 1
		.amdhsa_memory_ordered 1
		.amdhsa_forward_progress 0
		.amdhsa_shared_vgpr_count 0
		.amdhsa_exception_fp_ieee_invalid_op 0
		.amdhsa_exception_fp_denorm_src 0
		.amdhsa_exception_fp_ieee_div_zero 0
		.amdhsa_exception_fp_ieee_overflow 0
		.amdhsa_exception_fp_ieee_underflow 0
		.amdhsa_exception_fp_ieee_inexact 0
		.amdhsa_exception_int_div_zero 0
	.end_amdhsa_kernel
	.section	.text._ZN7rocprim17ROCPRIM_400000_NS6detail17trampoline_kernelINS0_14default_configENS1_22reduce_config_selectorIbEEZNS1_11reduce_implILb1ES3_N6hipcub16HIPCUB_304000_NS22TransformInputIteratorIb7NonZeroIdEPdlEEPllNS8_6detail34convert_binary_result_type_wrapperINS8_3SumESD_lEEEE10hipError_tPvRmT1_T2_T3_mT4_P12ihipStream_tbEUlT_E1_NS1_11comp_targetILNS1_3genE5ELNS1_11target_archE942ELNS1_3gpuE9ELNS1_3repE0EEENS1_30default_config_static_selectorELNS0_4arch9wavefront6targetE0EEEvSM_,"axG",@progbits,_ZN7rocprim17ROCPRIM_400000_NS6detail17trampoline_kernelINS0_14default_configENS1_22reduce_config_selectorIbEEZNS1_11reduce_implILb1ES3_N6hipcub16HIPCUB_304000_NS22TransformInputIteratorIb7NonZeroIdEPdlEEPllNS8_6detail34convert_binary_result_type_wrapperINS8_3SumESD_lEEEE10hipError_tPvRmT1_T2_T3_mT4_P12ihipStream_tbEUlT_E1_NS1_11comp_targetILNS1_3genE5ELNS1_11target_archE942ELNS1_3gpuE9ELNS1_3repE0EEENS1_30default_config_static_selectorELNS0_4arch9wavefront6targetE0EEEvSM_,comdat
.Lfunc_end313:
	.size	_ZN7rocprim17ROCPRIM_400000_NS6detail17trampoline_kernelINS0_14default_configENS1_22reduce_config_selectorIbEEZNS1_11reduce_implILb1ES3_N6hipcub16HIPCUB_304000_NS22TransformInputIteratorIb7NonZeroIdEPdlEEPllNS8_6detail34convert_binary_result_type_wrapperINS8_3SumESD_lEEEE10hipError_tPvRmT1_T2_T3_mT4_P12ihipStream_tbEUlT_E1_NS1_11comp_targetILNS1_3genE5ELNS1_11target_archE942ELNS1_3gpuE9ELNS1_3repE0EEENS1_30default_config_static_selectorELNS0_4arch9wavefront6targetE0EEEvSM_, .Lfunc_end313-_ZN7rocprim17ROCPRIM_400000_NS6detail17trampoline_kernelINS0_14default_configENS1_22reduce_config_selectorIbEEZNS1_11reduce_implILb1ES3_N6hipcub16HIPCUB_304000_NS22TransformInputIteratorIb7NonZeroIdEPdlEEPllNS8_6detail34convert_binary_result_type_wrapperINS8_3SumESD_lEEEE10hipError_tPvRmT1_T2_T3_mT4_P12ihipStream_tbEUlT_E1_NS1_11comp_targetILNS1_3genE5ELNS1_11target_archE942ELNS1_3gpuE9ELNS1_3repE0EEENS1_30default_config_static_selectorELNS0_4arch9wavefront6targetE0EEEvSM_
                                        ; -- End function
	.section	.AMDGPU.csdata,"",@progbits
; Kernel info:
; codeLenInByte = 0
; NumSgprs: 0
; NumVgprs: 0
; ScratchSize: 0
; MemoryBound: 0
; FloatMode: 240
; IeeeMode: 1
; LDSByteSize: 0 bytes/workgroup (compile time only)
; SGPRBlocks: 0
; VGPRBlocks: 0
; NumSGPRsForWavesPerEU: 1
; NumVGPRsForWavesPerEU: 1
; Occupancy: 16
; WaveLimiterHint : 0
; COMPUTE_PGM_RSRC2:SCRATCH_EN: 0
; COMPUTE_PGM_RSRC2:USER_SGPR: 15
; COMPUTE_PGM_RSRC2:TRAP_HANDLER: 0
; COMPUTE_PGM_RSRC2:TGID_X_EN: 1
; COMPUTE_PGM_RSRC2:TGID_Y_EN: 0
; COMPUTE_PGM_RSRC2:TGID_Z_EN: 0
; COMPUTE_PGM_RSRC2:TIDIG_COMP_CNT: 0
	.section	.text._ZN7rocprim17ROCPRIM_400000_NS6detail17trampoline_kernelINS0_14default_configENS1_22reduce_config_selectorIbEEZNS1_11reduce_implILb1ES3_N6hipcub16HIPCUB_304000_NS22TransformInputIteratorIb7NonZeroIdEPdlEEPllNS8_6detail34convert_binary_result_type_wrapperINS8_3SumESD_lEEEE10hipError_tPvRmT1_T2_T3_mT4_P12ihipStream_tbEUlT_E1_NS1_11comp_targetILNS1_3genE4ELNS1_11target_archE910ELNS1_3gpuE8ELNS1_3repE0EEENS1_30default_config_static_selectorELNS0_4arch9wavefront6targetE0EEEvSM_,"axG",@progbits,_ZN7rocprim17ROCPRIM_400000_NS6detail17trampoline_kernelINS0_14default_configENS1_22reduce_config_selectorIbEEZNS1_11reduce_implILb1ES3_N6hipcub16HIPCUB_304000_NS22TransformInputIteratorIb7NonZeroIdEPdlEEPllNS8_6detail34convert_binary_result_type_wrapperINS8_3SumESD_lEEEE10hipError_tPvRmT1_T2_T3_mT4_P12ihipStream_tbEUlT_E1_NS1_11comp_targetILNS1_3genE4ELNS1_11target_archE910ELNS1_3gpuE8ELNS1_3repE0EEENS1_30default_config_static_selectorELNS0_4arch9wavefront6targetE0EEEvSM_,comdat
	.protected	_ZN7rocprim17ROCPRIM_400000_NS6detail17trampoline_kernelINS0_14default_configENS1_22reduce_config_selectorIbEEZNS1_11reduce_implILb1ES3_N6hipcub16HIPCUB_304000_NS22TransformInputIteratorIb7NonZeroIdEPdlEEPllNS8_6detail34convert_binary_result_type_wrapperINS8_3SumESD_lEEEE10hipError_tPvRmT1_T2_T3_mT4_P12ihipStream_tbEUlT_E1_NS1_11comp_targetILNS1_3genE4ELNS1_11target_archE910ELNS1_3gpuE8ELNS1_3repE0EEENS1_30default_config_static_selectorELNS0_4arch9wavefront6targetE0EEEvSM_ ; -- Begin function _ZN7rocprim17ROCPRIM_400000_NS6detail17trampoline_kernelINS0_14default_configENS1_22reduce_config_selectorIbEEZNS1_11reduce_implILb1ES3_N6hipcub16HIPCUB_304000_NS22TransformInputIteratorIb7NonZeroIdEPdlEEPllNS8_6detail34convert_binary_result_type_wrapperINS8_3SumESD_lEEEE10hipError_tPvRmT1_T2_T3_mT4_P12ihipStream_tbEUlT_E1_NS1_11comp_targetILNS1_3genE4ELNS1_11target_archE910ELNS1_3gpuE8ELNS1_3repE0EEENS1_30default_config_static_selectorELNS0_4arch9wavefront6targetE0EEEvSM_
	.globl	_ZN7rocprim17ROCPRIM_400000_NS6detail17trampoline_kernelINS0_14default_configENS1_22reduce_config_selectorIbEEZNS1_11reduce_implILb1ES3_N6hipcub16HIPCUB_304000_NS22TransformInputIteratorIb7NonZeroIdEPdlEEPllNS8_6detail34convert_binary_result_type_wrapperINS8_3SumESD_lEEEE10hipError_tPvRmT1_T2_T3_mT4_P12ihipStream_tbEUlT_E1_NS1_11comp_targetILNS1_3genE4ELNS1_11target_archE910ELNS1_3gpuE8ELNS1_3repE0EEENS1_30default_config_static_selectorELNS0_4arch9wavefront6targetE0EEEvSM_
	.p2align	8
	.type	_ZN7rocprim17ROCPRIM_400000_NS6detail17trampoline_kernelINS0_14default_configENS1_22reduce_config_selectorIbEEZNS1_11reduce_implILb1ES3_N6hipcub16HIPCUB_304000_NS22TransformInputIteratorIb7NonZeroIdEPdlEEPllNS8_6detail34convert_binary_result_type_wrapperINS8_3SumESD_lEEEE10hipError_tPvRmT1_T2_T3_mT4_P12ihipStream_tbEUlT_E1_NS1_11comp_targetILNS1_3genE4ELNS1_11target_archE910ELNS1_3gpuE8ELNS1_3repE0EEENS1_30default_config_static_selectorELNS0_4arch9wavefront6targetE0EEEvSM_,@function
_ZN7rocprim17ROCPRIM_400000_NS6detail17trampoline_kernelINS0_14default_configENS1_22reduce_config_selectorIbEEZNS1_11reduce_implILb1ES3_N6hipcub16HIPCUB_304000_NS22TransformInputIteratorIb7NonZeroIdEPdlEEPllNS8_6detail34convert_binary_result_type_wrapperINS8_3SumESD_lEEEE10hipError_tPvRmT1_T2_T3_mT4_P12ihipStream_tbEUlT_E1_NS1_11comp_targetILNS1_3genE4ELNS1_11target_archE910ELNS1_3gpuE8ELNS1_3repE0EEENS1_30default_config_static_selectorELNS0_4arch9wavefront6targetE0EEEvSM_: ; @_ZN7rocprim17ROCPRIM_400000_NS6detail17trampoline_kernelINS0_14default_configENS1_22reduce_config_selectorIbEEZNS1_11reduce_implILb1ES3_N6hipcub16HIPCUB_304000_NS22TransformInputIteratorIb7NonZeroIdEPdlEEPllNS8_6detail34convert_binary_result_type_wrapperINS8_3SumESD_lEEEE10hipError_tPvRmT1_T2_T3_mT4_P12ihipStream_tbEUlT_E1_NS1_11comp_targetILNS1_3genE4ELNS1_11target_archE910ELNS1_3gpuE8ELNS1_3repE0EEENS1_30default_config_static_selectorELNS0_4arch9wavefront6targetE0EEEvSM_
; %bb.0:
	.section	.rodata,"a",@progbits
	.p2align	6, 0x0
	.amdhsa_kernel _ZN7rocprim17ROCPRIM_400000_NS6detail17trampoline_kernelINS0_14default_configENS1_22reduce_config_selectorIbEEZNS1_11reduce_implILb1ES3_N6hipcub16HIPCUB_304000_NS22TransformInputIteratorIb7NonZeroIdEPdlEEPllNS8_6detail34convert_binary_result_type_wrapperINS8_3SumESD_lEEEE10hipError_tPvRmT1_T2_T3_mT4_P12ihipStream_tbEUlT_E1_NS1_11comp_targetILNS1_3genE4ELNS1_11target_archE910ELNS1_3gpuE8ELNS1_3repE0EEENS1_30default_config_static_selectorELNS0_4arch9wavefront6targetE0EEEvSM_
		.amdhsa_group_segment_fixed_size 0
		.amdhsa_private_segment_fixed_size 0
		.amdhsa_kernarg_size 56
		.amdhsa_user_sgpr_count 15
		.amdhsa_user_sgpr_dispatch_ptr 0
		.amdhsa_user_sgpr_queue_ptr 0
		.amdhsa_user_sgpr_kernarg_segment_ptr 1
		.amdhsa_user_sgpr_dispatch_id 0
		.amdhsa_user_sgpr_private_segment_size 0
		.amdhsa_wavefront_size32 1
		.amdhsa_uses_dynamic_stack 0
		.amdhsa_enable_private_segment 0
		.amdhsa_system_sgpr_workgroup_id_x 1
		.amdhsa_system_sgpr_workgroup_id_y 0
		.amdhsa_system_sgpr_workgroup_id_z 0
		.amdhsa_system_sgpr_workgroup_info 0
		.amdhsa_system_vgpr_workitem_id 0
		.amdhsa_next_free_vgpr 1
		.amdhsa_next_free_sgpr 1
		.amdhsa_reserve_vcc 0
		.amdhsa_float_round_mode_32 0
		.amdhsa_float_round_mode_16_64 0
		.amdhsa_float_denorm_mode_32 3
		.amdhsa_float_denorm_mode_16_64 3
		.amdhsa_dx10_clamp 1
		.amdhsa_ieee_mode 1
		.amdhsa_fp16_overflow 0
		.amdhsa_workgroup_processor_mode 1
		.amdhsa_memory_ordered 1
		.amdhsa_forward_progress 0
		.amdhsa_shared_vgpr_count 0
		.amdhsa_exception_fp_ieee_invalid_op 0
		.amdhsa_exception_fp_denorm_src 0
		.amdhsa_exception_fp_ieee_div_zero 0
		.amdhsa_exception_fp_ieee_overflow 0
		.amdhsa_exception_fp_ieee_underflow 0
		.amdhsa_exception_fp_ieee_inexact 0
		.amdhsa_exception_int_div_zero 0
	.end_amdhsa_kernel
	.section	.text._ZN7rocprim17ROCPRIM_400000_NS6detail17trampoline_kernelINS0_14default_configENS1_22reduce_config_selectorIbEEZNS1_11reduce_implILb1ES3_N6hipcub16HIPCUB_304000_NS22TransformInputIteratorIb7NonZeroIdEPdlEEPllNS8_6detail34convert_binary_result_type_wrapperINS8_3SumESD_lEEEE10hipError_tPvRmT1_T2_T3_mT4_P12ihipStream_tbEUlT_E1_NS1_11comp_targetILNS1_3genE4ELNS1_11target_archE910ELNS1_3gpuE8ELNS1_3repE0EEENS1_30default_config_static_selectorELNS0_4arch9wavefront6targetE0EEEvSM_,"axG",@progbits,_ZN7rocprim17ROCPRIM_400000_NS6detail17trampoline_kernelINS0_14default_configENS1_22reduce_config_selectorIbEEZNS1_11reduce_implILb1ES3_N6hipcub16HIPCUB_304000_NS22TransformInputIteratorIb7NonZeroIdEPdlEEPllNS8_6detail34convert_binary_result_type_wrapperINS8_3SumESD_lEEEE10hipError_tPvRmT1_T2_T3_mT4_P12ihipStream_tbEUlT_E1_NS1_11comp_targetILNS1_3genE4ELNS1_11target_archE910ELNS1_3gpuE8ELNS1_3repE0EEENS1_30default_config_static_selectorELNS0_4arch9wavefront6targetE0EEEvSM_,comdat
.Lfunc_end314:
	.size	_ZN7rocprim17ROCPRIM_400000_NS6detail17trampoline_kernelINS0_14default_configENS1_22reduce_config_selectorIbEEZNS1_11reduce_implILb1ES3_N6hipcub16HIPCUB_304000_NS22TransformInputIteratorIb7NonZeroIdEPdlEEPllNS8_6detail34convert_binary_result_type_wrapperINS8_3SumESD_lEEEE10hipError_tPvRmT1_T2_T3_mT4_P12ihipStream_tbEUlT_E1_NS1_11comp_targetILNS1_3genE4ELNS1_11target_archE910ELNS1_3gpuE8ELNS1_3repE0EEENS1_30default_config_static_selectorELNS0_4arch9wavefront6targetE0EEEvSM_, .Lfunc_end314-_ZN7rocprim17ROCPRIM_400000_NS6detail17trampoline_kernelINS0_14default_configENS1_22reduce_config_selectorIbEEZNS1_11reduce_implILb1ES3_N6hipcub16HIPCUB_304000_NS22TransformInputIteratorIb7NonZeroIdEPdlEEPllNS8_6detail34convert_binary_result_type_wrapperINS8_3SumESD_lEEEE10hipError_tPvRmT1_T2_T3_mT4_P12ihipStream_tbEUlT_E1_NS1_11comp_targetILNS1_3genE4ELNS1_11target_archE910ELNS1_3gpuE8ELNS1_3repE0EEENS1_30default_config_static_selectorELNS0_4arch9wavefront6targetE0EEEvSM_
                                        ; -- End function
	.section	.AMDGPU.csdata,"",@progbits
; Kernel info:
; codeLenInByte = 0
; NumSgprs: 0
; NumVgprs: 0
; ScratchSize: 0
; MemoryBound: 0
; FloatMode: 240
; IeeeMode: 1
; LDSByteSize: 0 bytes/workgroup (compile time only)
; SGPRBlocks: 0
; VGPRBlocks: 0
; NumSGPRsForWavesPerEU: 1
; NumVGPRsForWavesPerEU: 1
; Occupancy: 16
; WaveLimiterHint : 0
; COMPUTE_PGM_RSRC2:SCRATCH_EN: 0
; COMPUTE_PGM_RSRC2:USER_SGPR: 15
; COMPUTE_PGM_RSRC2:TRAP_HANDLER: 0
; COMPUTE_PGM_RSRC2:TGID_X_EN: 1
; COMPUTE_PGM_RSRC2:TGID_Y_EN: 0
; COMPUTE_PGM_RSRC2:TGID_Z_EN: 0
; COMPUTE_PGM_RSRC2:TIDIG_COMP_CNT: 0
	.section	.text._ZN7rocprim17ROCPRIM_400000_NS6detail17trampoline_kernelINS0_14default_configENS1_22reduce_config_selectorIbEEZNS1_11reduce_implILb1ES3_N6hipcub16HIPCUB_304000_NS22TransformInputIteratorIb7NonZeroIdEPdlEEPllNS8_6detail34convert_binary_result_type_wrapperINS8_3SumESD_lEEEE10hipError_tPvRmT1_T2_T3_mT4_P12ihipStream_tbEUlT_E1_NS1_11comp_targetILNS1_3genE3ELNS1_11target_archE908ELNS1_3gpuE7ELNS1_3repE0EEENS1_30default_config_static_selectorELNS0_4arch9wavefront6targetE0EEEvSM_,"axG",@progbits,_ZN7rocprim17ROCPRIM_400000_NS6detail17trampoline_kernelINS0_14default_configENS1_22reduce_config_selectorIbEEZNS1_11reduce_implILb1ES3_N6hipcub16HIPCUB_304000_NS22TransformInputIteratorIb7NonZeroIdEPdlEEPllNS8_6detail34convert_binary_result_type_wrapperINS8_3SumESD_lEEEE10hipError_tPvRmT1_T2_T3_mT4_P12ihipStream_tbEUlT_E1_NS1_11comp_targetILNS1_3genE3ELNS1_11target_archE908ELNS1_3gpuE7ELNS1_3repE0EEENS1_30default_config_static_selectorELNS0_4arch9wavefront6targetE0EEEvSM_,comdat
	.protected	_ZN7rocprim17ROCPRIM_400000_NS6detail17trampoline_kernelINS0_14default_configENS1_22reduce_config_selectorIbEEZNS1_11reduce_implILb1ES3_N6hipcub16HIPCUB_304000_NS22TransformInputIteratorIb7NonZeroIdEPdlEEPllNS8_6detail34convert_binary_result_type_wrapperINS8_3SumESD_lEEEE10hipError_tPvRmT1_T2_T3_mT4_P12ihipStream_tbEUlT_E1_NS1_11comp_targetILNS1_3genE3ELNS1_11target_archE908ELNS1_3gpuE7ELNS1_3repE0EEENS1_30default_config_static_selectorELNS0_4arch9wavefront6targetE0EEEvSM_ ; -- Begin function _ZN7rocprim17ROCPRIM_400000_NS6detail17trampoline_kernelINS0_14default_configENS1_22reduce_config_selectorIbEEZNS1_11reduce_implILb1ES3_N6hipcub16HIPCUB_304000_NS22TransformInputIteratorIb7NonZeroIdEPdlEEPllNS8_6detail34convert_binary_result_type_wrapperINS8_3SumESD_lEEEE10hipError_tPvRmT1_T2_T3_mT4_P12ihipStream_tbEUlT_E1_NS1_11comp_targetILNS1_3genE3ELNS1_11target_archE908ELNS1_3gpuE7ELNS1_3repE0EEENS1_30default_config_static_selectorELNS0_4arch9wavefront6targetE0EEEvSM_
	.globl	_ZN7rocprim17ROCPRIM_400000_NS6detail17trampoline_kernelINS0_14default_configENS1_22reduce_config_selectorIbEEZNS1_11reduce_implILb1ES3_N6hipcub16HIPCUB_304000_NS22TransformInputIteratorIb7NonZeroIdEPdlEEPllNS8_6detail34convert_binary_result_type_wrapperINS8_3SumESD_lEEEE10hipError_tPvRmT1_T2_T3_mT4_P12ihipStream_tbEUlT_E1_NS1_11comp_targetILNS1_3genE3ELNS1_11target_archE908ELNS1_3gpuE7ELNS1_3repE0EEENS1_30default_config_static_selectorELNS0_4arch9wavefront6targetE0EEEvSM_
	.p2align	8
	.type	_ZN7rocprim17ROCPRIM_400000_NS6detail17trampoline_kernelINS0_14default_configENS1_22reduce_config_selectorIbEEZNS1_11reduce_implILb1ES3_N6hipcub16HIPCUB_304000_NS22TransformInputIteratorIb7NonZeroIdEPdlEEPllNS8_6detail34convert_binary_result_type_wrapperINS8_3SumESD_lEEEE10hipError_tPvRmT1_T2_T3_mT4_P12ihipStream_tbEUlT_E1_NS1_11comp_targetILNS1_3genE3ELNS1_11target_archE908ELNS1_3gpuE7ELNS1_3repE0EEENS1_30default_config_static_selectorELNS0_4arch9wavefront6targetE0EEEvSM_,@function
_ZN7rocprim17ROCPRIM_400000_NS6detail17trampoline_kernelINS0_14default_configENS1_22reduce_config_selectorIbEEZNS1_11reduce_implILb1ES3_N6hipcub16HIPCUB_304000_NS22TransformInputIteratorIb7NonZeroIdEPdlEEPllNS8_6detail34convert_binary_result_type_wrapperINS8_3SumESD_lEEEE10hipError_tPvRmT1_T2_T3_mT4_P12ihipStream_tbEUlT_E1_NS1_11comp_targetILNS1_3genE3ELNS1_11target_archE908ELNS1_3gpuE7ELNS1_3repE0EEENS1_30default_config_static_selectorELNS0_4arch9wavefront6targetE0EEEvSM_: ; @_ZN7rocprim17ROCPRIM_400000_NS6detail17trampoline_kernelINS0_14default_configENS1_22reduce_config_selectorIbEEZNS1_11reduce_implILb1ES3_N6hipcub16HIPCUB_304000_NS22TransformInputIteratorIb7NonZeroIdEPdlEEPllNS8_6detail34convert_binary_result_type_wrapperINS8_3SumESD_lEEEE10hipError_tPvRmT1_T2_T3_mT4_P12ihipStream_tbEUlT_E1_NS1_11comp_targetILNS1_3genE3ELNS1_11target_archE908ELNS1_3gpuE7ELNS1_3repE0EEENS1_30default_config_static_selectorELNS0_4arch9wavefront6targetE0EEEvSM_
; %bb.0:
	.section	.rodata,"a",@progbits
	.p2align	6, 0x0
	.amdhsa_kernel _ZN7rocprim17ROCPRIM_400000_NS6detail17trampoline_kernelINS0_14default_configENS1_22reduce_config_selectorIbEEZNS1_11reduce_implILb1ES3_N6hipcub16HIPCUB_304000_NS22TransformInputIteratorIb7NonZeroIdEPdlEEPllNS8_6detail34convert_binary_result_type_wrapperINS8_3SumESD_lEEEE10hipError_tPvRmT1_T2_T3_mT4_P12ihipStream_tbEUlT_E1_NS1_11comp_targetILNS1_3genE3ELNS1_11target_archE908ELNS1_3gpuE7ELNS1_3repE0EEENS1_30default_config_static_selectorELNS0_4arch9wavefront6targetE0EEEvSM_
		.amdhsa_group_segment_fixed_size 0
		.amdhsa_private_segment_fixed_size 0
		.amdhsa_kernarg_size 56
		.amdhsa_user_sgpr_count 15
		.amdhsa_user_sgpr_dispatch_ptr 0
		.amdhsa_user_sgpr_queue_ptr 0
		.amdhsa_user_sgpr_kernarg_segment_ptr 1
		.amdhsa_user_sgpr_dispatch_id 0
		.amdhsa_user_sgpr_private_segment_size 0
		.amdhsa_wavefront_size32 1
		.amdhsa_uses_dynamic_stack 0
		.amdhsa_enable_private_segment 0
		.amdhsa_system_sgpr_workgroup_id_x 1
		.amdhsa_system_sgpr_workgroup_id_y 0
		.amdhsa_system_sgpr_workgroup_id_z 0
		.amdhsa_system_sgpr_workgroup_info 0
		.amdhsa_system_vgpr_workitem_id 0
		.amdhsa_next_free_vgpr 1
		.amdhsa_next_free_sgpr 1
		.amdhsa_reserve_vcc 0
		.amdhsa_float_round_mode_32 0
		.amdhsa_float_round_mode_16_64 0
		.amdhsa_float_denorm_mode_32 3
		.amdhsa_float_denorm_mode_16_64 3
		.amdhsa_dx10_clamp 1
		.amdhsa_ieee_mode 1
		.amdhsa_fp16_overflow 0
		.amdhsa_workgroup_processor_mode 1
		.amdhsa_memory_ordered 1
		.amdhsa_forward_progress 0
		.amdhsa_shared_vgpr_count 0
		.amdhsa_exception_fp_ieee_invalid_op 0
		.amdhsa_exception_fp_denorm_src 0
		.amdhsa_exception_fp_ieee_div_zero 0
		.amdhsa_exception_fp_ieee_overflow 0
		.amdhsa_exception_fp_ieee_underflow 0
		.amdhsa_exception_fp_ieee_inexact 0
		.amdhsa_exception_int_div_zero 0
	.end_amdhsa_kernel
	.section	.text._ZN7rocprim17ROCPRIM_400000_NS6detail17trampoline_kernelINS0_14default_configENS1_22reduce_config_selectorIbEEZNS1_11reduce_implILb1ES3_N6hipcub16HIPCUB_304000_NS22TransformInputIteratorIb7NonZeroIdEPdlEEPllNS8_6detail34convert_binary_result_type_wrapperINS8_3SumESD_lEEEE10hipError_tPvRmT1_T2_T3_mT4_P12ihipStream_tbEUlT_E1_NS1_11comp_targetILNS1_3genE3ELNS1_11target_archE908ELNS1_3gpuE7ELNS1_3repE0EEENS1_30default_config_static_selectorELNS0_4arch9wavefront6targetE0EEEvSM_,"axG",@progbits,_ZN7rocprim17ROCPRIM_400000_NS6detail17trampoline_kernelINS0_14default_configENS1_22reduce_config_selectorIbEEZNS1_11reduce_implILb1ES3_N6hipcub16HIPCUB_304000_NS22TransformInputIteratorIb7NonZeroIdEPdlEEPllNS8_6detail34convert_binary_result_type_wrapperINS8_3SumESD_lEEEE10hipError_tPvRmT1_T2_T3_mT4_P12ihipStream_tbEUlT_E1_NS1_11comp_targetILNS1_3genE3ELNS1_11target_archE908ELNS1_3gpuE7ELNS1_3repE0EEENS1_30default_config_static_selectorELNS0_4arch9wavefront6targetE0EEEvSM_,comdat
.Lfunc_end315:
	.size	_ZN7rocprim17ROCPRIM_400000_NS6detail17trampoline_kernelINS0_14default_configENS1_22reduce_config_selectorIbEEZNS1_11reduce_implILb1ES3_N6hipcub16HIPCUB_304000_NS22TransformInputIteratorIb7NonZeroIdEPdlEEPllNS8_6detail34convert_binary_result_type_wrapperINS8_3SumESD_lEEEE10hipError_tPvRmT1_T2_T3_mT4_P12ihipStream_tbEUlT_E1_NS1_11comp_targetILNS1_3genE3ELNS1_11target_archE908ELNS1_3gpuE7ELNS1_3repE0EEENS1_30default_config_static_selectorELNS0_4arch9wavefront6targetE0EEEvSM_, .Lfunc_end315-_ZN7rocprim17ROCPRIM_400000_NS6detail17trampoline_kernelINS0_14default_configENS1_22reduce_config_selectorIbEEZNS1_11reduce_implILb1ES3_N6hipcub16HIPCUB_304000_NS22TransformInputIteratorIb7NonZeroIdEPdlEEPllNS8_6detail34convert_binary_result_type_wrapperINS8_3SumESD_lEEEE10hipError_tPvRmT1_T2_T3_mT4_P12ihipStream_tbEUlT_E1_NS1_11comp_targetILNS1_3genE3ELNS1_11target_archE908ELNS1_3gpuE7ELNS1_3repE0EEENS1_30default_config_static_selectorELNS0_4arch9wavefront6targetE0EEEvSM_
                                        ; -- End function
	.section	.AMDGPU.csdata,"",@progbits
; Kernel info:
; codeLenInByte = 0
; NumSgprs: 0
; NumVgprs: 0
; ScratchSize: 0
; MemoryBound: 0
; FloatMode: 240
; IeeeMode: 1
; LDSByteSize: 0 bytes/workgroup (compile time only)
; SGPRBlocks: 0
; VGPRBlocks: 0
; NumSGPRsForWavesPerEU: 1
; NumVGPRsForWavesPerEU: 1
; Occupancy: 16
; WaveLimiterHint : 0
; COMPUTE_PGM_RSRC2:SCRATCH_EN: 0
; COMPUTE_PGM_RSRC2:USER_SGPR: 15
; COMPUTE_PGM_RSRC2:TRAP_HANDLER: 0
; COMPUTE_PGM_RSRC2:TGID_X_EN: 1
; COMPUTE_PGM_RSRC2:TGID_Y_EN: 0
; COMPUTE_PGM_RSRC2:TGID_Z_EN: 0
; COMPUTE_PGM_RSRC2:TIDIG_COMP_CNT: 0
	.section	.text._ZN7rocprim17ROCPRIM_400000_NS6detail17trampoline_kernelINS0_14default_configENS1_22reduce_config_selectorIbEEZNS1_11reduce_implILb1ES3_N6hipcub16HIPCUB_304000_NS22TransformInputIteratorIb7NonZeroIdEPdlEEPllNS8_6detail34convert_binary_result_type_wrapperINS8_3SumESD_lEEEE10hipError_tPvRmT1_T2_T3_mT4_P12ihipStream_tbEUlT_E1_NS1_11comp_targetILNS1_3genE2ELNS1_11target_archE906ELNS1_3gpuE6ELNS1_3repE0EEENS1_30default_config_static_selectorELNS0_4arch9wavefront6targetE0EEEvSM_,"axG",@progbits,_ZN7rocprim17ROCPRIM_400000_NS6detail17trampoline_kernelINS0_14default_configENS1_22reduce_config_selectorIbEEZNS1_11reduce_implILb1ES3_N6hipcub16HIPCUB_304000_NS22TransformInputIteratorIb7NonZeroIdEPdlEEPllNS8_6detail34convert_binary_result_type_wrapperINS8_3SumESD_lEEEE10hipError_tPvRmT1_T2_T3_mT4_P12ihipStream_tbEUlT_E1_NS1_11comp_targetILNS1_3genE2ELNS1_11target_archE906ELNS1_3gpuE6ELNS1_3repE0EEENS1_30default_config_static_selectorELNS0_4arch9wavefront6targetE0EEEvSM_,comdat
	.protected	_ZN7rocprim17ROCPRIM_400000_NS6detail17trampoline_kernelINS0_14default_configENS1_22reduce_config_selectorIbEEZNS1_11reduce_implILb1ES3_N6hipcub16HIPCUB_304000_NS22TransformInputIteratorIb7NonZeroIdEPdlEEPllNS8_6detail34convert_binary_result_type_wrapperINS8_3SumESD_lEEEE10hipError_tPvRmT1_T2_T3_mT4_P12ihipStream_tbEUlT_E1_NS1_11comp_targetILNS1_3genE2ELNS1_11target_archE906ELNS1_3gpuE6ELNS1_3repE0EEENS1_30default_config_static_selectorELNS0_4arch9wavefront6targetE0EEEvSM_ ; -- Begin function _ZN7rocprim17ROCPRIM_400000_NS6detail17trampoline_kernelINS0_14default_configENS1_22reduce_config_selectorIbEEZNS1_11reduce_implILb1ES3_N6hipcub16HIPCUB_304000_NS22TransformInputIteratorIb7NonZeroIdEPdlEEPllNS8_6detail34convert_binary_result_type_wrapperINS8_3SumESD_lEEEE10hipError_tPvRmT1_T2_T3_mT4_P12ihipStream_tbEUlT_E1_NS1_11comp_targetILNS1_3genE2ELNS1_11target_archE906ELNS1_3gpuE6ELNS1_3repE0EEENS1_30default_config_static_selectorELNS0_4arch9wavefront6targetE0EEEvSM_
	.globl	_ZN7rocprim17ROCPRIM_400000_NS6detail17trampoline_kernelINS0_14default_configENS1_22reduce_config_selectorIbEEZNS1_11reduce_implILb1ES3_N6hipcub16HIPCUB_304000_NS22TransformInputIteratorIb7NonZeroIdEPdlEEPllNS8_6detail34convert_binary_result_type_wrapperINS8_3SumESD_lEEEE10hipError_tPvRmT1_T2_T3_mT4_P12ihipStream_tbEUlT_E1_NS1_11comp_targetILNS1_3genE2ELNS1_11target_archE906ELNS1_3gpuE6ELNS1_3repE0EEENS1_30default_config_static_selectorELNS0_4arch9wavefront6targetE0EEEvSM_
	.p2align	8
	.type	_ZN7rocprim17ROCPRIM_400000_NS6detail17trampoline_kernelINS0_14default_configENS1_22reduce_config_selectorIbEEZNS1_11reduce_implILb1ES3_N6hipcub16HIPCUB_304000_NS22TransformInputIteratorIb7NonZeroIdEPdlEEPllNS8_6detail34convert_binary_result_type_wrapperINS8_3SumESD_lEEEE10hipError_tPvRmT1_T2_T3_mT4_P12ihipStream_tbEUlT_E1_NS1_11comp_targetILNS1_3genE2ELNS1_11target_archE906ELNS1_3gpuE6ELNS1_3repE0EEENS1_30default_config_static_selectorELNS0_4arch9wavefront6targetE0EEEvSM_,@function
_ZN7rocprim17ROCPRIM_400000_NS6detail17trampoline_kernelINS0_14default_configENS1_22reduce_config_selectorIbEEZNS1_11reduce_implILb1ES3_N6hipcub16HIPCUB_304000_NS22TransformInputIteratorIb7NonZeroIdEPdlEEPllNS8_6detail34convert_binary_result_type_wrapperINS8_3SumESD_lEEEE10hipError_tPvRmT1_T2_T3_mT4_P12ihipStream_tbEUlT_E1_NS1_11comp_targetILNS1_3genE2ELNS1_11target_archE906ELNS1_3gpuE6ELNS1_3repE0EEENS1_30default_config_static_selectorELNS0_4arch9wavefront6targetE0EEEvSM_: ; @_ZN7rocprim17ROCPRIM_400000_NS6detail17trampoline_kernelINS0_14default_configENS1_22reduce_config_selectorIbEEZNS1_11reduce_implILb1ES3_N6hipcub16HIPCUB_304000_NS22TransformInputIteratorIb7NonZeroIdEPdlEEPllNS8_6detail34convert_binary_result_type_wrapperINS8_3SumESD_lEEEE10hipError_tPvRmT1_T2_T3_mT4_P12ihipStream_tbEUlT_E1_NS1_11comp_targetILNS1_3genE2ELNS1_11target_archE906ELNS1_3gpuE6ELNS1_3repE0EEENS1_30default_config_static_selectorELNS0_4arch9wavefront6targetE0EEEvSM_
; %bb.0:
	.section	.rodata,"a",@progbits
	.p2align	6, 0x0
	.amdhsa_kernel _ZN7rocprim17ROCPRIM_400000_NS6detail17trampoline_kernelINS0_14default_configENS1_22reduce_config_selectorIbEEZNS1_11reduce_implILb1ES3_N6hipcub16HIPCUB_304000_NS22TransformInputIteratorIb7NonZeroIdEPdlEEPllNS8_6detail34convert_binary_result_type_wrapperINS8_3SumESD_lEEEE10hipError_tPvRmT1_T2_T3_mT4_P12ihipStream_tbEUlT_E1_NS1_11comp_targetILNS1_3genE2ELNS1_11target_archE906ELNS1_3gpuE6ELNS1_3repE0EEENS1_30default_config_static_selectorELNS0_4arch9wavefront6targetE0EEEvSM_
		.amdhsa_group_segment_fixed_size 0
		.amdhsa_private_segment_fixed_size 0
		.amdhsa_kernarg_size 56
		.amdhsa_user_sgpr_count 15
		.amdhsa_user_sgpr_dispatch_ptr 0
		.amdhsa_user_sgpr_queue_ptr 0
		.amdhsa_user_sgpr_kernarg_segment_ptr 1
		.amdhsa_user_sgpr_dispatch_id 0
		.amdhsa_user_sgpr_private_segment_size 0
		.amdhsa_wavefront_size32 1
		.amdhsa_uses_dynamic_stack 0
		.amdhsa_enable_private_segment 0
		.amdhsa_system_sgpr_workgroup_id_x 1
		.amdhsa_system_sgpr_workgroup_id_y 0
		.amdhsa_system_sgpr_workgroup_id_z 0
		.amdhsa_system_sgpr_workgroup_info 0
		.amdhsa_system_vgpr_workitem_id 0
		.amdhsa_next_free_vgpr 1
		.amdhsa_next_free_sgpr 1
		.amdhsa_reserve_vcc 0
		.amdhsa_float_round_mode_32 0
		.amdhsa_float_round_mode_16_64 0
		.amdhsa_float_denorm_mode_32 3
		.amdhsa_float_denorm_mode_16_64 3
		.amdhsa_dx10_clamp 1
		.amdhsa_ieee_mode 1
		.amdhsa_fp16_overflow 0
		.amdhsa_workgroup_processor_mode 1
		.amdhsa_memory_ordered 1
		.amdhsa_forward_progress 0
		.amdhsa_shared_vgpr_count 0
		.amdhsa_exception_fp_ieee_invalid_op 0
		.amdhsa_exception_fp_denorm_src 0
		.amdhsa_exception_fp_ieee_div_zero 0
		.amdhsa_exception_fp_ieee_overflow 0
		.amdhsa_exception_fp_ieee_underflow 0
		.amdhsa_exception_fp_ieee_inexact 0
		.amdhsa_exception_int_div_zero 0
	.end_amdhsa_kernel
	.section	.text._ZN7rocprim17ROCPRIM_400000_NS6detail17trampoline_kernelINS0_14default_configENS1_22reduce_config_selectorIbEEZNS1_11reduce_implILb1ES3_N6hipcub16HIPCUB_304000_NS22TransformInputIteratorIb7NonZeroIdEPdlEEPllNS8_6detail34convert_binary_result_type_wrapperINS8_3SumESD_lEEEE10hipError_tPvRmT1_T2_T3_mT4_P12ihipStream_tbEUlT_E1_NS1_11comp_targetILNS1_3genE2ELNS1_11target_archE906ELNS1_3gpuE6ELNS1_3repE0EEENS1_30default_config_static_selectorELNS0_4arch9wavefront6targetE0EEEvSM_,"axG",@progbits,_ZN7rocprim17ROCPRIM_400000_NS6detail17trampoline_kernelINS0_14default_configENS1_22reduce_config_selectorIbEEZNS1_11reduce_implILb1ES3_N6hipcub16HIPCUB_304000_NS22TransformInputIteratorIb7NonZeroIdEPdlEEPllNS8_6detail34convert_binary_result_type_wrapperINS8_3SumESD_lEEEE10hipError_tPvRmT1_T2_T3_mT4_P12ihipStream_tbEUlT_E1_NS1_11comp_targetILNS1_3genE2ELNS1_11target_archE906ELNS1_3gpuE6ELNS1_3repE0EEENS1_30default_config_static_selectorELNS0_4arch9wavefront6targetE0EEEvSM_,comdat
.Lfunc_end316:
	.size	_ZN7rocprim17ROCPRIM_400000_NS6detail17trampoline_kernelINS0_14default_configENS1_22reduce_config_selectorIbEEZNS1_11reduce_implILb1ES3_N6hipcub16HIPCUB_304000_NS22TransformInputIteratorIb7NonZeroIdEPdlEEPllNS8_6detail34convert_binary_result_type_wrapperINS8_3SumESD_lEEEE10hipError_tPvRmT1_T2_T3_mT4_P12ihipStream_tbEUlT_E1_NS1_11comp_targetILNS1_3genE2ELNS1_11target_archE906ELNS1_3gpuE6ELNS1_3repE0EEENS1_30default_config_static_selectorELNS0_4arch9wavefront6targetE0EEEvSM_, .Lfunc_end316-_ZN7rocprim17ROCPRIM_400000_NS6detail17trampoline_kernelINS0_14default_configENS1_22reduce_config_selectorIbEEZNS1_11reduce_implILb1ES3_N6hipcub16HIPCUB_304000_NS22TransformInputIteratorIb7NonZeroIdEPdlEEPllNS8_6detail34convert_binary_result_type_wrapperINS8_3SumESD_lEEEE10hipError_tPvRmT1_T2_T3_mT4_P12ihipStream_tbEUlT_E1_NS1_11comp_targetILNS1_3genE2ELNS1_11target_archE906ELNS1_3gpuE6ELNS1_3repE0EEENS1_30default_config_static_selectorELNS0_4arch9wavefront6targetE0EEEvSM_
                                        ; -- End function
	.section	.AMDGPU.csdata,"",@progbits
; Kernel info:
; codeLenInByte = 0
; NumSgprs: 0
; NumVgprs: 0
; ScratchSize: 0
; MemoryBound: 0
; FloatMode: 240
; IeeeMode: 1
; LDSByteSize: 0 bytes/workgroup (compile time only)
; SGPRBlocks: 0
; VGPRBlocks: 0
; NumSGPRsForWavesPerEU: 1
; NumVGPRsForWavesPerEU: 1
; Occupancy: 16
; WaveLimiterHint : 0
; COMPUTE_PGM_RSRC2:SCRATCH_EN: 0
; COMPUTE_PGM_RSRC2:USER_SGPR: 15
; COMPUTE_PGM_RSRC2:TRAP_HANDLER: 0
; COMPUTE_PGM_RSRC2:TGID_X_EN: 1
; COMPUTE_PGM_RSRC2:TGID_Y_EN: 0
; COMPUTE_PGM_RSRC2:TGID_Z_EN: 0
; COMPUTE_PGM_RSRC2:TIDIG_COMP_CNT: 0
	.section	.text._ZN7rocprim17ROCPRIM_400000_NS6detail17trampoline_kernelINS0_14default_configENS1_22reduce_config_selectorIbEEZNS1_11reduce_implILb1ES3_N6hipcub16HIPCUB_304000_NS22TransformInputIteratorIb7NonZeroIdEPdlEEPllNS8_6detail34convert_binary_result_type_wrapperINS8_3SumESD_lEEEE10hipError_tPvRmT1_T2_T3_mT4_P12ihipStream_tbEUlT_E1_NS1_11comp_targetILNS1_3genE10ELNS1_11target_archE1201ELNS1_3gpuE5ELNS1_3repE0EEENS1_30default_config_static_selectorELNS0_4arch9wavefront6targetE0EEEvSM_,"axG",@progbits,_ZN7rocprim17ROCPRIM_400000_NS6detail17trampoline_kernelINS0_14default_configENS1_22reduce_config_selectorIbEEZNS1_11reduce_implILb1ES3_N6hipcub16HIPCUB_304000_NS22TransformInputIteratorIb7NonZeroIdEPdlEEPllNS8_6detail34convert_binary_result_type_wrapperINS8_3SumESD_lEEEE10hipError_tPvRmT1_T2_T3_mT4_P12ihipStream_tbEUlT_E1_NS1_11comp_targetILNS1_3genE10ELNS1_11target_archE1201ELNS1_3gpuE5ELNS1_3repE0EEENS1_30default_config_static_selectorELNS0_4arch9wavefront6targetE0EEEvSM_,comdat
	.protected	_ZN7rocprim17ROCPRIM_400000_NS6detail17trampoline_kernelINS0_14default_configENS1_22reduce_config_selectorIbEEZNS1_11reduce_implILb1ES3_N6hipcub16HIPCUB_304000_NS22TransformInputIteratorIb7NonZeroIdEPdlEEPllNS8_6detail34convert_binary_result_type_wrapperINS8_3SumESD_lEEEE10hipError_tPvRmT1_T2_T3_mT4_P12ihipStream_tbEUlT_E1_NS1_11comp_targetILNS1_3genE10ELNS1_11target_archE1201ELNS1_3gpuE5ELNS1_3repE0EEENS1_30default_config_static_selectorELNS0_4arch9wavefront6targetE0EEEvSM_ ; -- Begin function _ZN7rocprim17ROCPRIM_400000_NS6detail17trampoline_kernelINS0_14default_configENS1_22reduce_config_selectorIbEEZNS1_11reduce_implILb1ES3_N6hipcub16HIPCUB_304000_NS22TransformInputIteratorIb7NonZeroIdEPdlEEPllNS8_6detail34convert_binary_result_type_wrapperINS8_3SumESD_lEEEE10hipError_tPvRmT1_T2_T3_mT4_P12ihipStream_tbEUlT_E1_NS1_11comp_targetILNS1_3genE10ELNS1_11target_archE1201ELNS1_3gpuE5ELNS1_3repE0EEENS1_30default_config_static_selectorELNS0_4arch9wavefront6targetE0EEEvSM_
	.globl	_ZN7rocprim17ROCPRIM_400000_NS6detail17trampoline_kernelINS0_14default_configENS1_22reduce_config_selectorIbEEZNS1_11reduce_implILb1ES3_N6hipcub16HIPCUB_304000_NS22TransformInputIteratorIb7NonZeroIdEPdlEEPllNS8_6detail34convert_binary_result_type_wrapperINS8_3SumESD_lEEEE10hipError_tPvRmT1_T2_T3_mT4_P12ihipStream_tbEUlT_E1_NS1_11comp_targetILNS1_3genE10ELNS1_11target_archE1201ELNS1_3gpuE5ELNS1_3repE0EEENS1_30default_config_static_selectorELNS0_4arch9wavefront6targetE0EEEvSM_
	.p2align	8
	.type	_ZN7rocprim17ROCPRIM_400000_NS6detail17trampoline_kernelINS0_14default_configENS1_22reduce_config_selectorIbEEZNS1_11reduce_implILb1ES3_N6hipcub16HIPCUB_304000_NS22TransformInputIteratorIb7NonZeroIdEPdlEEPllNS8_6detail34convert_binary_result_type_wrapperINS8_3SumESD_lEEEE10hipError_tPvRmT1_T2_T3_mT4_P12ihipStream_tbEUlT_E1_NS1_11comp_targetILNS1_3genE10ELNS1_11target_archE1201ELNS1_3gpuE5ELNS1_3repE0EEENS1_30default_config_static_selectorELNS0_4arch9wavefront6targetE0EEEvSM_,@function
_ZN7rocprim17ROCPRIM_400000_NS6detail17trampoline_kernelINS0_14default_configENS1_22reduce_config_selectorIbEEZNS1_11reduce_implILb1ES3_N6hipcub16HIPCUB_304000_NS22TransformInputIteratorIb7NonZeroIdEPdlEEPllNS8_6detail34convert_binary_result_type_wrapperINS8_3SumESD_lEEEE10hipError_tPvRmT1_T2_T3_mT4_P12ihipStream_tbEUlT_E1_NS1_11comp_targetILNS1_3genE10ELNS1_11target_archE1201ELNS1_3gpuE5ELNS1_3repE0EEENS1_30default_config_static_selectorELNS0_4arch9wavefront6targetE0EEEvSM_: ; @_ZN7rocprim17ROCPRIM_400000_NS6detail17trampoline_kernelINS0_14default_configENS1_22reduce_config_selectorIbEEZNS1_11reduce_implILb1ES3_N6hipcub16HIPCUB_304000_NS22TransformInputIteratorIb7NonZeroIdEPdlEEPllNS8_6detail34convert_binary_result_type_wrapperINS8_3SumESD_lEEEE10hipError_tPvRmT1_T2_T3_mT4_P12ihipStream_tbEUlT_E1_NS1_11comp_targetILNS1_3genE10ELNS1_11target_archE1201ELNS1_3gpuE5ELNS1_3repE0EEENS1_30default_config_static_selectorELNS0_4arch9wavefront6targetE0EEEvSM_
; %bb.0:
	.section	.rodata,"a",@progbits
	.p2align	6, 0x0
	.amdhsa_kernel _ZN7rocprim17ROCPRIM_400000_NS6detail17trampoline_kernelINS0_14default_configENS1_22reduce_config_selectorIbEEZNS1_11reduce_implILb1ES3_N6hipcub16HIPCUB_304000_NS22TransformInputIteratorIb7NonZeroIdEPdlEEPllNS8_6detail34convert_binary_result_type_wrapperINS8_3SumESD_lEEEE10hipError_tPvRmT1_T2_T3_mT4_P12ihipStream_tbEUlT_E1_NS1_11comp_targetILNS1_3genE10ELNS1_11target_archE1201ELNS1_3gpuE5ELNS1_3repE0EEENS1_30default_config_static_selectorELNS0_4arch9wavefront6targetE0EEEvSM_
		.amdhsa_group_segment_fixed_size 0
		.amdhsa_private_segment_fixed_size 0
		.amdhsa_kernarg_size 56
		.amdhsa_user_sgpr_count 15
		.amdhsa_user_sgpr_dispatch_ptr 0
		.amdhsa_user_sgpr_queue_ptr 0
		.amdhsa_user_sgpr_kernarg_segment_ptr 1
		.amdhsa_user_sgpr_dispatch_id 0
		.amdhsa_user_sgpr_private_segment_size 0
		.amdhsa_wavefront_size32 1
		.amdhsa_uses_dynamic_stack 0
		.amdhsa_enable_private_segment 0
		.amdhsa_system_sgpr_workgroup_id_x 1
		.amdhsa_system_sgpr_workgroup_id_y 0
		.amdhsa_system_sgpr_workgroup_id_z 0
		.amdhsa_system_sgpr_workgroup_info 0
		.amdhsa_system_vgpr_workitem_id 0
		.amdhsa_next_free_vgpr 1
		.amdhsa_next_free_sgpr 1
		.amdhsa_reserve_vcc 0
		.amdhsa_float_round_mode_32 0
		.amdhsa_float_round_mode_16_64 0
		.amdhsa_float_denorm_mode_32 3
		.amdhsa_float_denorm_mode_16_64 3
		.amdhsa_dx10_clamp 1
		.amdhsa_ieee_mode 1
		.amdhsa_fp16_overflow 0
		.amdhsa_workgroup_processor_mode 1
		.amdhsa_memory_ordered 1
		.amdhsa_forward_progress 0
		.amdhsa_shared_vgpr_count 0
		.amdhsa_exception_fp_ieee_invalid_op 0
		.amdhsa_exception_fp_denorm_src 0
		.amdhsa_exception_fp_ieee_div_zero 0
		.amdhsa_exception_fp_ieee_overflow 0
		.amdhsa_exception_fp_ieee_underflow 0
		.amdhsa_exception_fp_ieee_inexact 0
		.amdhsa_exception_int_div_zero 0
	.end_amdhsa_kernel
	.section	.text._ZN7rocprim17ROCPRIM_400000_NS6detail17trampoline_kernelINS0_14default_configENS1_22reduce_config_selectorIbEEZNS1_11reduce_implILb1ES3_N6hipcub16HIPCUB_304000_NS22TransformInputIteratorIb7NonZeroIdEPdlEEPllNS8_6detail34convert_binary_result_type_wrapperINS8_3SumESD_lEEEE10hipError_tPvRmT1_T2_T3_mT4_P12ihipStream_tbEUlT_E1_NS1_11comp_targetILNS1_3genE10ELNS1_11target_archE1201ELNS1_3gpuE5ELNS1_3repE0EEENS1_30default_config_static_selectorELNS0_4arch9wavefront6targetE0EEEvSM_,"axG",@progbits,_ZN7rocprim17ROCPRIM_400000_NS6detail17trampoline_kernelINS0_14default_configENS1_22reduce_config_selectorIbEEZNS1_11reduce_implILb1ES3_N6hipcub16HIPCUB_304000_NS22TransformInputIteratorIb7NonZeroIdEPdlEEPllNS8_6detail34convert_binary_result_type_wrapperINS8_3SumESD_lEEEE10hipError_tPvRmT1_T2_T3_mT4_P12ihipStream_tbEUlT_E1_NS1_11comp_targetILNS1_3genE10ELNS1_11target_archE1201ELNS1_3gpuE5ELNS1_3repE0EEENS1_30default_config_static_selectorELNS0_4arch9wavefront6targetE0EEEvSM_,comdat
.Lfunc_end317:
	.size	_ZN7rocprim17ROCPRIM_400000_NS6detail17trampoline_kernelINS0_14default_configENS1_22reduce_config_selectorIbEEZNS1_11reduce_implILb1ES3_N6hipcub16HIPCUB_304000_NS22TransformInputIteratorIb7NonZeroIdEPdlEEPllNS8_6detail34convert_binary_result_type_wrapperINS8_3SumESD_lEEEE10hipError_tPvRmT1_T2_T3_mT4_P12ihipStream_tbEUlT_E1_NS1_11comp_targetILNS1_3genE10ELNS1_11target_archE1201ELNS1_3gpuE5ELNS1_3repE0EEENS1_30default_config_static_selectorELNS0_4arch9wavefront6targetE0EEEvSM_, .Lfunc_end317-_ZN7rocprim17ROCPRIM_400000_NS6detail17trampoline_kernelINS0_14default_configENS1_22reduce_config_selectorIbEEZNS1_11reduce_implILb1ES3_N6hipcub16HIPCUB_304000_NS22TransformInputIteratorIb7NonZeroIdEPdlEEPllNS8_6detail34convert_binary_result_type_wrapperINS8_3SumESD_lEEEE10hipError_tPvRmT1_T2_T3_mT4_P12ihipStream_tbEUlT_E1_NS1_11comp_targetILNS1_3genE10ELNS1_11target_archE1201ELNS1_3gpuE5ELNS1_3repE0EEENS1_30default_config_static_selectorELNS0_4arch9wavefront6targetE0EEEvSM_
                                        ; -- End function
	.section	.AMDGPU.csdata,"",@progbits
; Kernel info:
; codeLenInByte = 0
; NumSgprs: 0
; NumVgprs: 0
; ScratchSize: 0
; MemoryBound: 0
; FloatMode: 240
; IeeeMode: 1
; LDSByteSize: 0 bytes/workgroup (compile time only)
; SGPRBlocks: 0
; VGPRBlocks: 0
; NumSGPRsForWavesPerEU: 1
; NumVGPRsForWavesPerEU: 1
; Occupancy: 16
; WaveLimiterHint : 0
; COMPUTE_PGM_RSRC2:SCRATCH_EN: 0
; COMPUTE_PGM_RSRC2:USER_SGPR: 15
; COMPUTE_PGM_RSRC2:TRAP_HANDLER: 0
; COMPUTE_PGM_RSRC2:TGID_X_EN: 1
; COMPUTE_PGM_RSRC2:TGID_Y_EN: 0
; COMPUTE_PGM_RSRC2:TGID_Z_EN: 0
; COMPUTE_PGM_RSRC2:TIDIG_COMP_CNT: 0
	.section	.text._ZN7rocprim17ROCPRIM_400000_NS6detail17trampoline_kernelINS0_14default_configENS1_22reduce_config_selectorIbEEZNS1_11reduce_implILb1ES3_N6hipcub16HIPCUB_304000_NS22TransformInputIteratorIb7NonZeroIdEPdlEEPllNS8_6detail34convert_binary_result_type_wrapperINS8_3SumESD_lEEEE10hipError_tPvRmT1_T2_T3_mT4_P12ihipStream_tbEUlT_E1_NS1_11comp_targetILNS1_3genE10ELNS1_11target_archE1200ELNS1_3gpuE4ELNS1_3repE0EEENS1_30default_config_static_selectorELNS0_4arch9wavefront6targetE0EEEvSM_,"axG",@progbits,_ZN7rocprim17ROCPRIM_400000_NS6detail17trampoline_kernelINS0_14default_configENS1_22reduce_config_selectorIbEEZNS1_11reduce_implILb1ES3_N6hipcub16HIPCUB_304000_NS22TransformInputIteratorIb7NonZeroIdEPdlEEPllNS8_6detail34convert_binary_result_type_wrapperINS8_3SumESD_lEEEE10hipError_tPvRmT1_T2_T3_mT4_P12ihipStream_tbEUlT_E1_NS1_11comp_targetILNS1_3genE10ELNS1_11target_archE1200ELNS1_3gpuE4ELNS1_3repE0EEENS1_30default_config_static_selectorELNS0_4arch9wavefront6targetE0EEEvSM_,comdat
	.protected	_ZN7rocprim17ROCPRIM_400000_NS6detail17trampoline_kernelINS0_14default_configENS1_22reduce_config_selectorIbEEZNS1_11reduce_implILb1ES3_N6hipcub16HIPCUB_304000_NS22TransformInputIteratorIb7NonZeroIdEPdlEEPllNS8_6detail34convert_binary_result_type_wrapperINS8_3SumESD_lEEEE10hipError_tPvRmT1_T2_T3_mT4_P12ihipStream_tbEUlT_E1_NS1_11comp_targetILNS1_3genE10ELNS1_11target_archE1200ELNS1_3gpuE4ELNS1_3repE0EEENS1_30default_config_static_selectorELNS0_4arch9wavefront6targetE0EEEvSM_ ; -- Begin function _ZN7rocprim17ROCPRIM_400000_NS6detail17trampoline_kernelINS0_14default_configENS1_22reduce_config_selectorIbEEZNS1_11reduce_implILb1ES3_N6hipcub16HIPCUB_304000_NS22TransformInputIteratorIb7NonZeroIdEPdlEEPllNS8_6detail34convert_binary_result_type_wrapperINS8_3SumESD_lEEEE10hipError_tPvRmT1_T2_T3_mT4_P12ihipStream_tbEUlT_E1_NS1_11comp_targetILNS1_3genE10ELNS1_11target_archE1200ELNS1_3gpuE4ELNS1_3repE0EEENS1_30default_config_static_selectorELNS0_4arch9wavefront6targetE0EEEvSM_
	.globl	_ZN7rocprim17ROCPRIM_400000_NS6detail17trampoline_kernelINS0_14default_configENS1_22reduce_config_selectorIbEEZNS1_11reduce_implILb1ES3_N6hipcub16HIPCUB_304000_NS22TransformInputIteratorIb7NonZeroIdEPdlEEPllNS8_6detail34convert_binary_result_type_wrapperINS8_3SumESD_lEEEE10hipError_tPvRmT1_T2_T3_mT4_P12ihipStream_tbEUlT_E1_NS1_11comp_targetILNS1_3genE10ELNS1_11target_archE1200ELNS1_3gpuE4ELNS1_3repE0EEENS1_30default_config_static_selectorELNS0_4arch9wavefront6targetE0EEEvSM_
	.p2align	8
	.type	_ZN7rocprim17ROCPRIM_400000_NS6detail17trampoline_kernelINS0_14default_configENS1_22reduce_config_selectorIbEEZNS1_11reduce_implILb1ES3_N6hipcub16HIPCUB_304000_NS22TransformInputIteratorIb7NonZeroIdEPdlEEPllNS8_6detail34convert_binary_result_type_wrapperINS8_3SumESD_lEEEE10hipError_tPvRmT1_T2_T3_mT4_P12ihipStream_tbEUlT_E1_NS1_11comp_targetILNS1_3genE10ELNS1_11target_archE1200ELNS1_3gpuE4ELNS1_3repE0EEENS1_30default_config_static_selectorELNS0_4arch9wavefront6targetE0EEEvSM_,@function
_ZN7rocprim17ROCPRIM_400000_NS6detail17trampoline_kernelINS0_14default_configENS1_22reduce_config_selectorIbEEZNS1_11reduce_implILb1ES3_N6hipcub16HIPCUB_304000_NS22TransformInputIteratorIb7NonZeroIdEPdlEEPllNS8_6detail34convert_binary_result_type_wrapperINS8_3SumESD_lEEEE10hipError_tPvRmT1_T2_T3_mT4_P12ihipStream_tbEUlT_E1_NS1_11comp_targetILNS1_3genE10ELNS1_11target_archE1200ELNS1_3gpuE4ELNS1_3repE0EEENS1_30default_config_static_selectorELNS0_4arch9wavefront6targetE0EEEvSM_: ; @_ZN7rocprim17ROCPRIM_400000_NS6detail17trampoline_kernelINS0_14default_configENS1_22reduce_config_selectorIbEEZNS1_11reduce_implILb1ES3_N6hipcub16HIPCUB_304000_NS22TransformInputIteratorIb7NonZeroIdEPdlEEPllNS8_6detail34convert_binary_result_type_wrapperINS8_3SumESD_lEEEE10hipError_tPvRmT1_T2_T3_mT4_P12ihipStream_tbEUlT_E1_NS1_11comp_targetILNS1_3genE10ELNS1_11target_archE1200ELNS1_3gpuE4ELNS1_3repE0EEENS1_30default_config_static_selectorELNS0_4arch9wavefront6targetE0EEEvSM_
; %bb.0:
	.section	.rodata,"a",@progbits
	.p2align	6, 0x0
	.amdhsa_kernel _ZN7rocprim17ROCPRIM_400000_NS6detail17trampoline_kernelINS0_14default_configENS1_22reduce_config_selectorIbEEZNS1_11reduce_implILb1ES3_N6hipcub16HIPCUB_304000_NS22TransformInputIteratorIb7NonZeroIdEPdlEEPllNS8_6detail34convert_binary_result_type_wrapperINS8_3SumESD_lEEEE10hipError_tPvRmT1_T2_T3_mT4_P12ihipStream_tbEUlT_E1_NS1_11comp_targetILNS1_3genE10ELNS1_11target_archE1200ELNS1_3gpuE4ELNS1_3repE0EEENS1_30default_config_static_selectorELNS0_4arch9wavefront6targetE0EEEvSM_
		.amdhsa_group_segment_fixed_size 0
		.amdhsa_private_segment_fixed_size 0
		.amdhsa_kernarg_size 56
		.amdhsa_user_sgpr_count 15
		.amdhsa_user_sgpr_dispatch_ptr 0
		.amdhsa_user_sgpr_queue_ptr 0
		.amdhsa_user_sgpr_kernarg_segment_ptr 1
		.amdhsa_user_sgpr_dispatch_id 0
		.amdhsa_user_sgpr_private_segment_size 0
		.amdhsa_wavefront_size32 1
		.amdhsa_uses_dynamic_stack 0
		.amdhsa_enable_private_segment 0
		.amdhsa_system_sgpr_workgroup_id_x 1
		.amdhsa_system_sgpr_workgroup_id_y 0
		.amdhsa_system_sgpr_workgroup_id_z 0
		.amdhsa_system_sgpr_workgroup_info 0
		.amdhsa_system_vgpr_workitem_id 0
		.amdhsa_next_free_vgpr 1
		.amdhsa_next_free_sgpr 1
		.amdhsa_reserve_vcc 0
		.amdhsa_float_round_mode_32 0
		.amdhsa_float_round_mode_16_64 0
		.amdhsa_float_denorm_mode_32 3
		.amdhsa_float_denorm_mode_16_64 3
		.amdhsa_dx10_clamp 1
		.amdhsa_ieee_mode 1
		.amdhsa_fp16_overflow 0
		.amdhsa_workgroup_processor_mode 1
		.amdhsa_memory_ordered 1
		.amdhsa_forward_progress 0
		.amdhsa_shared_vgpr_count 0
		.amdhsa_exception_fp_ieee_invalid_op 0
		.amdhsa_exception_fp_denorm_src 0
		.amdhsa_exception_fp_ieee_div_zero 0
		.amdhsa_exception_fp_ieee_overflow 0
		.amdhsa_exception_fp_ieee_underflow 0
		.amdhsa_exception_fp_ieee_inexact 0
		.amdhsa_exception_int_div_zero 0
	.end_amdhsa_kernel
	.section	.text._ZN7rocprim17ROCPRIM_400000_NS6detail17trampoline_kernelINS0_14default_configENS1_22reduce_config_selectorIbEEZNS1_11reduce_implILb1ES3_N6hipcub16HIPCUB_304000_NS22TransformInputIteratorIb7NonZeroIdEPdlEEPllNS8_6detail34convert_binary_result_type_wrapperINS8_3SumESD_lEEEE10hipError_tPvRmT1_T2_T3_mT4_P12ihipStream_tbEUlT_E1_NS1_11comp_targetILNS1_3genE10ELNS1_11target_archE1200ELNS1_3gpuE4ELNS1_3repE0EEENS1_30default_config_static_selectorELNS0_4arch9wavefront6targetE0EEEvSM_,"axG",@progbits,_ZN7rocprim17ROCPRIM_400000_NS6detail17trampoline_kernelINS0_14default_configENS1_22reduce_config_selectorIbEEZNS1_11reduce_implILb1ES3_N6hipcub16HIPCUB_304000_NS22TransformInputIteratorIb7NonZeroIdEPdlEEPllNS8_6detail34convert_binary_result_type_wrapperINS8_3SumESD_lEEEE10hipError_tPvRmT1_T2_T3_mT4_P12ihipStream_tbEUlT_E1_NS1_11comp_targetILNS1_3genE10ELNS1_11target_archE1200ELNS1_3gpuE4ELNS1_3repE0EEENS1_30default_config_static_selectorELNS0_4arch9wavefront6targetE0EEEvSM_,comdat
.Lfunc_end318:
	.size	_ZN7rocprim17ROCPRIM_400000_NS6detail17trampoline_kernelINS0_14default_configENS1_22reduce_config_selectorIbEEZNS1_11reduce_implILb1ES3_N6hipcub16HIPCUB_304000_NS22TransformInputIteratorIb7NonZeroIdEPdlEEPllNS8_6detail34convert_binary_result_type_wrapperINS8_3SumESD_lEEEE10hipError_tPvRmT1_T2_T3_mT4_P12ihipStream_tbEUlT_E1_NS1_11comp_targetILNS1_3genE10ELNS1_11target_archE1200ELNS1_3gpuE4ELNS1_3repE0EEENS1_30default_config_static_selectorELNS0_4arch9wavefront6targetE0EEEvSM_, .Lfunc_end318-_ZN7rocprim17ROCPRIM_400000_NS6detail17trampoline_kernelINS0_14default_configENS1_22reduce_config_selectorIbEEZNS1_11reduce_implILb1ES3_N6hipcub16HIPCUB_304000_NS22TransformInputIteratorIb7NonZeroIdEPdlEEPllNS8_6detail34convert_binary_result_type_wrapperINS8_3SumESD_lEEEE10hipError_tPvRmT1_T2_T3_mT4_P12ihipStream_tbEUlT_E1_NS1_11comp_targetILNS1_3genE10ELNS1_11target_archE1200ELNS1_3gpuE4ELNS1_3repE0EEENS1_30default_config_static_selectorELNS0_4arch9wavefront6targetE0EEEvSM_
                                        ; -- End function
	.section	.AMDGPU.csdata,"",@progbits
; Kernel info:
; codeLenInByte = 0
; NumSgprs: 0
; NumVgprs: 0
; ScratchSize: 0
; MemoryBound: 0
; FloatMode: 240
; IeeeMode: 1
; LDSByteSize: 0 bytes/workgroup (compile time only)
; SGPRBlocks: 0
; VGPRBlocks: 0
; NumSGPRsForWavesPerEU: 1
; NumVGPRsForWavesPerEU: 1
; Occupancy: 16
; WaveLimiterHint : 0
; COMPUTE_PGM_RSRC2:SCRATCH_EN: 0
; COMPUTE_PGM_RSRC2:USER_SGPR: 15
; COMPUTE_PGM_RSRC2:TRAP_HANDLER: 0
; COMPUTE_PGM_RSRC2:TGID_X_EN: 1
; COMPUTE_PGM_RSRC2:TGID_Y_EN: 0
; COMPUTE_PGM_RSRC2:TGID_Z_EN: 0
; COMPUTE_PGM_RSRC2:TIDIG_COMP_CNT: 0
	.section	.text._ZN7rocprim17ROCPRIM_400000_NS6detail17trampoline_kernelINS0_14default_configENS1_22reduce_config_selectorIbEEZNS1_11reduce_implILb1ES3_N6hipcub16HIPCUB_304000_NS22TransformInputIteratorIb7NonZeroIdEPdlEEPllNS8_6detail34convert_binary_result_type_wrapperINS8_3SumESD_lEEEE10hipError_tPvRmT1_T2_T3_mT4_P12ihipStream_tbEUlT_E1_NS1_11comp_targetILNS1_3genE9ELNS1_11target_archE1100ELNS1_3gpuE3ELNS1_3repE0EEENS1_30default_config_static_selectorELNS0_4arch9wavefront6targetE0EEEvSM_,"axG",@progbits,_ZN7rocprim17ROCPRIM_400000_NS6detail17trampoline_kernelINS0_14default_configENS1_22reduce_config_selectorIbEEZNS1_11reduce_implILb1ES3_N6hipcub16HIPCUB_304000_NS22TransformInputIteratorIb7NonZeroIdEPdlEEPllNS8_6detail34convert_binary_result_type_wrapperINS8_3SumESD_lEEEE10hipError_tPvRmT1_T2_T3_mT4_P12ihipStream_tbEUlT_E1_NS1_11comp_targetILNS1_3genE9ELNS1_11target_archE1100ELNS1_3gpuE3ELNS1_3repE0EEENS1_30default_config_static_selectorELNS0_4arch9wavefront6targetE0EEEvSM_,comdat
	.protected	_ZN7rocprim17ROCPRIM_400000_NS6detail17trampoline_kernelINS0_14default_configENS1_22reduce_config_selectorIbEEZNS1_11reduce_implILb1ES3_N6hipcub16HIPCUB_304000_NS22TransformInputIteratorIb7NonZeroIdEPdlEEPllNS8_6detail34convert_binary_result_type_wrapperINS8_3SumESD_lEEEE10hipError_tPvRmT1_T2_T3_mT4_P12ihipStream_tbEUlT_E1_NS1_11comp_targetILNS1_3genE9ELNS1_11target_archE1100ELNS1_3gpuE3ELNS1_3repE0EEENS1_30default_config_static_selectorELNS0_4arch9wavefront6targetE0EEEvSM_ ; -- Begin function _ZN7rocprim17ROCPRIM_400000_NS6detail17trampoline_kernelINS0_14default_configENS1_22reduce_config_selectorIbEEZNS1_11reduce_implILb1ES3_N6hipcub16HIPCUB_304000_NS22TransformInputIteratorIb7NonZeroIdEPdlEEPllNS8_6detail34convert_binary_result_type_wrapperINS8_3SumESD_lEEEE10hipError_tPvRmT1_T2_T3_mT4_P12ihipStream_tbEUlT_E1_NS1_11comp_targetILNS1_3genE9ELNS1_11target_archE1100ELNS1_3gpuE3ELNS1_3repE0EEENS1_30default_config_static_selectorELNS0_4arch9wavefront6targetE0EEEvSM_
	.globl	_ZN7rocprim17ROCPRIM_400000_NS6detail17trampoline_kernelINS0_14default_configENS1_22reduce_config_selectorIbEEZNS1_11reduce_implILb1ES3_N6hipcub16HIPCUB_304000_NS22TransformInputIteratorIb7NonZeroIdEPdlEEPllNS8_6detail34convert_binary_result_type_wrapperINS8_3SumESD_lEEEE10hipError_tPvRmT1_T2_T3_mT4_P12ihipStream_tbEUlT_E1_NS1_11comp_targetILNS1_3genE9ELNS1_11target_archE1100ELNS1_3gpuE3ELNS1_3repE0EEENS1_30default_config_static_selectorELNS0_4arch9wavefront6targetE0EEEvSM_
	.p2align	8
	.type	_ZN7rocprim17ROCPRIM_400000_NS6detail17trampoline_kernelINS0_14default_configENS1_22reduce_config_selectorIbEEZNS1_11reduce_implILb1ES3_N6hipcub16HIPCUB_304000_NS22TransformInputIteratorIb7NonZeroIdEPdlEEPllNS8_6detail34convert_binary_result_type_wrapperINS8_3SumESD_lEEEE10hipError_tPvRmT1_T2_T3_mT4_P12ihipStream_tbEUlT_E1_NS1_11comp_targetILNS1_3genE9ELNS1_11target_archE1100ELNS1_3gpuE3ELNS1_3repE0EEENS1_30default_config_static_selectorELNS0_4arch9wavefront6targetE0EEEvSM_,@function
_ZN7rocprim17ROCPRIM_400000_NS6detail17trampoline_kernelINS0_14default_configENS1_22reduce_config_selectorIbEEZNS1_11reduce_implILb1ES3_N6hipcub16HIPCUB_304000_NS22TransformInputIteratorIb7NonZeroIdEPdlEEPllNS8_6detail34convert_binary_result_type_wrapperINS8_3SumESD_lEEEE10hipError_tPvRmT1_T2_T3_mT4_P12ihipStream_tbEUlT_E1_NS1_11comp_targetILNS1_3genE9ELNS1_11target_archE1100ELNS1_3gpuE3ELNS1_3repE0EEENS1_30default_config_static_selectorELNS0_4arch9wavefront6targetE0EEEvSM_: ; @_ZN7rocprim17ROCPRIM_400000_NS6detail17trampoline_kernelINS0_14default_configENS1_22reduce_config_selectorIbEEZNS1_11reduce_implILb1ES3_N6hipcub16HIPCUB_304000_NS22TransformInputIteratorIb7NonZeroIdEPdlEEPllNS8_6detail34convert_binary_result_type_wrapperINS8_3SumESD_lEEEE10hipError_tPvRmT1_T2_T3_mT4_P12ihipStream_tbEUlT_E1_NS1_11comp_targetILNS1_3genE9ELNS1_11target_archE1100ELNS1_3gpuE3ELNS1_3repE0EEENS1_30default_config_static_selectorELNS0_4arch9wavefront6targetE0EEEvSM_
; %bb.0:
	s_clause 0x2
	s_load_b32 s26, s[0:1], 0x4
	s_load_b64 s[24:25], s[0:1], 0x8
	s_load_b128 s[20:23], s[0:1], 0x18
	s_mov_b32 s18, s15
	s_waitcnt lgkmcnt(0)
	s_cmp_lt_i32 s26, 16
	s_cbranch_scc1 .LBB319_11
; %bb.1:
	s_cmp_gt_i32 s26, 63
	s_cbranch_scc0 .LBB319_12
; %bb.2:
	s_cmpk_gt_i32 s26, 0x7f
	s_cbranch_scc0 .LBB319_13
; %bb.3:
	s_mov_b32 s3, 0
	s_cmpk_eq_i32 s26, 0x80
	s_mov_b32 s2, 0
                                        ; implicit-def: $vgpr1_vgpr2
	s_cbranch_scc0 .LBB319_14
; %bb.4:
	s_mov_b32 s19, 0
	s_lshl_b32 s6, s18, 14
	s_mov_b32 s7, s19
	s_lshr_b64 s[8:9], s[20:21], 14
	s_lshl_b64 s[4:5], s[6:7], 3
	s_delay_alu instid0(SALU_CYCLE_1)
	s_add_u32 s4, s24, s4
	s_addc_u32 s5, s25, s5
	s_cmp_lg_u64 s[8:9], s[18:19]
	s_cbranch_scc0 .LBB319_22
; %bb.5:
	v_lshlrev_b32_e32 v7, 3, v0
	s_delay_alu instid0(VALU_DEP_1)
	v_add_co_u32 v81, s2, s4, v7
	s_clause 0x3
	global_load_b64 v[1:2], v7, s[4:5]
	global_load_b64 v[3:4], v7, s[4:5] offset:1024
	global_load_b64 v[5:6], v7, s[4:5] offset:2048
	;; [unrolled: 1-line block ×3, first 2 shown]
	v_add_co_ci_u32_e64 v82, null, s5, 0, s2
	v_add_co_u32 v11, vcc_lo, 0x1000, v81
	s_delay_alu instid0(VALU_DEP_2)
	v_add_co_ci_u32_e32 v12, vcc_lo, 0, v82, vcc_lo
	v_add_co_u32 v9, vcc_lo, v81, 0x2000
	v_add_co_ci_u32_e32 v10, vcc_lo, 0, v82, vcc_lo
	v_add_co_u32 v23, vcc_lo, 0x2000, v81
	v_add_co_ci_u32_e32 v24, vcc_lo, 0, v82, vcc_lo
	s_clause 0x5
	global_load_b64 v[13:14], v[9:10], off offset:-4096
	global_load_b64 v[9:10], v[9:10], off
	global_load_b64 v[19:20], v[11:12], off offset:1024
	global_load_b64 v[17:18], v[11:12], off offset:2048
	;; [unrolled: 1-line block ×4, first 2 shown]
	v_add_co_u32 v25, vcc_lo, v81, 0x4000
	v_add_co_ci_u32_e32 v26, vcc_lo, 0, v82, vcc_lo
	v_add_co_u32 v29, vcc_lo, 0x3000, v81
	v_add_co_ci_u32_e32 v30, vcc_lo, 0, v82, vcc_lo
	;; [unrolled: 2-line block ×3, first 2 shown]
	s_clause 0x8
	global_load_b64 v[21:22], v[25:26], off offset:-4096
	global_load_b64 v[41:42], v[23:24], off offset:2048
	global_load_b64 v[39:40], v[23:24], off offset:3072
	global_load_b64 v[31:32], v[29:30], off offset:1024
	global_load_b64 v[27:28], v[29:30], off offset:2048
	global_load_b64 v[23:24], v[29:30], off offset:3072
	global_load_b64 v[33:34], v[37:38], off offset:1024
	global_load_b64 v[35:36], v[37:38], off offset:2048
	global_load_b64 v[37:38], v[37:38], off offset:3072
	v_add_co_u32 v29, vcc_lo, 0x5000, v81
	v_add_co_ci_u32_e32 v30, vcc_lo, 0, v82, vcc_lo
	v_add_co_u32 v43, vcc_lo, v81, 0x6000
	v_add_co_ci_u32_e32 v44, vcc_lo, 0, v82, vcc_lo
	;; [unrolled: 2-line block ×3, first 2 shown]
	s_clause 0x6
	global_load_b64 v[55:56], v[25:26], off
	global_load_b64 v[47:48], v[43:44], off offset:-4096
	global_load_b64 v[43:44], v[43:44], off
	global_load_b64 v[53:54], v[29:30], off offset:1024
	global_load_b64 v[51:52], v[29:30], off offset:2048
	;; [unrolled: 1-line block ×4, first 2 shown]
	v_add_co_u32 v25, vcc_lo, 0x7000, v81
	v_add_co_ci_u32_e32 v26, vcc_lo, 0, v82, vcc_lo
	v_add_co_u32 v29, vcc_lo, v81, 0x8000
	v_add_co_ci_u32_e32 v30, vcc_lo, 0, v82, vcc_lo
	s_clause 0x4
	global_load_b64 v[59:60], v[57:58], off offset:2048
	global_load_b64 v[57:58], v[57:58], off offset:3072
	;; [unrolled: 1-line block ×5, first 2 shown]
	v_add_co_u32 v25, vcc_lo, 0x8000, v81
	v_add_co_ci_u32_e32 v26, vcc_lo, 0, v82, vcc_lo
	s_clause 0x1
	global_load_b64 v[69:70], v[29:30], off offset:-4096
	global_load_b64 v[67:68], v[29:30], off
	v_add_co_u32 v29, vcc_lo, v81, 0xa000
	v_add_co_ci_u32_e32 v30, vcc_lo, 0, v82, vcc_lo
	v_add_co_u32 v83, vcc_lo, 0x9000, v81
	v_add_co_ci_u32_e32 v84, vcc_lo, 0, v82, vcc_lo
	s_clause 0x6
	global_load_b64 v[77:78], v[25:26], off offset:1024
	global_load_b64 v[73:74], v[25:26], off offset:2048
	;; [unrolled: 1-line block ×3, first 2 shown]
	global_load_b64 v[75:76], v[29:30], off offset:-4096
	global_load_b64 v[79:80], v[83:84], off offset:1024
	global_load_b64 v[85:86], v[83:84], off offset:2048
	;; [unrolled: 1-line block ×3, first 2 shown]
	v_add_co_u32 v25, vcc_lo, 0xa000, v81
	v_add_co_ci_u32_e32 v26, vcc_lo, 0, v82, vcc_lo
	global_load_b64 v[87:88], v[29:30], off
	v_add_co_u32 v29, vcc_lo, v81, 0xc000
	v_add_co_ci_u32_e32 v30, vcc_lo, 0, v82, vcc_lo
	s_clause 0x3
	global_load_b64 v[89:90], v[25:26], off offset:1024
	global_load_b64 v[91:92], v[25:26], off offset:2048
	global_load_b64 v[93:94], v[25:26], off offset:3072
	global_load_b64 v[95:96], v[29:30], off offset:-4096
	v_add_co_u32 v25, vcc_lo, 0xb000, v81
	v_add_co_ci_u32_e32 v26, vcc_lo, 0, v82, vcc_lo
	s_clause 0x3
	global_load_b64 v[97:98], v[25:26], off offset:1024
	global_load_b64 v[99:100], v[25:26], off offset:2048
	global_load_b64 v[101:102], v[25:26], off offset:3072
	global_load_b64 v[103:104], v[29:30], off
	v_add_co_u32 v25, vcc_lo, 0xc000, v81
	v_add_co_ci_u32_e32 v26, vcc_lo, 0, v82, vcc_lo
	v_add_co_u32 v29, vcc_lo, v81, 0xe000
	v_add_co_ci_u32_e32 v30, vcc_lo, 0, v82, vcc_lo
	s_clause 0x3
	global_load_b64 v[105:106], v[25:26], off offset:1024
	global_load_b64 v[107:108], v[25:26], off offset:2048
	global_load_b64 v[109:110], v[25:26], off offset:3072
	global_load_b64 v[111:112], v[29:30], off offset:-4096
	v_add_co_u32 v25, vcc_lo, 0xd000, v81
	v_add_co_ci_u32_e32 v26, vcc_lo, 0, v82, vcc_lo
	s_clause 0x3
	global_load_b64 v[113:114], v[25:26], off offset:1024
	global_load_b64 v[115:116], v[25:26], off offset:2048
	global_load_b64 v[117:118], v[25:26], off offset:3072
	global_load_b64 v[119:120], v[29:30], off
	v_add_co_u32 v25, vcc_lo, 0xe000, v81
	v_add_co_ci_u32_e32 v26, vcc_lo, 0, v82, vcc_lo
	v_add_co_u32 v29, vcc_lo, v81, 0x10000
	v_add_co_ci_u32_e32 v30, vcc_lo, 0, v82, vcc_lo
	s_clause 0x3
	global_load_b64 v[121:122], v[25:26], off offset:1024
	global_load_b64 v[123:124], v[25:26], off offset:2048
	global_load_b64 v[125:126], v[25:26], off offset:3072
	global_load_b64 v[127:128], v[29:30], off offset:-4096
	v_add_co_u32 v25, vcc_lo, 0xf000, v81
	v_add_co_ci_u32_e32 v26, vcc_lo, 0, v82, vcc_lo
	s_clause 0x3
	global_load_b64 v[129:130], v[25:26], off offset:1024
	global_load_b64 v[131:132], v[25:26], off offset:2048
	global_load_b64 v[133:134], v[25:26], off offset:3072
	global_load_b64 v[135:136], v[29:30], off
	v_add_co_u32 v25, vcc_lo, 0x10000, v81
	v_add_co_ci_u32_e32 v26, vcc_lo, 0, v82, vcc_lo
	v_add_co_u32 v29, vcc_lo, v81, 0x12000
	v_add_co_ci_u32_e32 v30, vcc_lo, 0, v82, vcc_lo
	s_clause 0x3
	global_load_b64 v[137:138], v[25:26], off offset:1024
	global_load_b64 v[139:140], v[25:26], off offset:2048
	;; [unrolled: 1-line block ×3, first 2 shown]
	global_load_b64 v[143:144], v[29:30], off offset:-4096
	v_add_co_u32 v25, vcc_lo, 0x11000, v81
	v_add_co_ci_u32_e32 v26, vcc_lo, 0, v82, vcc_lo
	v_add_co_u32 v147, vcc_lo, 0x12000, v81
	v_add_co_ci_u32_e32 v148, vcc_lo, 0, v82, vcc_lo
	;; [unrolled: 2-line block ×6, first 2 shown]
	s_clause 0x10
	global_load_b64 v[145:146], v[25:26], off offset:1024
	global_load_b64 v[157:158], v[29:30], off
	global_load_b64 v[159:160], v[25:26], off offset:2048
	global_load_b64 v[161:162], v[25:26], off offset:3072
	;; [unrolled: 1-line block ×7, first 2 shown]
	global_load_b64 v[171:172], v[151:152], off offset:-4096
	global_load_b64 v[151:152], v[151:152], off
	global_load_b64 v[149:150], v[149:150], off offset:3072
	global_load_b64 v[173:174], v[153:154], off offset:1024
	;; [unrolled: 1-line block ×6, first 2 shown]
	s_waitcnt vmcnt(62)
	v_cmp_neq_f64_e32 vcc_lo, 0, v[1:2]
	v_cndmask_b32_e64 v1, 0, 1, vcc_lo
	v_cmp_neq_f64_e32 vcc_lo, 0, v[3:4]
	v_cndmask_b32_e64 v2, 0, 1, vcc_lo
	v_cmp_neq_f64_e32 vcc_lo, 0, v[5:6]
	s_delay_alu instid0(VALU_DEP_2) | instskip(NEXT) | instid1(VALU_DEP_1)
	v_add_co_u32 v1, s2, v2, v1
	v_add_co_ci_u32_e64 v2, null, 0, 0, s2
	v_cndmask_b32_e64 v3, 0, 1, vcc_lo
	v_cmp_neq_f64_e32 vcc_lo, 0, v[7:8]
	s_waitcnt vmcnt(15)
	v_cmp_neq_f64_e64 s2, 0, v[157:158]
	v_cndmask_b32_e64 v4, 0, 1, vcc_lo
	v_cmp_neq_f64_e32 vcc_lo, 0, v[13:14]
	v_cndmask_b32_e64 v5, 0, 1, vcc_lo
	v_cmp_neq_f64_e32 vcc_lo, 0, v[19:20]
	;; [unrolled: 2-line block ×41, first 2 shown]
	v_cndmask_b32_e64 v49, 0, 1, vcc_lo
	v_add_co_u32 v1, vcc_lo, v1, v3
	v_add_co_ci_u32_e32 v2, vcc_lo, 0, v2, vcc_lo
	v_cmp_neq_f64_e32 vcc_lo, 0, v[97:98]
	v_cndmask_b32_e64 v50, 0, 1, vcc_lo
	s_delay_alu instid0(VALU_DEP_4) | instskip(NEXT) | instid1(VALU_DEP_4)
	v_add_co_u32 v1, vcc_lo, v1, v4
	v_add_co_ci_u32_e32 v2, vcc_lo, 0, v2, vcc_lo
	v_cmp_neq_f64_e32 vcc_lo, 0, v[99:100]
	v_cndmask_b32_e64 v51, 0, 1, vcc_lo
	s_delay_alu instid0(VALU_DEP_4) | instskip(NEXT) | instid1(VALU_DEP_4)
	;; [unrolled: 5-line block ×25, first 2 shown]
	v_add_co_u32 v3, vcc_lo, v1, v32
	v_add_co_ci_u32_e32 v4, vcc_lo, 0, v2, vcc_lo
	v_add_co_u32 v1, vcc_lo, 0x15000, v81
	v_add_co_ci_u32_e32 v2, vcc_lo, 0, v82, vcc_lo
	s_delay_alu instid0(VALU_DEP_4) | instskip(NEXT) | instid1(VALU_DEP_4)
	v_add_co_u32 v5, vcc_lo, v3, v33
	v_add_co_ci_u32_e32 v6, vcc_lo, 0, v4, vcc_lo
	v_add_co_u32 v3, vcc_lo, v81, 0x16000
	v_add_co_ci_u32_e32 v4, vcc_lo, 0, v82, vcc_lo
	s_delay_alu instid0(VALU_DEP_4) | instskip(NEXT) | instid1(VALU_DEP_4)
	v_add_co_u32 v7, vcc_lo, v5, v34
	v_add_co_ci_u32_e32 v8, vcc_lo, 0, v6, vcc_lo
	global_load_b64 v[5:6], v[3:4], off offset:-4096
	v_add_co_u32 v9, vcc_lo, v7, v35
	v_add_co_ci_u32_e32 v10, vcc_lo, 0, v8, vcc_lo
	global_load_b64 v[7:8], v[1:2], off offset:1024
	v_add_co_u32 v11, vcc_lo, v9, v36
	v_add_co_ci_u32_e32 v12, vcc_lo, 0, v10, vcc_lo
	v_add_co_u32 v9, vcc_lo, 0x16000, v81
	v_add_co_ci_u32_e32 v10, vcc_lo, 0, v82, vcc_lo
	s_delay_alu instid0(VALU_DEP_4) | instskip(NEXT) | instid1(VALU_DEP_4)
	v_add_co_u32 v11, vcc_lo, v11, v37
	v_add_co_ci_u32_e32 v12, vcc_lo, 0, v12, vcc_lo
	global_load_b64 v[3:4], v[3:4], off
	v_add_co_u32 v15, vcc_lo, v11, v38
	v_add_co_ci_u32_e32 v16, vcc_lo, 0, v12, vcc_lo
	s_clause 0x2
	global_load_b64 v[11:12], v[1:2], off offset:2048
	global_load_b64 v[1:2], v[1:2], off offset:3072
	;; [unrolled: 1-line block ×3, first 2 shown]
	v_add_co_u32 v17, vcc_lo, v15, v39
	v_add_co_ci_u32_e32 v18, vcc_lo, 0, v16, vcc_lo
	s_clause 0x1
	global_load_b64 v[15:16], v[9:10], off offset:2048
	global_load_b64 v[9:10], v[9:10], off offset:3072
	v_add_co_u32 v19, vcc_lo, v17, v40
	v_add_co_ci_u32_e32 v20, vcc_lo, 0, v18, vcc_lo
	v_add_co_u32 v17, vcc_lo, 0x17000, v81
	v_add_co_ci_u32_e32 v18, vcc_lo, 0, v82, vcc_lo
	s_delay_alu instid0(VALU_DEP_4) | instskip(NEXT) | instid1(VALU_DEP_4)
	v_add_co_u32 v21, vcc_lo, v19, v41
	v_add_co_ci_u32_e32 v22, vcc_lo, 0, v20, vcc_lo
	v_add_co_u32 v19, vcc_lo, v81, 0x18000
	v_add_co_ci_u32_e32 v20, vcc_lo, 0, v82, vcc_lo
	s_delay_alu instid0(VALU_DEP_4) | instskip(NEXT) | instid1(VALU_DEP_4)
	v_add_co_u32 v23, vcc_lo, v21, v42
	v_add_co_ci_u32_e32 v24, vcc_lo, 0, v22, vcc_lo
	global_load_b64 v[21:22], v[19:20], off offset:-4096
	v_add_co_u32 v31, vcc_lo, v23, v43
	v_add_co_ci_u32_e32 v32, vcc_lo, 0, v24, vcc_lo
	s_clause 0x1
	global_load_b64 v[23:24], v[17:18], off offset:1024
	global_load_b64 v[27:28], v[17:18], off offset:2048
	v_add_co_u32 v33, vcc_lo, v31, v44
	v_add_co_ci_u32_e32 v34, vcc_lo, 0, v32, vcc_lo
	v_add_co_u32 v31, vcc_lo, 0x18000, v81
	v_add_co_ci_u32_e32 v32, vcc_lo, 0, v82, vcc_lo
	s_delay_alu instid0(VALU_DEP_4) | instskip(NEXT) | instid1(VALU_DEP_4)
	v_add_co_u32 v33, vcc_lo, v33, v45
	v_add_co_ci_u32_e32 v34, vcc_lo, 0, v34, vcc_lo
	global_load_b64 v[19:20], v[19:20], off
	v_add_co_u32 v37, vcc_lo, v33, v46
	v_add_co_ci_u32_e32 v38, vcc_lo, 0, v34, vcc_lo
	s_clause 0x3
	global_load_b64 v[17:18], v[17:18], off offset:3072
	global_load_b64 v[33:34], v[31:32], off offset:1024
	;; [unrolled: 1-line block ×4, first 2 shown]
	v_add_co_u32 v39, vcc_lo, v37, v47
	v_add_co_ci_u32_e32 v40, vcc_lo, 0, v38, vcc_lo
	v_add_co_u32 v37, vcc_lo, 0x19000, v81
	v_add_co_ci_u32_e32 v38, vcc_lo, 0, v82, vcc_lo
	s_delay_alu instid0(VALU_DEP_4) | instskip(NEXT) | instid1(VALU_DEP_4)
	v_add_co_u32 v41, vcc_lo, v39, v48
	v_add_co_ci_u32_e32 v42, vcc_lo, 0, v40, vcc_lo
	v_add_co_u32 v39, vcc_lo, v81, 0x1a000
	v_add_co_ci_u32_e32 v40, vcc_lo, 0, v82, vcc_lo
	s_delay_alu instid0(VALU_DEP_4) | instskip(NEXT) | instid1(VALU_DEP_4)
	v_add_co_u32 v43, vcc_lo, v41, v49
	v_add_co_ci_u32_e32 v44, vcc_lo, 0, v42, vcc_lo
	global_load_b64 v[41:42], v[39:40], off offset:-4096
	v_add_co_u32 v47, vcc_lo, v43, v50
	v_add_co_ci_u32_e32 v48, vcc_lo, 0, v44, vcc_lo
	s_clause 0x1
	global_load_b64 v[43:44], v[37:38], off offset:1024
	global_load_b64 v[45:46], v[37:38], off offset:2048
	v_add_co_u32 v49, vcc_lo, v47, v51
	v_add_co_ci_u32_e32 v50, vcc_lo, 0, v48, vcc_lo
	v_add_co_u32 v47, vcc_lo, 0x1a000, v81
	v_add_co_ci_u32_e32 v48, vcc_lo, 0, v82, vcc_lo
	s_delay_alu instid0(VALU_DEP_4) | instskip(NEXT) | instid1(VALU_DEP_4)
	v_add_co_u32 v49, vcc_lo, v49, v52
	v_add_co_ci_u32_e32 v50, vcc_lo, 0, v50, vcc_lo
	global_load_b64 v[39:40], v[39:40], off
	v_add_co_u32 v51, vcc_lo, v49, v53
	v_add_co_ci_u32_e32 v52, vcc_lo, 0, v50, vcc_lo
	s_clause 0x1
	global_load_b64 v[37:38], v[37:38], off offset:3072
	global_load_b64 v[49:50], v[47:48], off offset:1024
	v_add_co_u32 v53, vcc_lo, v51, v54
	v_add_co_ci_u32_e32 v54, vcc_lo, 0, v52, vcc_lo
	s_clause 0x1
	global_load_b64 v[51:52], v[47:48], off offset:2048
	global_load_b64 v[47:48], v[47:48], off offset:3072
	v_add_co_u32 v55, vcc_lo, v53, v55
	v_add_co_ci_u32_e32 v58, vcc_lo, 0, v54, vcc_lo
	v_add_co_u32 v53, vcc_lo, 0x1b000, v81
	v_add_co_ci_u32_e32 v54, vcc_lo, 0, v82, vcc_lo
	s_delay_alu instid0(VALU_DEP_4) | instskip(NEXT) | instid1(VALU_DEP_4)
	v_add_co_u32 v60, vcc_lo, v55, v56
	v_add_co_ci_u32_e32 v58, vcc_lo, 0, v58, vcc_lo
	v_add_co_u32 v55, vcc_lo, v81, 0x1c000
	v_add_co_ci_u32_e32 v56, vcc_lo, 0, v82, vcc_lo
	s_delay_alu instid0(VALU_DEP_4) | instskip(NEXT) | instid1(VALU_DEP_4)
	v_add_co_u32 v60, vcc_lo, v60, v57
	v_add_co_ci_u32_e32 v61, vcc_lo, 0, v58, vcc_lo
	global_load_b64 v[57:58], v[55:56], off offset:-4096
	v_add_co_u32 v67, vcc_lo, v60, v59
	v_add_co_ci_u32_e32 v68, vcc_lo, 0, v61, vcc_lo
	s_clause 0x1
	global_load_b64 v[59:60], v[53:54], off offset:1024
	global_load_b64 v[61:62], v[53:54], off offset:2048
	v_add_co_u32 v63, vcc_lo, v67, v63
	v_add_co_ci_u32_e32 v67, vcc_lo, 0, v68, vcc_lo
	s_clause 0x1
	global_load_b64 v[53:54], v[53:54], off offset:3072
	global_load_b64 v[55:56], v[55:56], off
	v_add_co_u32 v68, vcc_lo, v63, v64
	v_add_co_ci_u32_e32 v67, vcc_lo, 0, v67, vcc_lo
	v_add_co_u32 v63, vcc_lo, 0x1c000, v81
	v_add_co_ci_u32_e32 v64, vcc_lo, 0, v82, vcc_lo
	s_delay_alu instid0(VALU_DEP_4) | instskip(NEXT) | instid1(VALU_DEP_4)
	v_add_co_u32 v65, vcc_lo, v68, v65
	v_add_co_ci_u32_e32 v67, vcc_lo, 0, v67, vcc_lo
	s_delay_alu instid0(VALU_DEP_2) | instskip(NEXT) | instid1(VALU_DEP_2)
	v_add_co_u32 v70, vcc_lo, v65, v66
	v_add_co_ci_u32_e32 v72, vcc_lo, 0, v67, vcc_lo
	s_clause 0x2
	global_load_b64 v[65:66], v[63:64], off offset:1024
	global_load_b64 v[67:68], v[63:64], off offset:2048
	;; [unrolled: 1-line block ×3, first 2 shown]
	v_add_co_u32 v74, vcc_lo, v70, v69
	v_add_co_ci_u32_e32 v72, vcc_lo, 0, v72, vcc_lo
	v_add_co_u32 v69, vcc_lo, 0x1d000, v81
	v_add_co_ci_u32_e32 v70, vcc_lo, 0, v82, vcc_lo
	s_delay_alu instid0(VALU_DEP_4) | instskip(NEXT) | instid1(VALU_DEP_4)
	v_add_co_u32 v74, vcc_lo, v74, v71
	v_add_co_ci_u32_e32 v76, vcc_lo, 0, v72, vcc_lo
	v_add_co_u32 v71, vcc_lo, v81, 0x1e000
	v_add_co_ci_u32_e32 v72, vcc_lo, 0, v82, vcc_lo
	s_delay_alu instid0(VALU_DEP_4) | instskip(NEXT) | instid1(VALU_DEP_4)
	v_add_co_u32 v77, vcc_lo, v74, v73
	v_add_co_ci_u32_e32 v76, vcc_lo, 0, v76, vcc_lo
	global_load_b64 v[73:74], v[71:72], off offset:-4096
	v_add_co_u32 v80, vcc_lo, v77, v75
	v_add_co_ci_u32_e32 v90, vcc_lo, 0, v76, vcc_lo
	s_clause 0x2
	global_load_b64 v[75:76], v[69:70], off offset:1024
	global_load_b64 v[77:78], v[69:70], off offset:2048
	;; [unrolled: 1-line block ×3, first 2 shown]
	v_add_co_u32 v91, vcc_lo, v80, v79
	v_add_co_ci_u32_e32 v90, vcc_lo, 0, v90, vcc_lo
	v_add_co_u32 v79, vcc_lo, 0x1e000, v81
	v_add_co_ci_u32_e32 v80, vcc_lo, 0, v82, vcc_lo
	s_delay_alu instid0(VALU_DEP_4) | instskip(NEXT) | instid1(VALU_DEP_4)
	v_add_co_u32 v81, vcc_lo, v91, v83
	v_add_co_ci_u32_e32 v82, vcc_lo, 0, v90, vcc_lo
	global_load_b64 v[71:72], v[71:72], off
	v_add_co_u32 v83, vcc_lo, v81, v84
	v_add_co_ci_u32_e32 v84, vcc_lo, 0, v82, vcc_lo
	global_load_b64 v[81:82], v[79:80], off offset:1024
	v_add_co_u32 v83, vcc_lo, v83, v85
	v_add_co_ci_u32_e32 v84, vcc_lo, 0, v84, vcc_lo
	s_waitcnt vmcnt(52)
	v_cmp_neq_f64_e32 vcc_lo, 0, v[159:160]
	v_cndmask_b32_e64 v90, 0, 1, vcc_lo
	v_add_co_u32 v85, vcc_lo, v83, v86
	v_add_co_ci_u32_e32 v86, vcc_lo, 0, v84, vcc_lo
	s_clause 0x1
	global_load_b64 v[83:84], v[79:80], off offset:2048
	global_load_b64 v[79:80], v[79:80], off offset:3072
	v_add_co_u32 v85, vcc_lo, v85, v87
	v_add_co_ci_u32_e32 v86, vcc_lo, 0, v86, vcc_lo
	s_waitcnt vmcnt(53)
	v_cmp_neq_f64_e32 vcc_lo, 0, v[161:162]
	v_cndmask_b32_e64 v91, 0, 1, vcc_lo
	v_add_co_u32 v87, vcc_lo, v85, v88
	v_add_co_ci_u32_e32 v92, vcc_lo, 0, v86, vcc_lo
	global_load_b64 v[85:86], v[155:156], off
	v_add_co_u32 v89, vcc_lo, v87, v89
	global_load_b64 v[87:88], v[155:156], off offset:1024
	v_add_co_ci_u32_e32 v92, vcc_lo, 0, v92, vcc_lo
	v_add_co_u32 v89, vcc_lo, v89, v90
	v_cndmask_b32_e64 v90, 0, 1, s2
	s_waitcnt vmcnt(54)
	v_cmp_neq_f64_e64 s2, 0, v[163:164]
	v_add_co_ci_u32_e32 v92, vcc_lo, 0, v92, vcc_lo
	v_add_co_u32 v89, vcc_lo, v89, v91
	s_delay_alu instid0(VALU_DEP_2) | instskip(NEXT) | instid1(VALU_DEP_2)
	v_add_co_ci_u32_e32 v92, vcc_lo, 0, v92, vcc_lo
	v_add_co_u32 v89, vcc_lo, v89, v90
	s_delay_alu instid0(VALU_DEP_2) | instskip(SKIP_3) | instid1(VALU_DEP_2)
	v_add_co_ci_u32_e32 v92, vcc_lo, 0, v92, vcc_lo
	v_cndmask_b32_e64 v91, 0, 1, s2
	s_waitcnt vmcnt(53)
	v_cmp_neq_f64_e64 s2, 0, v[165:166]
	v_add_co_u32 v89, vcc_lo, v89, v91
	v_add_co_ci_u32_e32 v92, vcc_lo, 0, v92, vcc_lo
	s_delay_alu instid0(VALU_DEP_3) | instskip(SKIP_2) | instid1(VALU_DEP_2)
	v_cndmask_b32_e64 v90, 0, 1, s2
	s_waitcnt vmcnt(52)
	v_cmp_neq_f64_e64 s2, 0, v[147:148]
	v_add_co_u32 v89, vcc_lo, v89, v90
	v_add_co_ci_u32_e32 v92, vcc_lo, 0, v92, vcc_lo
	s_delay_alu instid0(VALU_DEP_3) | instskip(SKIP_2) | instid1(VALU_DEP_2)
	v_cndmask_b32_e64 v91, 0, 1, s2
	s_waitcnt vmcnt(49)
	v_cmp_neq_f64_e64 s2, 0, v[171:172]
	v_add_co_u32 v89, vcc_lo, v89, v91
	v_add_co_ci_u32_e32 v92, vcc_lo, 0, v92, vcc_lo
	s_delay_alu instid0(VALU_DEP_3) | instskip(SKIP_1) | instid1(VALU_DEP_2)
	v_cndmask_b32_e64 v90, 0, 1, s2
	v_cmp_neq_f64_e64 s2, 0, v[167:168]
	v_add_co_u32 v89, vcc_lo, v89, v90
	s_delay_alu instid0(VALU_DEP_4) | instskip(NEXT) | instid1(VALU_DEP_3)
	v_add_co_ci_u32_e32 v92, vcc_lo, 0, v92, vcc_lo
	v_cndmask_b32_e64 v91, 0, 1, s2
	v_cmp_neq_f64_e64 s2, 0, v[169:170]
	s_delay_alu instid0(VALU_DEP_2) | instskip(NEXT) | instid1(VALU_DEP_4)
	v_add_co_u32 v89, vcc_lo, v89, v91
	v_add_co_ci_u32_e32 v92, vcc_lo, 0, v92, vcc_lo
	s_delay_alu instid0(VALU_DEP_3) | instskip(SKIP_2) | instid1(VALU_DEP_2)
	v_cndmask_b32_e64 v90, 0, 1, s2
	s_waitcnt vmcnt(47)
	v_cmp_neq_f64_e64 s2, 0, v[149:150]
	v_add_co_u32 v89, vcc_lo, v89, v90
	v_add_co_ci_u32_e32 v92, vcc_lo, 0, v92, vcc_lo
	s_delay_alu instid0(VALU_DEP_3) | instskip(SKIP_1) | instid1(VALU_DEP_2)
	v_cndmask_b32_e64 v91, 0, 1, s2
	v_cmp_neq_f64_e64 s2, 0, v[151:152]
	v_add_co_u32 v89, vcc_lo, v89, v91
	s_delay_alu instid0(VALU_DEP_4) | instskip(NEXT) | instid1(VALU_DEP_3)
	v_add_co_ci_u32_e32 v92, vcc_lo, 0, v92, vcc_lo
	v_cndmask_b32_e64 v90, 0, 1, s2
	s_waitcnt vmcnt(46)
	v_cmp_neq_f64_e64 s2, 0, v[173:174]
	s_delay_alu instid0(VALU_DEP_2) | instskip(SKIP_1) | instid1(VALU_DEP_3)
	v_add_co_u32 v89, vcc_lo, v89, v90
	v_add_co_ci_u32_e32 v92, vcc_lo, 0, v92, vcc_lo
	v_cndmask_b32_e64 v91, 0, 1, s2
	s_waitcnt vmcnt(45)
	v_cmp_neq_f64_e64 s2, 0, v[175:176]
	s_delay_alu instid0(VALU_DEP_2) | instskip(SKIP_1) | instid1(VALU_DEP_3)
	v_add_co_u32 v89, vcc_lo, v89, v91
	v_add_co_ci_u32_e32 v92, vcc_lo, 0, v92, vcc_lo
	v_cndmask_b32_e64 v90, 0, 1, s2
	s_waitcnt vmcnt(44)
	v_cmp_neq_f64_e64 s2, 0, v[153:154]
	s_delay_alu instid0(VALU_DEP_2) | instskip(NEXT) | instid1(VALU_DEP_2)
	v_add_co_u32 v89, vcc_lo, v89, v90
	v_cndmask_b32_e64 v91, 0, 1, s2
	s_waitcnt vmcnt(41)
	v_cmp_neq_f64_e64 s2, 0, v[5:6]
	v_add_co_ci_u32_e32 v6, vcc_lo, 0, v92, vcc_lo
	s_delay_alu instid0(VALU_DEP_3) | instskip(NEXT) | instid1(VALU_DEP_2)
	v_add_co_u32 v89, vcc_lo, v89, v91
	v_add_co_ci_u32_e32 v6, vcc_lo, 0, v6, vcc_lo
	s_delay_alu instid0(VALU_DEP_4) | instskip(SKIP_2) | instid1(VALU_DEP_2)
	v_cndmask_b32_e64 v5, 0, 1, s2
	s_waitcnt vmcnt(40)
	v_cmp_neq_f64_e64 s2, 0, v[7:8]
	v_add_co_u32 v5, vcc_lo, v89, v5
	v_add_co_ci_u32_e32 v6, vcc_lo, 0, v6, vcc_lo
	s_delay_alu instid0(VALU_DEP_3) | instskip(SKIP_2) | instid1(VALU_DEP_2)
	v_cndmask_b32_e64 v7, 0, 1, s2
	s_waitcnt vmcnt(38)
	v_cmp_neq_f64_e64 s2, 0, v[11:12]
	v_add_co_u32 v5, vcc_lo, v5, v7
	s_delay_alu instid0(VALU_DEP_2) | instskip(SKIP_3) | instid1(VALU_DEP_3)
	v_cndmask_b32_e64 v8, 0, 1, s2
	s_waitcnt vmcnt(37)
	v_cmp_neq_f64_e64 s2, 0, v[1:2]
	v_add_co_ci_u32_e32 v2, vcc_lo, 0, v6, vcc_lo
	v_add_co_u32 v5, vcc_lo, v5, v8
	s_delay_alu instid0(VALU_DEP_2) | instskip(NEXT) | instid1(VALU_DEP_4)
	v_add_co_ci_u32_e32 v2, vcc_lo, 0, v2, vcc_lo
	v_cndmask_b32_e64 v1, 0, 1, s2
	v_cmp_neq_f64_e64 s2, 0, v[3:4]
	s_delay_alu instid0(VALU_DEP_2) | instskip(NEXT) | instid1(VALU_DEP_4)
	v_add_co_u32 v1, vcc_lo, v5, v1
	v_add_co_ci_u32_e32 v2, vcc_lo, 0, v2, vcc_lo
	s_delay_alu instid0(VALU_DEP_3) | instskip(SKIP_2) | instid1(VALU_DEP_2)
	v_cndmask_b32_e64 v3, 0, 1, s2
	s_waitcnt vmcnt(36)
	v_cmp_neq_f64_e64 s2, 0, v[13:14]
	v_add_co_u32 v1, vcc_lo, v1, v3
	v_add_co_ci_u32_e32 v2, vcc_lo, 0, v2, vcc_lo
	s_delay_alu instid0(VALU_DEP_3) | instskip(SKIP_2) | instid1(VALU_DEP_2)
	v_cndmask_b32_e64 v4, 0, 1, s2
	s_waitcnt vmcnt(35)
	v_cmp_neq_f64_e64 s2, 0, v[15:16]
	;; [unrolled: 6-line block ×7, first 2 shown]
	v_add_co_u32 v1, vcc_lo, v1, v3
	v_add_co_ci_u32_e32 v2, vcc_lo, 0, v2, vcc_lo
	s_delay_alu instid0(VALU_DEP_3) | instskip(SKIP_1) | instid1(VALU_DEP_2)
	v_cndmask_b32_e64 v4, 0, 1, s2
	v_cmp_neq_f64_e64 s2, 0, v[19:20]
	v_add_co_u32 v1, vcc_lo, v1, v4
	s_delay_alu instid0(VALU_DEP_4) | instskip(NEXT) | instid1(VALU_DEP_3)
	v_add_co_ci_u32_e32 v2, vcc_lo, 0, v2, vcc_lo
	v_cndmask_b32_e64 v3, 0, 1, s2
	s_waitcnt vmcnt(28)
	v_cmp_neq_f64_e64 s2, 0, v[33:34]
	s_delay_alu instid0(VALU_DEP_2) | instskip(SKIP_1) | instid1(VALU_DEP_3)
	v_add_co_u32 v1, vcc_lo, v1, v3
	v_add_co_ci_u32_e32 v2, vcc_lo, 0, v2, vcc_lo
	v_cndmask_b32_e64 v4, 0, 1, s2
	s_waitcnt vmcnt(27)
	v_cmp_neq_f64_e64 s2, 0, v[35:36]
	s_delay_alu instid0(VALU_DEP_2) | instskip(SKIP_1) | instid1(VALU_DEP_3)
	v_add_co_u32 v1, vcc_lo, v1, v4
	v_add_co_ci_u32_e32 v2, vcc_lo, 0, v2, vcc_lo
	v_cndmask_b32_e64 v3, 0, 1, s2
	s_waitcnt vmcnt(26)
	v_cmp_neq_f64_e64 s2, 0, v[31:32]
	s_delay_alu instid0(VALU_DEP_2) | instskip(SKIP_1) | instid1(VALU_DEP_3)
	v_add_co_u32 v1, vcc_lo, v1, v3
	v_add_co_ci_u32_e32 v2, vcc_lo, 0, v2, vcc_lo
	v_cndmask_b32_e64 v4, 0, 1, s2
	s_waitcnt vmcnt(25)
	v_cmp_neq_f64_e64 s2, 0, v[41:42]
	s_delay_alu instid0(VALU_DEP_2) | instskip(SKIP_1) | instid1(VALU_DEP_3)
	v_add_co_u32 v1, vcc_lo, v1, v4
	v_add_co_ci_u32_e32 v2, vcc_lo, 0, v2, vcc_lo
	v_cndmask_b32_e64 v3, 0, 1, s2
	s_waitcnt vmcnt(24)
	v_cmp_neq_f64_e64 s2, 0, v[43:44]
	s_delay_alu instid0(VALU_DEP_2) | instskip(SKIP_1) | instid1(VALU_DEP_3)
	v_add_co_u32 v1, vcc_lo, v1, v3
	v_add_co_ci_u32_e32 v2, vcc_lo, 0, v2, vcc_lo
	v_cndmask_b32_e64 v4, 0, 1, s2
	s_waitcnt vmcnt(23)
	v_cmp_neq_f64_e64 s2, 0, v[45:46]
	s_delay_alu instid0(VALU_DEP_2) | instskip(SKIP_1) | instid1(VALU_DEP_3)
	v_add_co_u32 v1, vcc_lo, v1, v4
	v_add_co_ci_u32_e32 v2, vcc_lo, 0, v2, vcc_lo
	v_cndmask_b32_e64 v3, 0, 1, s2
	s_waitcnt vmcnt(21)
	v_cmp_neq_f64_e64 s2, 0, v[37:38]
	s_delay_alu instid0(VALU_DEP_2) | instskip(SKIP_1) | instid1(VALU_DEP_3)
	v_add_co_u32 v1, vcc_lo, v1, v3
	v_add_co_ci_u32_e32 v2, vcc_lo, 0, v2, vcc_lo
	v_cndmask_b32_e64 v4, 0, 1, s2
	v_cmp_neq_f64_e64 s2, 0, v[39:40]
	s_delay_alu instid0(VALU_DEP_2) | instskip(NEXT) | instid1(VALU_DEP_4)
	v_add_co_u32 v1, vcc_lo, v1, v4
	v_add_co_ci_u32_e32 v2, vcc_lo, 0, v2, vcc_lo
	s_delay_alu instid0(VALU_DEP_3) | instskip(SKIP_2) | instid1(VALU_DEP_2)
	v_cndmask_b32_e64 v3, 0, 1, s2
	s_waitcnt vmcnt(20)
	v_cmp_neq_f64_e64 s2, 0, v[49:50]
	v_add_co_u32 v1, vcc_lo, v1, v3
	v_add_co_ci_u32_e32 v2, vcc_lo, 0, v2, vcc_lo
	s_delay_alu instid0(VALU_DEP_3) | instskip(SKIP_2) | instid1(VALU_DEP_2)
	v_cndmask_b32_e64 v4, 0, 1, s2
	s_waitcnt vmcnt(19)
	v_cmp_neq_f64_e64 s2, 0, v[51:52]
	;; [unrolled: 6-line block ×21, first 2 shown]
	v_add_co_u32 v1, vcc_lo, v1, v3
	v_add_co_ci_u32_e32 v2, vcc_lo, 0, v2, vcc_lo
	s_delay_alu instid0(VALU_DEP_3) | instskip(SKIP_1) | instid1(VALU_DEP_2)
	v_cndmask_b32_e64 v4, 0, 1, s2
	v_cmp_neq_f64_e64 s2, 0, v[29:30]
	v_add_co_u32 v1, vcc_lo, v1, v4
	s_delay_alu instid0(VALU_DEP_4) | instskip(NEXT) | instid1(VALU_DEP_3)
	v_add_co_ci_u32_e32 v2, vcc_lo, 0, v2, vcc_lo
	v_cndmask_b32_e64 v3, 0, 1, s2
	v_cmp_neq_f64_e64 s2, 0, v[25:26]
	s_delay_alu instid0(VALU_DEP_2) | instskip(NEXT) | instid1(VALU_DEP_4)
	v_add_co_u32 v1, vcc_lo, v1, v3
	v_add_co_ci_u32_e32 v2, vcc_lo, 0, v2, vcc_lo
	s_delay_alu instid0(VALU_DEP_3) | instskip(SKIP_1) | instid1(VALU_DEP_1)
	v_cndmask_b32_e64 v4, 0, 1, s2
	s_mov_b32 s2, exec_lo
	v_add_co_u32 v1, vcc_lo, v1, v4
	s_delay_alu instid0(VALU_DEP_3) | instskip(SKIP_1) | instid1(VALU_DEP_3)
	v_add_co_ci_u32_e32 v2, vcc_lo, 0, v2, vcc_lo
	v_mov_b32_e32 v4, 0
	v_mov_b32_dpp v3, v1 quad_perm:[1,0,3,2] row_mask:0xf bank_mask:0xf
	s_delay_alu instid0(VALU_DEP_1) | instskip(NEXT) | instid1(VALU_DEP_3)
	v_add_co_u32 v1, vcc_lo, v1, v3
	v_mov_b32_dpp v3, v4 quad_perm:[1,0,3,2] row_mask:0xf bank_mask:0xf
	v_add_co_ci_u32_e32 v2, vcc_lo, 0, v2, vcc_lo
	s_delay_alu instid0(VALU_DEP_3) | instskip(SKIP_1) | instid1(VALU_DEP_3)
	v_mov_b32_dpp v5, v1 quad_perm:[2,3,0,1] row_mask:0xf bank_mask:0xf
	v_add_co_u32 v1, vcc_lo, 0, v1
	v_add_co_ci_u32_e32 v2, vcc_lo, v3, v2, vcc_lo
	s_delay_alu instid0(VALU_DEP_2) | instskip(NEXT) | instid1(VALU_DEP_2)
	v_add_co_u32 v1, vcc_lo, v1, v5
	v_mov_b32_dpp v3, v2 quad_perm:[2,3,0,1] row_mask:0xf bank_mask:0xf
	v_add_co_ci_u32_e32 v2, vcc_lo, 0, v2, vcc_lo
	s_delay_alu instid0(VALU_DEP_3) | instskip(SKIP_1) | instid1(VALU_DEP_3)
	v_mov_b32_dpp v5, v1 row_ror:4 row_mask:0xf bank_mask:0xf
	v_add_co_u32 v1, vcc_lo, v1, 0
	v_add_co_ci_u32_e32 v2, vcc_lo, v2, v3, vcc_lo
	s_delay_alu instid0(VALU_DEP_2) | instskip(NEXT) | instid1(VALU_DEP_2)
	v_add_co_u32 v1, vcc_lo, v1, v5
	v_mov_b32_dpp v3, v2 row_ror:4 row_mask:0xf bank_mask:0xf
	v_add_co_ci_u32_e32 v2, vcc_lo, 0, v2, vcc_lo
	s_delay_alu instid0(VALU_DEP_3) | instskip(SKIP_1) | instid1(VALU_DEP_3)
	v_mov_b32_dpp v5, v1 row_ror:8 row_mask:0xf bank_mask:0xf
	v_add_co_u32 v1, vcc_lo, v1, 0
	v_add_co_ci_u32_e32 v2, vcc_lo, v2, v3, vcc_lo
	s_delay_alu instid0(VALU_DEP_2) | instskip(NEXT) | instid1(VALU_DEP_2)
	v_add_co_u32 v1, vcc_lo, v1, v5
	v_mov_b32_dpp v3, v2 row_ror:8 row_mask:0xf bank_mask:0xf
	v_add_co_ci_u32_e32 v2, vcc_lo, 0, v2, vcc_lo
	ds_swizzle_b32 v5, v1 offset:swizzle(BROADCAST,32,15)
	v_add_co_u32 v1, vcc_lo, v1, 0
	v_add_co_ci_u32_e32 v2, vcc_lo, v2, v3, vcc_lo
	ds_swizzle_b32 v3, v2 offset:swizzle(BROADCAST,32,15)
	s_waitcnt lgkmcnt(1)
	v_add_co_u32 v1, vcc_lo, v1, v5
	v_add_co_ci_u32_e32 v2, vcc_lo, 0, v2, vcc_lo
	ds_bpermute_b32 v1, v4, v1 offset:124
	s_waitcnt lgkmcnt(1)
	v_add_nc_u32_e32 v2, v3, v2
	v_mbcnt_lo_u32_b32 v3, -1, 0
	ds_bpermute_b32 v2, v4, v2 offset:124
	v_cmpx_eq_u32_e32 0, v3
	s_cbranch_execz .LBB319_7
; %bb.6:
	v_lshrrev_b32_e32 v4, 2, v0
	s_delay_alu instid0(VALU_DEP_1)
	v_and_b32_e32 v4, 24, v4
	s_waitcnt lgkmcnt(0)
	ds_store_b64 v4, v[1:2]
.LBB319_7:
	s_or_b32 exec_lo, exec_lo, s2
	s_delay_alu instid0(SALU_CYCLE_1)
	s_mov_b32 s2, exec_lo
	s_waitcnt lgkmcnt(0)
	s_barrier
	buffer_gl0_inv
	v_cmpx_gt_u32_e32 32, v0
	s_cbranch_execz .LBB319_9
; %bb.8:
	v_and_b32_e32 v4, 3, v3
	s_delay_alu instid0(VALU_DEP_1) | instskip(SKIP_4) | instid1(VALU_DEP_2)
	v_lshlrev_b32_e32 v1, 3, v4
	v_cmp_ne_u32_e32 vcc_lo, 3, v4
	ds_load_b64 v[1:2], v1
	v_add_co_ci_u32_e32 v5, vcc_lo, 0, v3, vcc_lo
	v_cmp_gt_u32_e32 vcc_lo, 2, v4
	v_lshlrev_b32_e32 v5, 2, v5
	v_cndmask_b32_e64 v4, 0, 1, vcc_lo
	s_delay_alu instid0(VALU_DEP_1) | instskip(NEXT) | instid1(VALU_DEP_1)
	v_lshlrev_b32_e32 v4, 1, v4
	v_add_lshl_u32 v3, v4, v3, 2
	s_waitcnt lgkmcnt(0)
	ds_bpermute_b32 v6, v5, v1
	ds_bpermute_b32 v5, v5, v2
	s_waitcnt lgkmcnt(1)
	v_add_co_u32 v1, vcc_lo, v1, v6
	v_add_co_ci_u32_e32 v2, vcc_lo, 0, v2, vcc_lo
	ds_bpermute_b32 v4, v3, v1
	v_add_co_u32 v1, vcc_lo, 0, v1
	s_waitcnt lgkmcnt(1)
	v_add_co_ci_u32_e32 v2, vcc_lo, v5, v2, vcc_lo
	ds_bpermute_b32 v3, v3, v2
	s_waitcnt lgkmcnt(1)
	v_add_co_u32 v1, vcc_lo, v1, v4
	v_add_co_ci_u32_e32 v2, vcc_lo, 0, v2, vcc_lo
	s_delay_alu instid0(VALU_DEP_2) | instskip(SKIP_1) | instid1(VALU_DEP_2)
	v_add_co_u32 v1, vcc_lo, v1, 0
	s_waitcnt lgkmcnt(0)
	v_add_co_ci_u32_e32 v2, vcc_lo, v2, v3, vcc_lo
.LBB319_9:
	s_or_b32 exec_lo, exec_lo, s2
.LBB319_10:
	v_cmp_eq_u32_e64 s2, 0, v0
	s_and_b32 vcc_lo, exec_lo, s3
	s_cbranch_vccnz .LBB319_15
	s_branch .LBB319_448
.LBB319_11:
	s_mov_b32 s2, 0
                                        ; implicit-def: $vgpr1_vgpr2
	s_cbranch_execnz .LBB319_606
	s_branch .LBB319_758
.LBB319_12:
	s_mov_b32 s2, 0
                                        ; implicit-def: $vgpr1_vgpr2
	s_cbranch_execnz .LBB319_449
	s_branch .LBB319_605
.LBB319_13:
	s_mov_b32 s3, -1
	s_mov_b32 s2, 0
                                        ; implicit-def: $vgpr1_vgpr2
.LBB319_14:
	s_and_b32 vcc_lo, exec_lo, s3
	s_cbranch_vccz .LBB319_448
.LBB319_15:
	s_cmp_eq_u32 s26, 64
                                        ; implicit-def: $vgpr1_vgpr2
	s_cbranch_scc0 .LBB319_448
; %bb.16:
	s_mov_b32 s19, 0
	s_lshl_b32 s6, s18, 13
	s_mov_b32 s7, s19
	s_lshr_b64 s[8:9], s[20:21], 13
	s_lshl_b64 s[2:3], s[6:7], 3
	s_delay_alu instid0(SALU_CYCLE_1)
	s_add_u32 s4, s24, s2
	s_addc_u32 s5, s25, s3
	s_cmp_lg_u64 s[8:9], s[18:19]
	s_cbranch_scc0 .LBB319_298
; %bb.17:
	v_lshlrev_b32_e32 v9, 3, v0
	global_load_b64 v[1:2], v9, s[4:5]
	s_waitcnt lgkmcnt(0)
	s_clause 0x1
	global_load_b64 v[3:4], v9, s[4:5] offset:1024
	global_load_b64 v[5:6], v9, s[4:5] offset:2048
	v_add_co_u32 v115, s2, s4, v9
	s_delay_alu instid0(VALU_DEP_1) | instskip(NEXT) | instid1(VALU_DEP_2)
	v_add_co_ci_u32_e64 v116, null, s5, 0, s2
	v_add_co_u32 v7, vcc_lo, v115, 0x2000
	s_delay_alu instid0(VALU_DEP_2)
	v_add_co_ci_u32_e32 v8, vcc_lo, 0, v116, vcc_lo
	s_clause 0x1
	global_load_b64 v[9:10], v9, s[4:5] offset:3072
	global_load_b64 v[11:12], v[7:8], off offset:-4096
	v_add_co_u32 v13, vcc_lo, 0x1000, v115
	v_add_co_ci_u32_e32 v14, vcc_lo, 0, v116, vcc_lo
	s_clause 0x3
	global_load_b64 v[15:16], v[13:14], off offset:1024
	global_load_b64 v[17:18], v[13:14], off offset:2048
	;; [unrolled: 1-line block ×3, first 2 shown]
	global_load_b64 v[7:8], v[7:8], off
	v_add_co_u32 v19, vcc_lo, 0x2000, v115
	v_add_co_ci_u32_e32 v20, vcc_lo, 0, v116, vcc_lo
	v_add_co_u32 v25, vcc_lo, v115, 0x4000
	v_add_co_ci_u32_e32 v26, vcc_lo, 0, v116, vcc_lo
	;; [unrolled: 2-line block ×15, first 2 shown]
	s_clause 0x1
	global_load_b64 v[21:22], v[19:20], off offset:1024
	global_load_b64 v[23:24], v[19:20], off offset:2048
	v_add_co_u32 v99, vcc_lo, 0xc000, v115
	v_add_co_ci_u32_e32 v100, vcc_lo, 0, v116, vcc_lo
	v_add_co_u32 v105, vcc_lo, v115, 0xe000
	v_add_co_ci_u32_e32 v106, vcc_lo, 0, v116, vcc_lo
	;; [unrolled: 2-line block ×5, first 2 shown]
	s_clause 0x1f
	global_load_b64 v[19:20], v[19:20], off offset:3072
	global_load_b64 v[27:28], v[25:26], off offset:-4096
	global_load_b64 v[31:32], v[29:30], off offset:1024
	global_load_b64 v[33:34], v[29:30], off offset:2048
	global_load_b64 v[29:30], v[29:30], off offset:3072
	global_load_b64 v[25:26], v[25:26], off
	global_load_b64 v[37:38], v[35:36], off offset:1024
	global_load_b64 v[39:40], v[35:36], off offset:2048
	global_load_b64 v[35:36], v[35:36], off offset:3072
	global_load_b64 v[43:44], v[41:42], off offset:-4096
	global_load_b64 v[47:48], v[45:46], off offset:1024
	global_load_b64 v[49:50], v[45:46], off offset:2048
	global_load_b64 v[45:46], v[45:46], off offset:3072
	global_load_b64 v[41:42], v[41:42], off
	global_load_b64 v[53:54], v[51:52], off offset:1024
	global_load_b64 v[55:56], v[51:52], off offset:2048
	;; [unrolled: 8-line block ×4, first 2 shown]
	s_clause 0x13
	global_load_b64 v[83:84], v[83:84], off offset:3072
	global_load_b64 v[91:92], v[89:90], off offset:-4096
	global_load_b64 v[95:96], v[93:94], off offset:1024
	global_load_b64 v[97:98], v[93:94], off offset:2048
	global_load_b64 v[93:94], v[93:94], off offset:3072
	global_load_b64 v[89:90], v[89:90], off
	global_load_b64 v[101:102], v[99:100], off offset:1024
	global_load_b64 v[103:104], v[99:100], off offset:2048
	;; [unrolled: 1-line block ×3, first 2 shown]
	global_load_b64 v[109:110], v[105:106], off offset:-4096
	global_load_b64 v[113:114], v[107:108], off offset:1024
	global_load_b64 v[105:106], v[105:106], off
	global_load_b64 v[117:118], v[107:108], off offset:2048
	global_load_b64 v[107:108], v[107:108], off offset:3072
	global_load_b64 v[119:120], v[111:112], off offset:1024
	global_load_b64 v[121:122], v[111:112], off offset:2048
	global_load_b64 v[111:112], v[111:112], off offset:3072
	global_load_b64 v[123:124], v[115:116], off
	global_load_b64 v[125:126], v[115:116], off offset:1024
	global_load_b64 v[127:128], v[115:116], off offset:2048
	s_waitcnt vmcnt(62)
	v_cmp_neq_f64_e32 vcc_lo, 0, v[1:2]
	global_load_b64 v[1:2], v[115:116], off offset:3072
	v_cndmask_b32_e64 v129, 0, 1, vcc_lo
	s_waitcnt vmcnt(62)
	v_cmp_neq_f64_e32 vcc_lo, 0, v[3:4]
	v_cndmask_b32_e64 v3, 0, 1, vcc_lo
	s_waitcnt vmcnt(61)
	v_cmp_neq_f64_e32 vcc_lo, 0, v[5:6]
	s_delay_alu instid0(VALU_DEP_2) | instskip(NEXT) | instid1(VALU_DEP_1)
	v_add_co_u32 v3, s2, v3, v129
	v_add_co_ci_u32_e64 v6, null, 0, 0, s2
	s_waitcnt vmcnt(59)
	v_cmp_neq_f64_e64 s2, 0, v[11:12]
	v_cndmask_b32_e64 v4, 0, 1, vcc_lo
	v_cmp_neq_f64_e32 vcc_lo, 0, v[9:10]
	v_cndmask_b32_e64 v5, 0, 1, vcc_lo
	s_delay_alu instid0(VALU_DEP_3)
	v_add_co_u32 v3, vcc_lo, v3, v4
	v_cndmask_b32_e64 v4, 0, 1, s2
	s_waitcnt vmcnt(58)
	v_cmp_neq_f64_e64 s2, 0, v[15:16]
	v_add_co_ci_u32_e32 v6, vcc_lo, 0, v6, vcc_lo
	v_add_co_u32 v3, vcc_lo, v3, v5
	s_delay_alu instid0(VALU_DEP_2) | instskip(NEXT) | instid1(VALU_DEP_2)
	v_add_co_ci_u32_e32 v6, vcc_lo, 0, v6, vcc_lo
	v_add_co_u32 v3, vcc_lo, v3, v4
	s_delay_alu instid0(VALU_DEP_2) | instskip(SKIP_3) | instid1(VALU_DEP_2)
	v_add_co_ci_u32_e32 v6, vcc_lo, 0, v6, vcc_lo
	v_cndmask_b32_e64 v5, 0, 1, s2
	s_waitcnt vmcnt(57)
	v_cmp_neq_f64_e64 s2, 0, v[17:18]
	v_add_co_u32 v3, vcc_lo, v3, v5
	v_add_co_ci_u32_e32 v6, vcc_lo, 0, v6, vcc_lo
	s_delay_alu instid0(VALU_DEP_3) | instskip(SKIP_2) | instid1(VALU_DEP_2)
	v_cndmask_b32_e64 v4, 0, 1, s2
	s_waitcnt vmcnt(56)
	v_cmp_neq_f64_e64 s2, 0, v[13:14]
	v_add_co_u32 v3, vcc_lo, v3, v4
	v_add_co_ci_u32_e32 v6, vcc_lo, 0, v6, vcc_lo
	s_delay_alu instid0(VALU_DEP_3) | instskip(SKIP_2) | instid1(VALU_DEP_2)
	;; [unrolled: 6-line block ×49, first 2 shown]
	v_cndmask_b32_e64 v4, 0, 1, s2
	s_waitcnt vmcnt(7)
	v_cmp_neq_f64_e64 s2, 0, v[107:108]
	v_add_co_u32 v3, vcc_lo, v3, v4
	v_add_co_ci_u32_e32 v6, vcc_lo, 0, v6, vcc_lo
	s_delay_alu instid0(VALU_DEP_3) | instskip(SKIP_1) | instid1(VALU_DEP_2)
	v_cndmask_b32_e64 v5, 0, 1, s2
	v_cmp_neq_f64_e64 s2, 0, v[105:106]
	v_add_co_u32 v3, vcc_lo, v3, v5
	s_delay_alu instid0(VALU_DEP_4) | instskip(NEXT) | instid1(VALU_DEP_3)
	v_add_co_ci_u32_e32 v6, vcc_lo, 0, v6, vcc_lo
	v_cndmask_b32_e64 v4, 0, 1, s2
	s_waitcnt vmcnt(6)
	v_cmp_neq_f64_e64 s2, 0, v[119:120]
	s_delay_alu instid0(VALU_DEP_2) | instskip(SKIP_1) | instid1(VALU_DEP_3)
	v_add_co_u32 v3, vcc_lo, v3, v4
	v_add_co_ci_u32_e32 v6, vcc_lo, 0, v6, vcc_lo
	v_cndmask_b32_e64 v5, 0, 1, s2
	s_waitcnt vmcnt(5)
	v_cmp_neq_f64_e64 s2, 0, v[121:122]
	s_delay_alu instid0(VALU_DEP_2) | instskip(SKIP_1) | instid1(VALU_DEP_3)
	v_add_co_u32 v3, vcc_lo, v3, v5
	;; [unrolled: 6-line block ×5, first 2 shown]
	v_add_co_ci_u32_e32 v6, vcc_lo, 0, v6, vcc_lo
	v_cndmask_b32_e64 v5, 0, 1, s2
	s_waitcnt vmcnt(1)
	v_cmp_neq_f64_e64 s2, 0, v[127:128]
	s_delay_alu instid0(VALU_DEP_2) | instskip(NEXT) | instid1(VALU_DEP_2)
	v_add_co_u32 v3, vcc_lo, v3, v5
	v_cndmask_b32_e64 v4, 0, 1, s2
	s_waitcnt vmcnt(0)
	v_cmp_neq_f64_e64 s2, 0, v[1:2]
	v_add_co_ci_u32_e32 v2, vcc_lo, 0, v6, vcc_lo
	s_delay_alu instid0(VALU_DEP_3) | instskip(NEXT) | instid1(VALU_DEP_2)
	v_add_co_u32 v3, vcc_lo, v3, v4
	v_add_co_ci_u32_e32 v2, vcc_lo, 0, v2, vcc_lo
	v_mov_b32_e32 v4, 0
	v_cndmask_b32_e64 v1, 0, 1, s2
	s_mov_b32 s2, exec_lo
	s_delay_alu instid0(VALU_DEP_1) | instskip(SKIP_1) | instid1(VALU_DEP_2)
	v_add_co_u32 v1, vcc_lo, v3, v1
	v_add_co_ci_u32_e32 v2, vcc_lo, 0, v2, vcc_lo
	v_mov_b32_dpp v3, v1 quad_perm:[1,0,3,2] row_mask:0xf bank_mask:0xf
	s_delay_alu instid0(VALU_DEP_1) | instskip(SKIP_1) | instid1(VALU_DEP_4)
	v_add_co_u32 v1, vcc_lo, v1, v3
	v_mov_b32_dpp v3, v4 quad_perm:[1,0,3,2] row_mask:0xf bank_mask:0xf
	v_add_co_ci_u32_e32 v2, vcc_lo, 0, v2, vcc_lo
	s_delay_alu instid0(VALU_DEP_3) | instskip(SKIP_1) | instid1(VALU_DEP_3)
	v_mov_b32_dpp v5, v1 quad_perm:[2,3,0,1] row_mask:0xf bank_mask:0xf
	v_add_co_u32 v1, vcc_lo, 0, v1
	v_add_co_ci_u32_e32 v2, vcc_lo, v3, v2, vcc_lo
	s_delay_alu instid0(VALU_DEP_2) | instskip(NEXT) | instid1(VALU_DEP_2)
	v_add_co_u32 v1, vcc_lo, v1, v5
	v_mov_b32_dpp v3, v2 quad_perm:[2,3,0,1] row_mask:0xf bank_mask:0xf
	v_add_co_ci_u32_e32 v2, vcc_lo, 0, v2, vcc_lo
	s_delay_alu instid0(VALU_DEP_3) | instskip(SKIP_1) | instid1(VALU_DEP_3)
	v_mov_b32_dpp v5, v1 row_ror:4 row_mask:0xf bank_mask:0xf
	v_add_co_u32 v1, vcc_lo, v1, 0
	v_add_co_ci_u32_e32 v2, vcc_lo, v2, v3, vcc_lo
	s_delay_alu instid0(VALU_DEP_2) | instskip(NEXT) | instid1(VALU_DEP_2)
	v_add_co_u32 v1, vcc_lo, v1, v5
	v_mov_b32_dpp v3, v2 row_ror:4 row_mask:0xf bank_mask:0xf
	v_add_co_ci_u32_e32 v2, vcc_lo, 0, v2, vcc_lo
	s_delay_alu instid0(VALU_DEP_3) | instskip(SKIP_1) | instid1(VALU_DEP_3)
	v_mov_b32_dpp v5, v1 row_ror:8 row_mask:0xf bank_mask:0xf
	v_add_co_u32 v1, vcc_lo, v1, 0
	v_add_co_ci_u32_e32 v2, vcc_lo, v2, v3, vcc_lo
	s_delay_alu instid0(VALU_DEP_2) | instskip(NEXT) | instid1(VALU_DEP_2)
	v_add_co_u32 v1, vcc_lo, v1, v5
	v_mov_b32_dpp v3, v2 row_ror:8 row_mask:0xf bank_mask:0xf
	v_add_co_ci_u32_e32 v2, vcc_lo, 0, v2, vcc_lo
	ds_swizzle_b32 v5, v1 offset:swizzle(BROADCAST,32,15)
	v_add_co_u32 v1, vcc_lo, v1, 0
	v_add_co_ci_u32_e32 v2, vcc_lo, v2, v3, vcc_lo
	ds_swizzle_b32 v3, v2 offset:swizzle(BROADCAST,32,15)
	s_waitcnt lgkmcnt(1)
	v_add_co_u32 v1, vcc_lo, v1, v5
	v_add_co_ci_u32_e32 v2, vcc_lo, 0, v2, vcc_lo
	ds_bpermute_b32 v1, v4, v1 offset:124
	s_waitcnt lgkmcnt(1)
	v_add_nc_u32_e32 v2, v3, v2
	v_mbcnt_lo_u32_b32 v3, -1, 0
	ds_bpermute_b32 v2, v4, v2 offset:124
	v_cmpx_eq_u32_e32 0, v3
	s_cbranch_execz .LBB319_19
; %bb.18:
	v_lshrrev_b32_e32 v4, 2, v0
	s_delay_alu instid0(VALU_DEP_1)
	v_and_b32_e32 v4, 24, v4
	s_waitcnt lgkmcnt(0)
	ds_store_b64 v4, v[1:2] offset:192
.LBB319_19:
	s_or_b32 exec_lo, exec_lo, s2
	s_delay_alu instid0(SALU_CYCLE_1)
	s_mov_b32 s2, exec_lo
	s_waitcnt lgkmcnt(0)
	s_barrier
	buffer_gl0_inv
	v_cmpx_gt_u32_e32 32, v0
	s_cbranch_execz .LBB319_21
; %bb.20:
	v_and_b32_e32 v4, 3, v3
	s_delay_alu instid0(VALU_DEP_1) | instskip(SKIP_4) | instid1(VALU_DEP_2)
	v_lshlrev_b32_e32 v1, 3, v4
	v_cmp_ne_u32_e32 vcc_lo, 3, v4
	ds_load_b64 v[1:2], v1 offset:192
	v_add_co_ci_u32_e32 v5, vcc_lo, 0, v3, vcc_lo
	v_cmp_gt_u32_e32 vcc_lo, 2, v4
	v_lshlrev_b32_e32 v5, 2, v5
	v_cndmask_b32_e64 v4, 0, 1, vcc_lo
	s_delay_alu instid0(VALU_DEP_1) | instskip(NEXT) | instid1(VALU_DEP_1)
	v_lshlrev_b32_e32 v4, 1, v4
	v_add_lshl_u32 v3, v4, v3, 2
	s_waitcnt lgkmcnt(0)
	ds_bpermute_b32 v6, v5, v1
	ds_bpermute_b32 v5, v5, v2
	s_waitcnt lgkmcnt(1)
	v_add_co_u32 v1, vcc_lo, v1, v6
	v_add_co_ci_u32_e32 v2, vcc_lo, 0, v2, vcc_lo
	ds_bpermute_b32 v4, v3, v1
	v_add_co_u32 v1, vcc_lo, 0, v1
	s_waitcnt lgkmcnt(1)
	v_add_co_ci_u32_e32 v2, vcc_lo, v5, v2, vcc_lo
	ds_bpermute_b32 v3, v3, v2
	s_waitcnt lgkmcnt(1)
	v_add_co_u32 v1, vcc_lo, v1, v4
	v_add_co_ci_u32_e32 v2, vcc_lo, 0, v2, vcc_lo
	s_delay_alu instid0(VALU_DEP_2) | instskip(SKIP_1) | instid1(VALU_DEP_2)
	v_add_co_u32 v1, vcc_lo, v1, 0
	s_waitcnt lgkmcnt(0)
	v_add_co_ci_u32_e32 v2, vcc_lo, v2, v3, vcc_lo
.LBB319_21:
	s_or_b32 exec_lo, exec_lo, s2
	s_mov_b32 s2, 0
	s_branch .LBB319_299
.LBB319_22:
                                        ; implicit-def: $vgpr1_vgpr2
	s_cbranch_execz .LBB319_10
; %bb.23:
	s_sub_i32 s2, s20, s6
	s_mov_b32 s6, exec_lo
                                        ; implicit-def: $vgpr1_vgpr2
                                        ; kill: killed $vgpr1_vgpr2
	v_cmpx_gt_u32_e64 s2, v0
	s_cbranch_execz .LBB319_25
; %bb.24:
	s_mov_b32 s7, 0
	v_lshlrev_b32_e32 v1, 3, v0
	global_load_b64 v[1:2], v1, s[4:5]
	s_waitcnt vmcnt(0)
	v_cmp_neq_f64_e32 vcc_lo, 0, v[1:2]
	v_mov_b32_e32 v2, s7
	v_cndmask_b32_e64 v1, 0, 1, vcc_lo
	scratch_store_b64 off, v[1:2], off offset:8 ; 8-byte Folded Spill
.LBB319_25:
	s_or_b32 exec_lo, exec_lo, s6
	v_mov_b32_e32 v3, 0
	v_or_b32_e32 v1, 0x80, v0
	v_mov_b32_e32 v4, 0
	s_delay_alu instid0(VALU_DEP_2) | instskip(NEXT) | instid1(VALU_DEP_2)
	v_cmp_gt_u32_e32 vcc_lo, s2, v1
	v_dual_mov_b32 v1, v3 :: v_dual_mov_b32 v2, v4
	s_and_saveexec_b32 s6, vcc_lo
	s_cbranch_execz .LBB319_27
; %bb.26:
	s_mov_b32 s7, 0
	v_lshlrev_b32_e32 v1, 3, v0
	global_load_b64 v[1:2], v1, s[4:5] offset:1024
	s_waitcnt vmcnt(0)
	v_cmp_neq_f64_e32 vcc_lo, 0, v[1:2]
	v_mov_b32_e32 v2, s7
	v_cndmask_b32_e64 v1, 0, 1, vcc_lo
.LBB319_27:
	s_or_b32 exec_lo, exec_lo, s6
	v_or_b32_e32 v5, 0x100, v0
	s_mov_b32 s6, exec_lo
	s_delay_alu instid0(VALU_DEP_1)
	v_cmpx_gt_u32_e64 s2, v5
	s_cbranch_execz .LBB319_29
; %bb.28:
	s_mov_b32 s7, 0
	v_lshlrev_b32_e32 v3, 3, v0
	global_load_b64 v[3:4], v3, s[4:5] offset:2048
	s_waitcnt vmcnt(0)
	v_cmp_neq_f64_e32 vcc_lo, 0, v[3:4]
	v_mov_b32_e32 v4, s7
	v_cndmask_b32_e64 v3, 0, 1, vcc_lo
.LBB319_29:
	s_or_b32 exec_lo, exec_lo, s6
	v_mov_b32_e32 v7, 0
	v_mov_b32_e32 v8, 0
	v_or_b32_e32 v5, 0x180, v0
	s_mov_b32 s6, exec_lo
	s_delay_alu instid0(VALU_DEP_2) | instskip(NEXT) | instid1(VALU_DEP_2)
	v_dual_mov_b32 v14, v8 :: v_dual_mov_b32 v13, v7
	v_cmpx_gt_u32_e64 s2, v5
	s_cbranch_execz .LBB319_31
; %bb.30:
	s_mov_b32 s7, 0
	s_delay_alu instid0(SALU_CYCLE_1)
	v_dual_mov_b32 v14, s7 :: v_dual_lshlrev_b32 v5, 3, v0
	global_load_b64 v[5:6], v5, s[4:5] offset:3072
	s_waitcnt vmcnt(0)
	v_cmp_neq_f64_e32 vcc_lo, 0, v[5:6]
	v_cndmask_b32_e64 v13, 0, 1, vcc_lo
.LBB319_31:
	s_or_b32 exec_lo, exec_lo, s6
	v_or_b32_e32 v5, 0x200, v0
	s_mov_b32 s6, exec_lo
	s_delay_alu instid0(VALU_DEP_1)
	v_cmpx_gt_u32_e64 s2, v5
	s_cbranch_execz .LBB319_33
; %bb.32:
	s_mov_b32 s7, 0
	s_delay_alu instid0(SALU_CYCLE_1)
	v_dual_mov_b32 v8, s7 :: v_dual_lshlrev_b32 v5, 3, v5
	global_load_b64 v[5:6], v5, s[4:5]
	s_waitcnt vmcnt(0)
	v_cmp_neq_f64_e32 vcc_lo, 0, v[5:6]
	v_cndmask_b32_e64 v7, 0, 1, vcc_lo
.LBB319_33:
	s_or_b32 exec_lo, exec_lo, s6
	v_mov_b32_e32 v11, 0
	v_or_b32_e32 v5, 0x280, v0
	v_mov_b32_e32 v12, 0
	s_mov_b32 s6, exec_lo
	scratch_store_b64 off, v[11:12], off    ; 8-byte Folded Spill
	v_cmpx_gt_u32_e64 s2, v5
	s_cbranch_execz .LBB319_35
; %bb.34:
	s_mov_b32 s7, 0
	v_lshlrev_b32_e32 v5, 3, v5
	global_load_b64 v[5:6], v5, s[4:5]
	s_waitcnt vmcnt(0)
	v_cmp_neq_f64_e32 vcc_lo, 0, v[5:6]
	v_mov_b32_e32 v6, s7
	v_cndmask_b32_e64 v5, 0, 1, vcc_lo
	scratch_store_b64 off, v[5:6], off      ; 8-byte Folded Spill
.LBB319_35:
	s_or_b32 exec_lo, exec_lo, s6
	v_or_b32_e32 v5, 0x300, v0
	s_mov_b32 s6, exec_lo
	s_delay_alu instid0(VALU_DEP_1)
	v_cmpx_gt_u32_e64 s2, v5
	s_cbranch_execz .LBB319_37
; %bb.36:
	s_mov_b32 s7, 0
	s_delay_alu instid0(SALU_CYCLE_1)
	v_dual_mov_b32 v12, s7 :: v_dual_lshlrev_b32 v5, 3, v5
	global_load_b64 v[5:6], v5, s[4:5]
	s_waitcnt vmcnt(0)
	v_cmp_neq_f64_e32 vcc_lo, 0, v[5:6]
	v_cndmask_b32_e64 v11, 0, 1, vcc_lo
.LBB319_37:
	s_or_b32 exec_lo, exec_lo, s6
	v_mov_b32_e32 v15, 0
	v_mov_b32_e32 v16, 0
	v_or_b32_e32 v5, 0x380, v0
	s_mov_b32 s6, exec_lo
	s_delay_alu instid0(VALU_DEP_2) | instskip(NEXT) | instid1(VALU_DEP_2)
	v_dual_mov_b32 v18, v16 :: v_dual_mov_b32 v17, v15
	v_cmpx_gt_u32_e64 s2, v5
	s_cbranch_execz .LBB319_39
; %bb.38:
	s_mov_b32 s7, 0
	s_delay_alu instid0(SALU_CYCLE_1)
	v_dual_mov_b32 v18, s7 :: v_dual_lshlrev_b32 v5, 3, v5
	global_load_b64 v[5:6], v5, s[4:5]
	s_waitcnt vmcnt(0)
	v_cmp_neq_f64_e32 vcc_lo, 0, v[5:6]
	v_cndmask_b32_e64 v17, 0, 1, vcc_lo
.LBB319_39:
	s_or_b32 exec_lo, exec_lo, s6
	v_or_b32_e32 v5, 0x400, v0
	s_mov_b32 s6, exec_lo
	s_delay_alu instid0(VALU_DEP_1)
	v_cmpx_gt_u32_e64 s2, v5
	s_cbranch_execz .LBB319_41
; %bb.40:
	s_mov_b32 s7, 0
	s_delay_alu instid0(SALU_CYCLE_1)
	v_dual_mov_b32 v16, s7 :: v_dual_lshlrev_b32 v5, 3, v5
	global_load_b64 v[5:6], v5, s[4:5]
	s_waitcnt vmcnt(0)
	v_cmp_neq_f64_e32 vcc_lo, 0, v[5:6]
	v_cndmask_b32_e64 v15, 0, 1, vcc_lo
.LBB319_41:
	s_or_b32 exec_lo, exec_lo, s6
	v_mov_b32_e32 v19, 0
	v_mov_b32_e32 v20, 0
	v_or_b32_e32 v5, 0x480, v0
	s_mov_b32 s6, exec_lo
	s_delay_alu instid0(VALU_DEP_2) | instskip(NEXT) | instid1(VALU_DEP_2)
	v_dual_mov_b32 v22, v20 :: v_dual_mov_b32 v21, v19
	v_cmpx_gt_u32_e64 s2, v5
	s_cbranch_execz .LBB319_43
; %bb.42:
	s_mov_b32 s7, 0
	s_delay_alu instid0(SALU_CYCLE_1)
	v_dual_mov_b32 v22, s7 :: v_dual_lshlrev_b32 v5, 3, v5
	global_load_b64 v[5:6], v5, s[4:5]
	s_waitcnt vmcnt(0)
	v_cmp_neq_f64_e32 vcc_lo, 0, v[5:6]
	v_cndmask_b32_e64 v21, 0, 1, vcc_lo
.LBB319_43:
	;; [unrolled: 33-line block ×60, first 2 shown]
	s_or_b32 exec_lo, exec_lo, s6
	v_or_b32_e32 v5, 0x3f00, v0
	s_mov_b32 s6, exec_lo
	s_delay_alu instid0(VALU_DEP_1)
	v_cmpx_gt_u32_e64 s2, v5
	s_cbranch_execz .LBB319_277
; %bb.276:
	s_mov_b32 s7, 0
	s_delay_alu instid0(SALU_CYCLE_1)
	v_dual_mov_b32 v252, s7 :: v_dual_lshlrev_b32 v5, 3, v5
	global_load_b64 v[5:6], v5, s[4:5]
	s_waitcnt vmcnt(0)
	v_cmp_neq_f64_e32 vcc_lo, 0, v[5:6]
	v_cndmask_b32_e64 v251, 0, 1, vcc_lo
.LBB319_277:
	s_or_b32 exec_lo, exec_lo, s6
	v_mov_b32_e32 v5, 0
	v_or_b32_e32 v255, 0x3f80, v0
	v_mov_b32_e32 v6, 0
	s_mov_b32 s6, exec_lo
	s_delay_alu instid0(VALU_DEP_2)
	v_cmpx_gt_u32_e64 s2, v255
	s_cbranch_execz .LBB319_279
; %bb.278:
	v_lshlrev_b32_e32 v5, 3, v255
	global_load_b64 v[5:6], v5, s[4:5]
	s_mov_b32 s4, 0
	s_waitcnt vmcnt(0)
	v_cmp_neq_f64_e32 vcc_lo, 0, v[5:6]
	v_mov_b32_e32 v6, s4
	v_cndmask_b32_e64 v5, 0, 1, vcc_lo
.LBB319_279:
	s_or_b32 exec_lo, exec_lo, s6
	scratch_load_b64 v[9:10], off, off offset:8 ; 8-byte Folded Reload
	s_min_u32 s2, s2, 0x80
	s_waitcnt vmcnt(0)
	v_add_co_u32 v1, vcc_lo, v1, v9
	v_add_co_ci_u32_e32 v2, vcc_lo, v2, v10, vcc_lo
	s_delay_alu instid0(VALU_DEP_2) | instskip(NEXT) | instid1(VALU_DEP_2)
	v_add_co_u32 v1, vcc_lo, v1, v3
	v_add_co_ci_u32_e32 v2, vcc_lo, v2, v4, vcc_lo
	scratch_load_b64 v[3:4], off, off       ; 8-byte Folded Reload
	v_add_co_u32 v1, vcc_lo, v1, v13
	v_add_co_ci_u32_e32 v2, vcc_lo, v2, v14, vcc_lo
	s_delay_alu instid0(VALU_DEP_2) | instskip(NEXT) | instid1(VALU_DEP_2)
	v_add_co_u32 v1, vcc_lo, v1, v7
	v_add_co_ci_u32_e32 v2, vcc_lo, v2, v8, vcc_lo
	s_waitcnt vmcnt(0)
	s_delay_alu instid0(VALU_DEP_2) | instskip(NEXT) | instid1(VALU_DEP_2)
	v_add_co_u32 v1, vcc_lo, v1, v3
	v_add_co_ci_u32_e32 v2, vcc_lo, v2, v4, vcc_lo
	v_mbcnt_lo_u32_b32 v3, -1, 0
	s_delay_alu instid0(VALU_DEP_3) | instskip(NEXT) | instid1(VALU_DEP_3)
	v_add_co_u32 v1, vcc_lo, v1, v11
	v_add_co_ci_u32_e32 v2, vcc_lo, v2, v12, vcc_lo
	s_delay_alu instid0(VALU_DEP_2) | instskip(NEXT) | instid1(VALU_DEP_2)
	v_add_co_u32 v1, vcc_lo, v1, v17
	v_add_co_ci_u32_e32 v2, vcc_lo, v2, v18, vcc_lo
	s_delay_alu instid0(VALU_DEP_2) | instskip(NEXT) | instid1(VALU_DEP_2)
	;; [unrolled: 3-line block ×119, first 2 shown]
	v_add_co_u32 v1, vcc_lo, v1, v253
	v_add_co_ci_u32_e32 v2, vcc_lo, v2, v254, vcc_lo
	v_cmp_ne_u32_e32 vcc_lo, 31, v3
	v_add_co_ci_u32_e32 v4, vcc_lo, 0, v3, vcc_lo
	s_delay_alu instid0(VALU_DEP_4) | instskip(NEXT) | instid1(VALU_DEP_4)
	v_add_co_u32 v1, vcc_lo, v1, v251
	v_add_co_ci_u32_e32 v2, vcc_lo, v2, v252, vcc_lo
	s_delay_alu instid0(VALU_DEP_2) | instskip(NEXT) | instid1(VALU_DEP_4)
	v_add_co_u32 v1, vcc_lo, v1, v5
	v_lshlrev_b32_e32 v4, 2, v4
	s_delay_alu instid0(VALU_DEP_3) | instskip(SKIP_4) | instid1(VALU_DEP_1)
	v_add_co_ci_u32_e32 v2, vcc_lo, v2, v6, vcc_lo
	v_add_nc_u32_e32 v5, 1, v3
	ds_bpermute_b32 v7, v4, v1
	ds_bpermute_b32 v6, v4, v2
	v_and_b32_e32 v4, 0x60, v0
	v_sub_nc_u32_e64 v4, s2, v4 clamp
	s_delay_alu instid0(VALU_DEP_1)
	v_cmp_lt_u32_e32 vcc_lo, v5, v4
	v_mov_b32_e32 v5, v1
	s_and_saveexec_b32 s4, vcc_lo
	s_cbranch_execz .LBB319_281
; %bb.280:
	s_waitcnt lgkmcnt(1)
	v_add_co_u32 v5, vcc_lo, v1, v7
	v_add_co_ci_u32_e32 v2, vcc_lo, 0, v2, vcc_lo
	s_delay_alu instid0(VALU_DEP_2) | instskip(SKIP_1) | instid1(VALU_DEP_2)
	v_add_co_u32 v1, vcc_lo, 0, v5
	s_waitcnt lgkmcnt(0)
	v_add_co_ci_u32_e32 v2, vcc_lo, v6, v2, vcc_lo
.LBB319_281:
	s_or_b32 exec_lo, exec_lo, s4
	v_cmp_gt_u32_e32 vcc_lo, 30, v3
	v_add_nc_u32_e32 v8, 2, v3
	s_mov_b32 s4, exec_lo
	s_waitcnt lgkmcnt(0)
	v_cndmask_b32_e64 v6, 0, 1, vcc_lo
	s_delay_alu instid0(VALU_DEP_1) | instskip(NEXT) | instid1(VALU_DEP_1)
	v_lshlrev_b32_e32 v6, 1, v6
	v_add_lshl_u32 v6, v6, v3, 2
	ds_bpermute_b32 v7, v6, v5
	ds_bpermute_b32 v6, v6, v2
	v_cmpx_lt_u32_e64 v8, v4
	s_cbranch_execz .LBB319_283
; %bb.282:
	s_waitcnt lgkmcnt(1)
	v_add_co_u32 v5, vcc_lo, v1, v7
	v_add_co_ci_u32_e32 v2, vcc_lo, 0, v2, vcc_lo
	s_delay_alu instid0(VALU_DEP_2) | instskip(SKIP_1) | instid1(VALU_DEP_2)
	v_add_co_u32 v1, vcc_lo, 0, v5
	s_waitcnt lgkmcnt(0)
	v_add_co_ci_u32_e32 v2, vcc_lo, v6, v2, vcc_lo
.LBB319_283:
	s_or_b32 exec_lo, exec_lo, s4
	v_cmp_gt_u32_e32 vcc_lo, 28, v3
	v_add_nc_u32_e32 v8, 4, v3
	s_mov_b32 s4, exec_lo
	s_waitcnt lgkmcnt(0)
	v_cndmask_b32_e64 v6, 0, 1, vcc_lo
	s_delay_alu instid0(VALU_DEP_1) | instskip(NEXT) | instid1(VALU_DEP_1)
	v_lshlrev_b32_e32 v6, 2, v6
	v_add_lshl_u32 v6, v6, v3, 2
	ds_bpermute_b32 v7, v6, v5
	ds_bpermute_b32 v6, v6, v2
	v_cmpx_lt_u32_e64 v8, v4
	;; [unrolled: 22-line block ×3, first 2 shown]
	s_cbranch_execz .LBB319_287
; %bb.286:
	s_waitcnt lgkmcnt(1)
	v_add_co_u32 v5, vcc_lo, v1, v7
	v_add_co_ci_u32_e32 v2, vcc_lo, 0, v2, vcc_lo
	s_delay_alu instid0(VALU_DEP_2) | instskip(SKIP_1) | instid1(VALU_DEP_2)
	v_add_co_u32 v1, vcc_lo, 0, v5
	s_waitcnt lgkmcnt(0)
	v_add_co_ci_u32_e32 v2, vcc_lo, v6, v2, vcc_lo
.LBB319_287:
	s_or_b32 exec_lo, exec_lo, s4
	v_cmp_gt_u32_e32 vcc_lo, 16, v3
	s_mov_b32 s4, exec_lo
	s_waitcnt lgkmcnt(0)
	v_cndmask_b32_e64 v6, 0, 1, vcc_lo
	s_delay_alu instid0(VALU_DEP_1) | instskip(NEXT) | instid1(VALU_DEP_1)
	v_lshlrev_b32_e32 v6, 4, v6
	v_add_lshl_u32 v7, v6, v3, 2
	ds_bpermute_b32 v6, v7, v5
	ds_bpermute_b32 v5, v7, v2
	v_add_nc_u32_e32 v7, 16, v3
	s_delay_alu instid0(VALU_DEP_1)
	v_cmpx_lt_u32_e64 v7, v4
	s_cbranch_execz .LBB319_289
; %bb.288:
	s_waitcnt lgkmcnt(1)
	v_add_co_u32 v1, vcc_lo, v1, v6
	v_add_co_ci_u32_e32 v2, vcc_lo, 0, v2, vcc_lo
	s_delay_alu instid0(VALU_DEP_2) | instskip(SKIP_1) | instid1(VALU_DEP_2)
	v_add_co_u32 v1, vcc_lo, v1, 0
	s_waitcnt lgkmcnt(0)
	v_add_co_ci_u32_e32 v2, vcc_lo, v2, v5, vcc_lo
.LBB319_289:
	s_or_b32 exec_lo, exec_lo, s4
	s_delay_alu instid0(SALU_CYCLE_1)
	s_mov_b32 s4, exec_lo
	v_cmpx_eq_u32_e32 0, v3
	s_cbranch_execz .LBB319_291
; %bb.290:
	v_lshrrev_b32_e32 v4, 2, v0
	s_delay_alu instid0(VALU_DEP_1)
	v_and_b32_e32 v4, 24, v4
	ds_store_b64 v4, v[1:2] offset:256
.LBB319_291:
	s_or_b32 exec_lo, exec_lo, s4
	s_delay_alu instid0(SALU_CYCLE_1)
	s_mov_b32 s4, exec_lo
	s_waitcnt lgkmcnt(0)
	s_waitcnt_vscnt null, 0x0
	s_barrier
	buffer_gl0_inv
	v_cmpx_gt_u32_e32 4, v0
	s_cbranch_execz .LBB319_297
; %bb.292:
	v_lshlrev_b32_e32 v1, 3, v3
	s_add_i32 s2, s2, 31
	s_delay_alu instid0(SALU_CYCLE_1) | instskip(SKIP_2) | instid1(VALU_DEP_1)
	s_lshr_b32 s2, s2, 5
	ds_load_b64 v[1:2], v1 offset:256
	v_and_b32_e32 v4, 3, v3
	v_cmp_ne_u32_e32 vcc_lo, 3, v4
	v_add_co_ci_u32_e32 v5, vcc_lo, 0, v3, vcc_lo
	s_delay_alu instid0(VALU_DEP_1) | instskip(SKIP_4) | instid1(VALU_DEP_1)
	v_lshlrev_b32_e32 v5, 2, v5
	s_waitcnt lgkmcnt(0)
	ds_bpermute_b32 v7, v5, v1
	ds_bpermute_b32 v6, v5, v2
	v_add_nc_u32_e32 v5, 1, v4
	v_cmp_gt_u32_e32 vcc_lo, s2, v5
	v_mov_b32_e32 v5, v1
	s_and_saveexec_b32 s5, vcc_lo
	s_cbranch_execz .LBB319_294
; %bb.293:
	s_waitcnt lgkmcnt(1)
	v_add_co_u32 v5, vcc_lo, v1, v7
	v_add_co_ci_u32_e32 v2, vcc_lo, 0, v2, vcc_lo
	s_delay_alu instid0(VALU_DEP_2) | instskip(SKIP_1) | instid1(VALU_DEP_2)
	v_add_co_u32 v1, vcc_lo, 0, v5
	s_waitcnt lgkmcnt(0)
	v_add_co_ci_u32_e32 v2, vcc_lo, v6, v2, vcc_lo
.LBB319_294:
	s_or_b32 exec_lo, exec_lo, s5
	v_cmp_gt_u32_e32 vcc_lo, 2, v4
	v_add_nc_u32_e32 v4, 2, v4
	s_waitcnt lgkmcnt(0)
	v_cndmask_b32_e64 v6, 0, 1, vcc_lo
	s_delay_alu instid0(VALU_DEP_2) | instskip(NEXT) | instid1(VALU_DEP_2)
	v_cmp_gt_u32_e32 vcc_lo, s2, v4
	v_lshlrev_b32_e32 v6, 1, v6
	s_delay_alu instid0(VALU_DEP_1)
	v_add_lshl_u32 v3, v6, v3, 2
	ds_bpermute_b32 v5, v3, v5
	ds_bpermute_b32 v3, v3, v2
	s_and_saveexec_b32 s2, vcc_lo
	s_cbranch_execz .LBB319_296
; %bb.295:
	s_waitcnt lgkmcnt(1)
	v_add_co_u32 v1, vcc_lo, v1, v5
	v_add_co_ci_u32_e32 v2, vcc_lo, 0, v2, vcc_lo
	s_delay_alu instid0(VALU_DEP_2) | instskip(SKIP_1) | instid1(VALU_DEP_2)
	v_add_co_u32 v1, vcc_lo, v1, 0
	s_waitcnt lgkmcnt(0)
	v_add_co_ci_u32_e32 v2, vcc_lo, v2, v3, vcc_lo
.LBB319_296:
	s_or_b32 exec_lo, exec_lo, s2
.LBB319_297:
	s_delay_alu instid0(SALU_CYCLE_1)
	s_or_b32 exec_lo, exec_lo, s4
	v_cmp_eq_u32_e64 s2, 0, v0
	s_and_b32 vcc_lo, exec_lo, s3
	s_cbranch_vccnz .LBB319_15
	s_branch .LBB319_448
.LBB319_298:
	s_mov_b32 s2, -1
                                        ; implicit-def: $vgpr1_vgpr2
.LBB319_299:
	s_delay_alu instid0(SALU_CYCLE_1)
	s_and_b32 vcc_lo, exec_lo, s2
	s_cbranch_vccz .LBB319_447
; %bb.300:
	s_sub_i32 s2, s20, s6
	s_mov_b32 s3, exec_lo
                                        ; implicit-def: $vgpr1_vgpr2
	v_cmpx_gt_u32_e64 s2, v0
	s_cbranch_execz .LBB319_302
; %bb.301:
	s_mov_b32 s6, 0
	v_lshlrev_b32_e32 v1, 3, v0
	global_load_b64 v[1:2], v1, s[4:5]
	s_waitcnt vmcnt(0)
	v_cmp_neq_f64_e32 vcc_lo, 0, v[1:2]
	v_mov_b32_e32 v2, s6
	v_cndmask_b32_e64 v1, 0, 1, vcc_lo
.LBB319_302:
	s_or_b32 exec_lo, exec_lo, s3
	s_waitcnt lgkmcnt(0)
	v_mov_b32_e32 v3, 0
	v_or_b32_e32 v5, 0x80, v0
	v_mov_b32_e32 v4, 0
	s_delay_alu instid0(VALU_DEP_2) | instskip(NEXT) | instid1(VALU_DEP_2)
	v_cmp_gt_u32_e32 vcc_lo, s2, v5
	v_dual_mov_b32 v6, v4 :: v_dual_mov_b32 v5, v3
	s_and_saveexec_b32 s3, vcc_lo
	s_cbranch_execz .LBB319_304
; %bb.303:
	s_mov_b32 s6, 0
	v_lshlrev_b32_e32 v5, 3, v0
	global_load_b64 v[5:6], v5, s[4:5] offset:1024
	s_waitcnt vmcnt(0)
	v_cmp_neq_f64_e32 vcc_lo, 0, v[5:6]
	v_mov_b32_e32 v6, s6
	v_cndmask_b32_e64 v5, 0, 1, vcc_lo
.LBB319_304:
	s_or_b32 exec_lo, exec_lo, s3
	v_or_b32_e32 v7, 0x100, v0
	s_mov_b32 s3, exec_lo
	s_delay_alu instid0(VALU_DEP_1)
	v_cmpx_gt_u32_e64 s2, v7
	s_cbranch_execz .LBB319_306
; %bb.305:
	s_mov_b32 s6, 0
	v_lshlrev_b32_e32 v3, 3, v0
	global_load_b64 v[3:4], v3, s[4:5] offset:2048
	s_waitcnt vmcnt(0)
	v_cmp_neq_f64_e32 vcc_lo, 0, v[3:4]
	v_mov_b32_e32 v4, s6
	v_cndmask_b32_e64 v3, 0, 1, vcc_lo
.LBB319_306:
	s_or_b32 exec_lo, exec_lo, s3
	v_mov_b32_e32 v7, 0
	v_or_b32_e32 v9, 0x180, v0
	v_mov_b32_e32 v8, 0
	s_delay_alu instid0(VALU_DEP_2) | instskip(NEXT) | instid1(VALU_DEP_2)
	v_cmp_gt_u32_e32 vcc_lo, s2, v9
	v_dual_mov_b32 v10, v8 :: v_dual_mov_b32 v9, v7
	s_and_saveexec_b32 s3, vcc_lo
	s_cbranch_execz .LBB319_308
; %bb.307:
	s_mov_b32 s6, 0
	v_lshlrev_b32_e32 v9, 3, v0
	global_load_b64 v[9:10], v9, s[4:5] offset:3072
	s_waitcnt vmcnt(0)
	v_cmp_neq_f64_e32 vcc_lo, 0, v[9:10]
	v_mov_b32_e32 v10, s6
	v_cndmask_b32_e64 v9, 0, 1, vcc_lo
.LBB319_308:
	s_or_b32 exec_lo, exec_lo, s3
	v_or_b32_e32 v11, 0x200, v0
	s_mov_b32 s3, exec_lo
	s_delay_alu instid0(VALU_DEP_1)
	v_cmpx_gt_u32_e64 s2, v11
	s_cbranch_execz .LBB319_310
; %bb.309:
	s_mov_b32 s6, 0
	v_lshlrev_b32_e32 v7, 3, v11
	global_load_b64 v[7:8], v7, s[4:5]
	s_waitcnt vmcnt(0)
	v_cmp_neq_f64_e32 vcc_lo, 0, v[7:8]
	v_mov_b32_e32 v8, s6
	v_cndmask_b32_e64 v7, 0, 1, vcc_lo
.LBB319_310:
	s_or_b32 exec_lo, exec_lo, s3
	v_mov_b32_e32 v11, 0
	v_mov_b32_e32 v12, 0
	v_or_b32_e32 v15, 0x280, v0
	s_mov_b32 s3, exec_lo
	s_delay_alu instid0(VALU_DEP_2) | instskip(NEXT) | instid1(VALU_DEP_2)
	v_dual_mov_b32 v14, v12 :: v_dual_mov_b32 v13, v11
	v_cmpx_gt_u32_e64 s2, v15
	s_cbranch_execz .LBB319_312
; %bb.311:
	s_mov_b32 s6, 0
	v_lshlrev_b32_e32 v13, 3, v15
	global_load_b64 v[13:14], v13, s[4:5]
	s_waitcnt vmcnt(0)
	v_cmp_neq_f64_e32 vcc_lo, 0, v[13:14]
	v_mov_b32_e32 v14, s6
	v_cndmask_b32_e64 v13, 0, 1, vcc_lo
.LBB319_312:
	s_or_b32 exec_lo, exec_lo, s3
	v_or_b32_e32 v15, 0x300, v0
	s_mov_b32 s3, exec_lo
	s_delay_alu instid0(VALU_DEP_1)
	v_cmpx_gt_u32_e64 s2, v15
	s_cbranch_execz .LBB319_314
; %bb.313:
	s_mov_b32 s6, 0
	v_lshlrev_b32_e32 v11, 3, v15
	global_load_b64 v[11:12], v11, s[4:5]
	s_waitcnt vmcnt(0)
	v_cmp_neq_f64_e32 vcc_lo, 0, v[11:12]
	v_mov_b32_e32 v12, s6
	v_cndmask_b32_e64 v11, 0, 1, vcc_lo
.LBB319_314:
	s_or_b32 exec_lo, exec_lo, s3
	v_mov_b32_e32 v15, 0
	v_mov_b32_e32 v16, 0
	v_or_b32_e32 v19, 0x380, v0
	s_mov_b32 s3, exec_lo
	s_delay_alu instid0(VALU_DEP_2) | instskip(NEXT) | instid1(VALU_DEP_2)
	v_dual_mov_b32 v18, v16 :: v_dual_mov_b32 v17, v15
	v_cmpx_gt_u32_e64 s2, v19
	s_cbranch_execz .LBB319_316
; %bb.315:
	s_mov_b32 s6, 0
	v_lshlrev_b32_e32 v17, 3, v19
	global_load_b64 v[17:18], v17, s[4:5]
	s_waitcnt vmcnt(0)
	v_cmp_neq_f64_e32 vcc_lo, 0, v[17:18]
	v_mov_b32_e32 v18, s6
	v_cndmask_b32_e64 v17, 0, 1, vcc_lo
.LBB319_316:
	;; [unrolled: 33-line block ×29, first 2 shown]
	s_or_b32 exec_lo, exec_lo, s3
	v_or_b32_e32 v127, 0x1f00, v0
	s_mov_b32 s3, exec_lo
	s_delay_alu instid0(VALU_DEP_1)
	v_cmpx_gt_u32_e64 s2, v127
	s_cbranch_execz .LBB319_426
; %bb.425:
	s_mov_b32 s6, 0
	v_lshlrev_b32_e32 v123, 3, v127
	global_load_b64 v[123:124], v123, s[4:5]
	s_waitcnt vmcnt(0)
	v_cmp_neq_f64_e32 vcc_lo, 0, v[123:124]
	v_mov_b32_e32 v124, s6
	v_cndmask_b32_e64 v123, 0, 1, vcc_lo
.LBB319_426:
	s_or_b32 exec_lo, exec_lo, s3
	v_mov_b32_e32 v127, 0
	v_or_b32_e32 v129, 0x1f80, v0
	v_mov_b32_e32 v128, 0
	s_mov_b32 s3, exec_lo
	s_delay_alu instid0(VALU_DEP_2)
	v_cmpx_gt_u32_e64 s2, v129
	s_cbranch_execz .LBB319_428
; %bb.427:
	v_lshlrev_b32_e32 v127, 3, v129
	global_load_b64 v[127:128], v127, s[4:5]
	s_mov_b32 s4, 0
	s_waitcnt vmcnt(0)
	v_cmp_neq_f64_e32 vcc_lo, 0, v[127:128]
	v_mov_b32_e32 v128, s4
	v_cndmask_b32_e64 v127, 0, 1, vcc_lo
.LBB319_428:
	s_or_b32 exec_lo, exec_lo, s3
	v_add_co_u32 v1, vcc_lo, v5, v1
	v_add_co_ci_u32_e32 v2, vcc_lo, v6, v2, vcc_lo
	s_min_u32 s2, s2, 0x80
	s_delay_alu instid0(VALU_DEP_2) | instskip(NEXT) | instid1(VALU_DEP_2)
	v_add_co_u32 v1, vcc_lo, v1, v3
	v_add_co_ci_u32_e32 v2, vcc_lo, v2, v4, vcc_lo
	v_mbcnt_lo_u32_b32 v3, -1, 0
	s_delay_alu instid0(VALU_DEP_3) | instskip(NEXT) | instid1(VALU_DEP_3)
	v_add_co_u32 v1, vcc_lo, v1, v9
	v_add_co_ci_u32_e32 v2, vcc_lo, v2, v10, vcc_lo
	s_delay_alu instid0(VALU_DEP_3) | instskip(NEXT) | instid1(VALU_DEP_3)
	v_add_nc_u32_e32 v5, 1, v3
	v_add_co_u32 v1, vcc_lo, v1, v7
	s_delay_alu instid0(VALU_DEP_3) | instskip(NEXT) | instid1(VALU_DEP_2)
	v_add_co_ci_u32_e32 v2, vcc_lo, v2, v8, vcc_lo
	v_add_co_u32 v1, vcc_lo, v1, v13
	s_delay_alu instid0(VALU_DEP_2) | instskip(NEXT) | instid1(VALU_DEP_2)
	v_add_co_ci_u32_e32 v2, vcc_lo, v2, v14, vcc_lo
	v_add_co_u32 v1, vcc_lo, v1, v11
	s_delay_alu instid0(VALU_DEP_2) | instskip(NEXT) | instid1(VALU_DEP_2)
	;; [unrolled: 3-line block ×56, first 2 shown]
	v_add_co_ci_u32_e32 v2, vcc_lo, v2, v120, vcc_lo
	v_add_co_u32 v1, vcc_lo, v1, v125
	s_delay_alu instid0(VALU_DEP_2) | instskip(SKIP_2) | instid1(VALU_DEP_4)
	v_add_co_ci_u32_e32 v2, vcc_lo, v2, v126, vcc_lo
	v_cmp_ne_u32_e32 vcc_lo, 31, v3
	v_add_co_ci_u32_e32 v4, vcc_lo, 0, v3, vcc_lo
	v_add_co_u32 v1, vcc_lo, v1, v123
	s_delay_alu instid0(VALU_DEP_4) | instskip(NEXT) | instid1(VALU_DEP_2)
	v_add_co_ci_u32_e32 v2, vcc_lo, v2, v124, vcc_lo
	v_add_co_u32 v1, vcc_lo, v1, v127
	s_delay_alu instid0(VALU_DEP_4) | instskip(NEXT) | instid1(VALU_DEP_3)
	v_lshlrev_b32_e32 v4, 2, v4
	v_add_co_ci_u32_e32 v2, vcc_lo, v2, v128, vcc_lo
	ds_bpermute_b32 v7, v4, v1
	ds_bpermute_b32 v6, v4, v2
	v_and_b32_e32 v4, 0x60, v0
	s_delay_alu instid0(VALU_DEP_1) | instskip(NEXT) | instid1(VALU_DEP_1)
	v_sub_nc_u32_e64 v4, s2, v4 clamp
	v_cmp_lt_u32_e32 vcc_lo, v5, v4
	v_mov_b32_e32 v5, v1
	s_and_saveexec_b32 s3, vcc_lo
	s_cbranch_execz .LBB319_430
; %bb.429:
	s_waitcnt lgkmcnt(1)
	v_add_co_u32 v5, vcc_lo, v1, v7
	v_add_co_ci_u32_e32 v2, vcc_lo, 0, v2, vcc_lo
	s_delay_alu instid0(VALU_DEP_2) | instskip(SKIP_1) | instid1(VALU_DEP_2)
	v_add_co_u32 v1, vcc_lo, 0, v5
	s_waitcnt lgkmcnt(0)
	v_add_co_ci_u32_e32 v2, vcc_lo, v6, v2, vcc_lo
.LBB319_430:
	s_or_b32 exec_lo, exec_lo, s3
	v_cmp_gt_u32_e32 vcc_lo, 30, v3
	v_add_nc_u32_e32 v8, 2, v3
	s_mov_b32 s3, exec_lo
	s_waitcnt lgkmcnt(0)
	v_cndmask_b32_e64 v6, 0, 1, vcc_lo
	s_delay_alu instid0(VALU_DEP_1) | instskip(NEXT) | instid1(VALU_DEP_1)
	v_lshlrev_b32_e32 v6, 1, v6
	v_add_lshl_u32 v6, v6, v3, 2
	ds_bpermute_b32 v7, v6, v5
	ds_bpermute_b32 v6, v6, v2
	v_cmpx_lt_u32_e64 v8, v4
	s_cbranch_execz .LBB319_432
; %bb.431:
	s_waitcnt lgkmcnt(1)
	v_add_co_u32 v5, vcc_lo, v1, v7
	v_add_co_ci_u32_e32 v2, vcc_lo, 0, v2, vcc_lo
	s_delay_alu instid0(VALU_DEP_2) | instskip(SKIP_1) | instid1(VALU_DEP_2)
	v_add_co_u32 v1, vcc_lo, 0, v5
	s_waitcnt lgkmcnt(0)
	v_add_co_ci_u32_e32 v2, vcc_lo, v6, v2, vcc_lo
.LBB319_432:
	s_or_b32 exec_lo, exec_lo, s3
	v_cmp_gt_u32_e32 vcc_lo, 28, v3
	v_add_nc_u32_e32 v8, 4, v3
	s_mov_b32 s3, exec_lo
	s_waitcnt lgkmcnt(0)
	v_cndmask_b32_e64 v6, 0, 1, vcc_lo
	s_delay_alu instid0(VALU_DEP_1) | instskip(NEXT) | instid1(VALU_DEP_1)
	v_lshlrev_b32_e32 v6, 2, v6
	v_add_lshl_u32 v6, v6, v3, 2
	ds_bpermute_b32 v7, v6, v5
	ds_bpermute_b32 v6, v6, v2
	v_cmpx_lt_u32_e64 v8, v4
	;; [unrolled: 22-line block ×3, first 2 shown]
	s_cbranch_execz .LBB319_436
; %bb.435:
	s_waitcnt lgkmcnt(1)
	v_add_co_u32 v5, vcc_lo, v1, v7
	v_add_co_ci_u32_e32 v2, vcc_lo, 0, v2, vcc_lo
	s_delay_alu instid0(VALU_DEP_2) | instskip(SKIP_1) | instid1(VALU_DEP_2)
	v_add_co_u32 v1, vcc_lo, 0, v5
	s_waitcnt lgkmcnt(0)
	v_add_co_ci_u32_e32 v2, vcc_lo, v6, v2, vcc_lo
.LBB319_436:
	s_or_b32 exec_lo, exec_lo, s3
	v_cmp_gt_u32_e32 vcc_lo, 16, v3
	s_mov_b32 s3, exec_lo
	s_waitcnt lgkmcnt(0)
	v_cndmask_b32_e64 v6, 0, 1, vcc_lo
	s_delay_alu instid0(VALU_DEP_1) | instskip(NEXT) | instid1(VALU_DEP_1)
	v_lshlrev_b32_e32 v6, 4, v6
	v_add_lshl_u32 v7, v6, v3, 2
	ds_bpermute_b32 v6, v7, v5
	ds_bpermute_b32 v5, v7, v2
	v_add_nc_u32_e32 v7, 16, v3
	s_delay_alu instid0(VALU_DEP_1)
	v_cmpx_lt_u32_e64 v7, v4
	s_cbranch_execz .LBB319_438
; %bb.437:
	s_waitcnt lgkmcnt(1)
	v_add_co_u32 v1, vcc_lo, v1, v6
	v_add_co_ci_u32_e32 v2, vcc_lo, 0, v2, vcc_lo
	s_delay_alu instid0(VALU_DEP_2) | instskip(SKIP_1) | instid1(VALU_DEP_2)
	v_add_co_u32 v1, vcc_lo, v1, 0
	s_waitcnt lgkmcnt(0)
	v_add_co_ci_u32_e32 v2, vcc_lo, v2, v5, vcc_lo
.LBB319_438:
	s_or_b32 exec_lo, exec_lo, s3
	s_delay_alu instid0(SALU_CYCLE_1)
	s_mov_b32 s3, exec_lo
	v_cmpx_eq_u32_e32 0, v3
	s_cbranch_execz .LBB319_440
; %bb.439:
	v_lshrrev_b32_e32 v4, 2, v0
	s_delay_alu instid0(VALU_DEP_1)
	v_and_b32_e32 v4, 24, v4
	ds_store_b64 v4, v[1:2] offset:256
.LBB319_440:
	s_or_b32 exec_lo, exec_lo, s3
	s_delay_alu instid0(SALU_CYCLE_1)
	s_mov_b32 s3, exec_lo
	s_waitcnt lgkmcnt(0)
	s_barrier
	buffer_gl0_inv
	v_cmpx_gt_u32_e32 4, v0
	s_cbranch_execz .LBB319_446
; %bb.441:
	v_lshlrev_b32_e32 v1, 3, v3
	s_add_i32 s2, s2, 31
	s_delay_alu instid0(SALU_CYCLE_1) | instskip(SKIP_2) | instid1(VALU_DEP_1)
	s_lshr_b32 s2, s2, 5
	ds_load_b64 v[1:2], v1 offset:256
	v_and_b32_e32 v4, 3, v3
	v_cmp_ne_u32_e32 vcc_lo, 3, v4
	v_add_co_ci_u32_e32 v5, vcc_lo, 0, v3, vcc_lo
	s_delay_alu instid0(VALU_DEP_1) | instskip(SKIP_4) | instid1(VALU_DEP_1)
	v_lshlrev_b32_e32 v5, 2, v5
	s_waitcnt lgkmcnt(0)
	ds_bpermute_b32 v7, v5, v1
	ds_bpermute_b32 v6, v5, v2
	v_add_nc_u32_e32 v5, 1, v4
	v_cmp_gt_u32_e32 vcc_lo, s2, v5
	v_mov_b32_e32 v5, v1
	s_and_saveexec_b32 s4, vcc_lo
	s_cbranch_execz .LBB319_443
; %bb.442:
	s_waitcnt lgkmcnt(1)
	v_add_co_u32 v5, vcc_lo, v1, v7
	v_add_co_ci_u32_e32 v2, vcc_lo, 0, v2, vcc_lo
	s_delay_alu instid0(VALU_DEP_2) | instskip(SKIP_1) | instid1(VALU_DEP_2)
	v_add_co_u32 v1, vcc_lo, 0, v5
	s_waitcnt lgkmcnt(0)
	v_add_co_ci_u32_e32 v2, vcc_lo, v6, v2, vcc_lo
.LBB319_443:
	s_or_b32 exec_lo, exec_lo, s4
	v_cmp_gt_u32_e32 vcc_lo, 2, v4
	v_add_nc_u32_e32 v4, 2, v4
	s_waitcnt lgkmcnt(0)
	v_cndmask_b32_e64 v6, 0, 1, vcc_lo
	s_delay_alu instid0(VALU_DEP_2) | instskip(NEXT) | instid1(VALU_DEP_2)
	v_cmp_gt_u32_e32 vcc_lo, s2, v4
	v_lshlrev_b32_e32 v6, 1, v6
	s_delay_alu instid0(VALU_DEP_1)
	v_add_lshl_u32 v3, v6, v3, 2
	ds_bpermute_b32 v5, v3, v5
	ds_bpermute_b32 v3, v3, v2
	s_and_saveexec_b32 s2, vcc_lo
	s_cbranch_execz .LBB319_445
; %bb.444:
	s_waitcnt lgkmcnt(1)
	v_add_co_u32 v1, vcc_lo, v1, v5
	v_add_co_ci_u32_e32 v2, vcc_lo, 0, v2, vcc_lo
	s_delay_alu instid0(VALU_DEP_2) | instskip(SKIP_1) | instid1(VALU_DEP_2)
	v_add_co_u32 v1, vcc_lo, v1, 0
	s_waitcnt lgkmcnt(0)
	v_add_co_ci_u32_e32 v2, vcc_lo, v2, v3, vcc_lo
.LBB319_445:
	s_or_b32 exec_lo, exec_lo, s2
.LBB319_446:
	s_delay_alu instid0(SALU_CYCLE_1)
	s_or_b32 exec_lo, exec_lo, s3
.LBB319_447:
	v_cmp_eq_u32_e64 s2, 0, v0
.LBB319_448:
	s_branch .LBB319_605
.LBB319_449:
	s_cmp_gt_i32 s26, 31
	s_cbranch_scc0 .LBB319_458
; %bb.450:
	s_cmp_eq_u32 s26, 32
                                        ; implicit-def: $vgpr1_vgpr2
	s_cbranch_scc0 .LBB319_459
; %bb.451:
	s_mov_b32 s19, 0
	s_lshl_b32 s6, s18, 12
	s_mov_b32 s7, s19
	s_lshr_b64 s[8:9], s[20:21], 12
	s_lshl_b64 s[2:3], s[6:7], 3
	s_delay_alu instid0(SALU_CYCLE_1)
	s_add_u32 s4, s24, s2
	s_addc_u32 s5, s25, s3
	s_cmp_lg_u64 s[8:9], s[18:19]
	s_cbranch_scc0 .LBB319_460
; %bb.452:
	v_lshlrev_b32_e32 v9, 3, v0
	global_load_b64 v[1:2], v9, s[4:5]
	s_waitcnt lgkmcnt(0)
	s_clause 0x1
	global_load_b64 v[3:4], v9, s[4:5] offset:1024
	global_load_b64 v[5:6], v9, s[4:5] offset:2048
	v_add_co_u32 v57, s2, s4, v9
	s_delay_alu instid0(VALU_DEP_1) | instskip(NEXT) | instid1(VALU_DEP_2)
	v_add_co_ci_u32_e64 v58, null, s5, 0, s2
	v_add_co_u32 v7, vcc_lo, v57, 0x2000
	s_delay_alu instid0(VALU_DEP_2)
	v_add_co_ci_u32_e32 v8, vcc_lo, 0, v58, vcc_lo
	s_clause 0x1
	global_load_b64 v[9:10], v9, s[4:5] offset:3072
	global_load_b64 v[11:12], v[7:8], off offset:-4096
	v_add_co_u32 v13, vcc_lo, 0x1000, v57
	v_add_co_ci_u32_e32 v14, vcc_lo, 0, v58, vcc_lo
	s_clause 0x3
	global_load_b64 v[15:16], v[13:14], off offset:1024
	global_load_b64 v[17:18], v[13:14], off offset:2048
	;; [unrolled: 1-line block ×3, first 2 shown]
	global_load_b64 v[7:8], v[7:8], off
	v_add_co_u32 v19, vcc_lo, 0x2000, v57
	v_add_co_ci_u32_e32 v20, vcc_lo, 0, v58, vcc_lo
	v_add_co_u32 v25, vcc_lo, v57, 0x4000
	v_add_co_ci_u32_e32 v26, vcc_lo, 0, v58, vcc_lo
	;; [unrolled: 2-line block ×3, first 2 shown]
	s_clause 0x1
	global_load_b64 v[21:22], v[19:20], off offset:1024
	global_load_b64 v[23:24], v[19:20], off offset:2048
	v_add_co_u32 v35, vcc_lo, 0x4000, v57
	v_add_co_ci_u32_e32 v36, vcc_lo, 0, v58, vcc_lo
	v_add_co_u32 v41, vcc_lo, v57, 0x6000
	v_add_co_ci_u32_e32 v42, vcc_lo, 0, v58, vcc_lo
	;; [unrolled: 2-line block ×5, first 2 shown]
	s_clause 0x14
	global_load_b64 v[19:20], v[19:20], off offset:3072
	global_load_b64 v[27:28], v[25:26], off offset:-4096
	global_load_b64 v[31:32], v[29:30], off offset:1024
	global_load_b64 v[33:34], v[29:30], off offset:2048
	;; [unrolled: 1-line block ×3, first 2 shown]
	global_load_b64 v[25:26], v[25:26], off
	global_load_b64 v[37:38], v[35:36], off offset:1024
	global_load_b64 v[39:40], v[35:36], off offset:2048
	;; [unrolled: 1-line block ×3, first 2 shown]
	global_load_b64 v[43:44], v[41:42], off offset:-4096
	global_load_b64 v[47:48], v[45:46], off offset:1024
	global_load_b64 v[49:50], v[45:46], off offset:2048
	;; [unrolled: 1-line block ×3, first 2 shown]
	global_load_b64 v[41:42], v[41:42], off
	global_load_b64 v[53:54], v[51:52], off offset:1024
	global_load_b64 v[55:56], v[51:52], off offset:2048
	;; [unrolled: 1-line block ×3, first 2 shown]
	global_load_b64 v[59:60], v[57:58], off
	global_load_b64 v[61:62], v[57:58], off offset:1024
	global_load_b64 v[63:64], v[57:58], off offset:2048
	;; [unrolled: 1-line block ×3, first 2 shown]
	s_waitcnt vmcnt(31)
	v_cmp_neq_f64_e32 vcc_lo, 0, v[1:2]
	v_cndmask_b32_e64 v1, 0, 1, vcc_lo
	s_waitcnt vmcnt(30)
	v_cmp_neq_f64_e32 vcc_lo, 0, v[3:4]
	v_cndmask_b32_e64 v2, 0, 1, vcc_lo
	s_waitcnt vmcnt(29)
	v_cmp_neq_f64_e32 vcc_lo, 0, v[5:6]
	s_delay_alu instid0(VALU_DEP_2) | instskip(NEXT) | instid1(VALU_DEP_1)
	v_add_co_u32 v1, s2, v2, v1
	v_add_co_ci_u32_e64 v4, null, 0, 0, s2
	s_waitcnt vmcnt(27)
	v_cmp_neq_f64_e64 s2, 0, v[11:12]
	v_cndmask_b32_e64 v3, 0, 1, vcc_lo
	v_cmp_neq_f64_e32 vcc_lo, 0, v[9:10]
	v_cndmask_b32_e64 v2, 0, 1, vcc_lo
	s_delay_alu instid0(VALU_DEP_3)
	v_add_co_u32 v1, vcc_lo, v1, v3
	v_cndmask_b32_e64 v3, 0, 1, s2
	s_waitcnt vmcnt(26)
	v_cmp_neq_f64_e64 s2, 0, v[15:16]
	v_add_co_ci_u32_e32 v4, vcc_lo, 0, v4, vcc_lo
	v_add_co_u32 v1, vcc_lo, v1, v2
	s_delay_alu instid0(VALU_DEP_2) | instskip(NEXT) | instid1(VALU_DEP_2)
	v_add_co_ci_u32_e32 v4, vcc_lo, 0, v4, vcc_lo
	v_add_co_u32 v1, vcc_lo, v1, v3
	s_delay_alu instid0(VALU_DEP_2) | instskip(SKIP_3) | instid1(VALU_DEP_2)
	v_add_co_ci_u32_e32 v4, vcc_lo, 0, v4, vcc_lo
	v_cndmask_b32_e64 v2, 0, 1, s2
	s_waitcnt vmcnt(25)
	v_cmp_neq_f64_e64 s2, 0, v[17:18]
	v_add_co_u32 v1, vcc_lo, v1, v2
	v_add_co_ci_u32_e32 v4, vcc_lo, 0, v4, vcc_lo
	s_delay_alu instid0(VALU_DEP_3) | instskip(SKIP_2) | instid1(VALU_DEP_2)
	v_cndmask_b32_e64 v3, 0, 1, s2
	s_waitcnt vmcnt(24)
	v_cmp_neq_f64_e64 s2, 0, v[13:14]
	v_add_co_u32 v1, vcc_lo, v1, v3
	v_add_co_ci_u32_e32 v4, vcc_lo, 0, v4, vcc_lo
	s_delay_alu instid0(VALU_DEP_3) | instskip(SKIP_2) | instid1(VALU_DEP_2)
	;; [unrolled: 6-line block ×25, first 2 shown]
	v_cndmask_b32_e64 v3, 0, 1, s2
	s_waitcnt vmcnt(0)
	v_cmp_neq_f64_e64 s2, 0, v[57:58]
	v_add_co_u32 v1, vcc_lo, v1, v3
	v_add_co_ci_u32_e32 v3, vcc_lo, 0, v4, vcc_lo
	v_mov_b32_e32 v4, 0
	s_delay_alu instid0(VALU_DEP_4) | instskip(SKIP_1) | instid1(VALU_DEP_1)
	v_cndmask_b32_e64 v2, 0, 1, s2
	s_mov_b32 s2, exec_lo
	v_add_co_u32 v1, vcc_lo, v1, v2
	v_add_co_ci_u32_e32 v2, vcc_lo, 0, v3, vcc_lo
	s_delay_alu instid0(VALU_DEP_2) | instskip(NEXT) | instid1(VALU_DEP_1)
	v_mov_b32_dpp v3, v1 quad_perm:[1,0,3,2] row_mask:0xf bank_mask:0xf
	v_add_co_u32 v1, vcc_lo, v1, v3
	v_mov_b32_dpp v3, v4 quad_perm:[1,0,3,2] row_mask:0xf bank_mask:0xf
	s_delay_alu instid0(VALU_DEP_4) | instskip(NEXT) | instid1(VALU_DEP_3)
	v_add_co_ci_u32_e32 v2, vcc_lo, 0, v2, vcc_lo
	v_mov_b32_dpp v5, v1 quad_perm:[2,3,0,1] row_mask:0xf bank_mask:0xf
	v_add_co_u32 v1, vcc_lo, 0, v1
	s_delay_alu instid0(VALU_DEP_3) | instskip(NEXT) | instid1(VALU_DEP_2)
	v_add_co_ci_u32_e32 v2, vcc_lo, v3, v2, vcc_lo
	v_add_co_u32 v1, vcc_lo, v1, v5
	s_delay_alu instid0(VALU_DEP_2) | instskip(SKIP_1) | instid1(VALU_DEP_3)
	v_mov_b32_dpp v3, v2 quad_perm:[2,3,0,1] row_mask:0xf bank_mask:0xf
	v_add_co_ci_u32_e32 v2, vcc_lo, 0, v2, vcc_lo
	v_mov_b32_dpp v5, v1 row_ror:4 row_mask:0xf bank_mask:0xf
	v_add_co_u32 v1, vcc_lo, v1, 0
	s_delay_alu instid0(VALU_DEP_3) | instskip(NEXT) | instid1(VALU_DEP_2)
	v_add_co_ci_u32_e32 v2, vcc_lo, v2, v3, vcc_lo
	v_add_co_u32 v1, vcc_lo, v1, v5
	s_delay_alu instid0(VALU_DEP_2) | instskip(SKIP_1) | instid1(VALU_DEP_3)
	v_mov_b32_dpp v3, v2 row_ror:4 row_mask:0xf bank_mask:0xf
	v_add_co_ci_u32_e32 v2, vcc_lo, 0, v2, vcc_lo
	v_mov_b32_dpp v5, v1 row_ror:8 row_mask:0xf bank_mask:0xf
	v_add_co_u32 v1, vcc_lo, v1, 0
	s_delay_alu instid0(VALU_DEP_3) | instskip(NEXT) | instid1(VALU_DEP_2)
	v_add_co_ci_u32_e32 v2, vcc_lo, v2, v3, vcc_lo
	v_add_co_u32 v1, vcc_lo, v1, v5
	s_delay_alu instid0(VALU_DEP_2)
	v_mov_b32_dpp v3, v2 row_ror:8 row_mask:0xf bank_mask:0xf
	v_add_co_ci_u32_e32 v2, vcc_lo, 0, v2, vcc_lo
	ds_swizzle_b32 v5, v1 offset:swizzle(BROADCAST,32,15)
	v_add_co_u32 v1, vcc_lo, v1, 0
	v_add_co_ci_u32_e32 v2, vcc_lo, v2, v3, vcc_lo
	ds_swizzle_b32 v3, v2 offset:swizzle(BROADCAST,32,15)
	s_waitcnt lgkmcnt(1)
	v_add_co_u32 v1, vcc_lo, v1, v5
	v_add_co_ci_u32_e32 v2, vcc_lo, 0, v2, vcc_lo
	ds_bpermute_b32 v1, v4, v1 offset:124
	s_waitcnt lgkmcnt(1)
	v_add_nc_u32_e32 v2, v3, v2
	v_mbcnt_lo_u32_b32 v3, -1, 0
	ds_bpermute_b32 v2, v4, v2 offset:124
	v_cmpx_eq_u32_e32 0, v3
	s_cbranch_execz .LBB319_454
; %bb.453:
	v_lshrrev_b32_e32 v4, 2, v0
	s_delay_alu instid0(VALU_DEP_1)
	v_and_b32_e32 v4, 24, v4
	s_waitcnt lgkmcnt(0)
	ds_store_b64 v4, v[1:2] offset:128
.LBB319_454:
	s_or_b32 exec_lo, exec_lo, s2
	s_delay_alu instid0(SALU_CYCLE_1)
	s_mov_b32 s2, exec_lo
	s_waitcnt lgkmcnt(0)
	s_barrier
	buffer_gl0_inv
	v_cmpx_gt_u32_e32 32, v0
	s_cbranch_execz .LBB319_456
; %bb.455:
	v_and_b32_e32 v4, 3, v3
	s_delay_alu instid0(VALU_DEP_1) | instskip(SKIP_4) | instid1(VALU_DEP_2)
	v_lshlrev_b32_e32 v1, 3, v4
	v_cmp_ne_u32_e32 vcc_lo, 3, v4
	ds_load_b64 v[1:2], v1 offset:128
	v_add_co_ci_u32_e32 v5, vcc_lo, 0, v3, vcc_lo
	v_cmp_gt_u32_e32 vcc_lo, 2, v4
	v_lshlrev_b32_e32 v5, 2, v5
	v_cndmask_b32_e64 v4, 0, 1, vcc_lo
	s_delay_alu instid0(VALU_DEP_1) | instskip(NEXT) | instid1(VALU_DEP_1)
	v_lshlrev_b32_e32 v4, 1, v4
	v_add_lshl_u32 v3, v4, v3, 2
	s_waitcnt lgkmcnt(0)
	ds_bpermute_b32 v6, v5, v1
	ds_bpermute_b32 v5, v5, v2
	s_waitcnt lgkmcnt(1)
	v_add_co_u32 v1, vcc_lo, v1, v6
	v_add_co_ci_u32_e32 v2, vcc_lo, 0, v2, vcc_lo
	ds_bpermute_b32 v4, v3, v1
	v_add_co_u32 v1, vcc_lo, 0, v1
	s_waitcnt lgkmcnt(1)
	v_add_co_ci_u32_e32 v2, vcc_lo, v5, v2, vcc_lo
	ds_bpermute_b32 v3, v3, v2
	s_waitcnt lgkmcnt(1)
	v_add_co_u32 v1, vcc_lo, v1, v4
	v_add_co_ci_u32_e32 v2, vcc_lo, 0, v2, vcc_lo
	s_delay_alu instid0(VALU_DEP_2) | instskip(SKIP_1) | instid1(VALU_DEP_2)
	v_add_co_u32 v1, vcc_lo, v1, 0
	s_waitcnt lgkmcnt(0)
	v_add_co_ci_u32_e32 v2, vcc_lo, v2, v3, vcc_lo
.LBB319_456:
	s_or_b32 exec_lo, exec_lo, s2
.LBB319_457:
	v_cmp_eq_u32_e64 s2, 0, v0
	s_branch .LBB319_605
.LBB319_458:
                                        ; implicit-def: $vgpr1_vgpr2
	s_cbranch_execnz .LBB319_544
	s_branch .LBB319_605
.LBB319_459:
	s_branch .LBB319_605
.LBB319_460:
                                        ; implicit-def: $vgpr1_vgpr2
	s_cbranch_execz .LBB319_457
; %bb.461:
	s_sub_i32 s2, s20, s6
	s_mov_b32 s3, exec_lo
                                        ; implicit-def: $vgpr1_vgpr2
	v_cmpx_gt_u32_e64 s2, v0
	s_cbranch_execz .LBB319_463
; %bb.462:
	s_mov_b32 s6, 0
	v_lshlrev_b32_e32 v1, 3, v0
	global_load_b64 v[1:2], v1, s[4:5]
	s_waitcnt vmcnt(0)
	v_cmp_neq_f64_e32 vcc_lo, 0, v[1:2]
	v_mov_b32_e32 v2, s6
	v_cndmask_b32_e64 v1, 0, 1, vcc_lo
.LBB319_463:
	s_or_b32 exec_lo, exec_lo, s3
	s_waitcnt lgkmcnt(0)
	v_mov_b32_e32 v3, 0
	v_or_b32_e32 v5, 0x80, v0
	v_mov_b32_e32 v4, 0
	s_delay_alu instid0(VALU_DEP_2) | instskip(NEXT) | instid1(VALU_DEP_2)
	v_cmp_gt_u32_e32 vcc_lo, s2, v5
	v_dual_mov_b32 v6, v4 :: v_dual_mov_b32 v5, v3
	s_and_saveexec_b32 s3, vcc_lo
	s_cbranch_execz .LBB319_465
; %bb.464:
	s_mov_b32 s6, 0
	v_lshlrev_b32_e32 v5, 3, v0
	global_load_b64 v[5:6], v5, s[4:5] offset:1024
	s_waitcnt vmcnt(0)
	v_cmp_neq_f64_e32 vcc_lo, 0, v[5:6]
	v_mov_b32_e32 v6, s6
	v_cndmask_b32_e64 v5, 0, 1, vcc_lo
.LBB319_465:
	s_or_b32 exec_lo, exec_lo, s3
	v_or_b32_e32 v7, 0x100, v0
	s_mov_b32 s3, exec_lo
	s_delay_alu instid0(VALU_DEP_1)
	v_cmpx_gt_u32_e64 s2, v7
	s_cbranch_execz .LBB319_467
; %bb.466:
	s_mov_b32 s6, 0
	v_lshlrev_b32_e32 v3, 3, v0
	global_load_b64 v[3:4], v3, s[4:5] offset:2048
	s_waitcnt vmcnt(0)
	v_cmp_neq_f64_e32 vcc_lo, 0, v[3:4]
	v_mov_b32_e32 v4, s6
	v_cndmask_b32_e64 v3, 0, 1, vcc_lo
.LBB319_467:
	s_or_b32 exec_lo, exec_lo, s3
	v_mov_b32_e32 v7, 0
	v_or_b32_e32 v9, 0x180, v0
	v_mov_b32_e32 v8, 0
	s_delay_alu instid0(VALU_DEP_2) | instskip(NEXT) | instid1(VALU_DEP_2)
	v_cmp_gt_u32_e32 vcc_lo, s2, v9
	v_dual_mov_b32 v10, v8 :: v_dual_mov_b32 v9, v7
	s_and_saveexec_b32 s3, vcc_lo
	s_cbranch_execz .LBB319_469
; %bb.468:
	s_mov_b32 s6, 0
	v_lshlrev_b32_e32 v9, 3, v0
	global_load_b64 v[9:10], v9, s[4:5] offset:3072
	s_waitcnt vmcnt(0)
	v_cmp_neq_f64_e32 vcc_lo, 0, v[9:10]
	v_mov_b32_e32 v10, s6
	v_cndmask_b32_e64 v9, 0, 1, vcc_lo
.LBB319_469:
	s_or_b32 exec_lo, exec_lo, s3
	v_or_b32_e32 v11, 0x200, v0
	s_mov_b32 s3, exec_lo
	s_delay_alu instid0(VALU_DEP_1)
	v_cmpx_gt_u32_e64 s2, v11
	s_cbranch_execz .LBB319_471
; %bb.470:
	s_mov_b32 s6, 0
	v_lshlrev_b32_e32 v7, 3, v11
	global_load_b64 v[7:8], v7, s[4:5]
	s_waitcnt vmcnt(0)
	v_cmp_neq_f64_e32 vcc_lo, 0, v[7:8]
	v_mov_b32_e32 v8, s6
	v_cndmask_b32_e64 v7, 0, 1, vcc_lo
.LBB319_471:
	s_or_b32 exec_lo, exec_lo, s3
	v_mov_b32_e32 v11, 0
	v_mov_b32_e32 v12, 0
	v_or_b32_e32 v15, 0x280, v0
	s_mov_b32 s3, exec_lo
	s_delay_alu instid0(VALU_DEP_2) | instskip(NEXT) | instid1(VALU_DEP_2)
	v_dual_mov_b32 v14, v12 :: v_dual_mov_b32 v13, v11
	v_cmpx_gt_u32_e64 s2, v15
	s_cbranch_execz .LBB319_473
; %bb.472:
	s_mov_b32 s6, 0
	v_lshlrev_b32_e32 v13, 3, v15
	global_load_b64 v[13:14], v13, s[4:5]
	s_waitcnt vmcnt(0)
	v_cmp_neq_f64_e32 vcc_lo, 0, v[13:14]
	v_mov_b32_e32 v14, s6
	v_cndmask_b32_e64 v13, 0, 1, vcc_lo
.LBB319_473:
	s_or_b32 exec_lo, exec_lo, s3
	v_or_b32_e32 v15, 0x300, v0
	s_mov_b32 s3, exec_lo
	s_delay_alu instid0(VALU_DEP_1)
	v_cmpx_gt_u32_e64 s2, v15
	s_cbranch_execz .LBB319_475
; %bb.474:
	s_mov_b32 s6, 0
	v_lshlrev_b32_e32 v11, 3, v15
	global_load_b64 v[11:12], v11, s[4:5]
	s_waitcnt vmcnt(0)
	v_cmp_neq_f64_e32 vcc_lo, 0, v[11:12]
	v_mov_b32_e32 v12, s6
	v_cndmask_b32_e64 v11, 0, 1, vcc_lo
.LBB319_475:
	s_or_b32 exec_lo, exec_lo, s3
	v_mov_b32_e32 v15, 0
	v_mov_b32_e32 v16, 0
	v_or_b32_e32 v19, 0x380, v0
	s_mov_b32 s3, exec_lo
	s_delay_alu instid0(VALU_DEP_2) | instskip(NEXT) | instid1(VALU_DEP_2)
	v_dual_mov_b32 v18, v16 :: v_dual_mov_b32 v17, v15
	v_cmpx_gt_u32_e64 s2, v19
	s_cbranch_execz .LBB319_477
; %bb.476:
	s_mov_b32 s6, 0
	v_lshlrev_b32_e32 v17, 3, v19
	global_load_b64 v[17:18], v17, s[4:5]
	s_waitcnt vmcnt(0)
	v_cmp_neq_f64_e32 vcc_lo, 0, v[17:18]
	v_mov_b32_e32 v18, s6
	v_cndmask_b32_e64 v17, 0, 1, vcc_lo
.LBB319_477:
	;; [unrolled: 33-line block ×13, first 2 shown]
	s_or_b32 exec_lo, exec_lo, s3
	v_or_b32_e32 v63, 0xf00, v0
	s_mov_b32 s3, exec_lo
	s_delay_alu instid0(VALU_DEP_1)
	v_cmpx_gt_u32_e64 s2, v63
	s_cbranch_execz .LBB319_523
; %bb.522:
	s_mov_b32 s6, 0
	v_lshlrev_b32_e32 v59, 3, v63
	global_load_b64 v[59:60], v59, s[4:5]
	s_waitcnt vmcnt(0)
	v_cmp_neq_f64_e32 vcc_lo, 0, v[59:60]
	v_mov_b32_e32 v60, s6
	v_cndmask_b32_e64 v59, 0, 1, vcc_lo
.LBB319_523:
	s_or_b32 exec_lo, exec_lo, s3
	v_mov_b32_e32 v63, 0
	v_or_b32_e32 v65, 0xf80, v0
	v_mov_b32_e32 v64, 0
	s_mov_b32 s3, exec_lo
	s_delay_alu instid0(VALU_DEP_2)
	v_cmpx_gt_u32_e64 s2, v65
	s_cbranch_execz .LBB319_525
; %bb.524:
	v_lshlrev_b32_e32 v63, 3, v65
	global_load_b64 v[63:64], v63, s[4:5]
	s_mov_b32 s4, 0
	s_waitcnt vmcnt(0)
	v_cmp_neq_f64_e32 vcc_lo, 0, v[63:64]
	v_mov_b32_e32 v64, s4
	v_cndmask_b32_e64 v63, 0, 1, vcc_lo
.LBB319_525:
	s_or_b32 exec_lo, exec_lo, s3
	v_add_co_u32 v1, vcc_lo, v5, v1
	v_add_co_ci_u32_e32 v2, vcc_lo, v6, v2, vcc_lo
	s_min_u32 s2, s2, 0x80
	s_delay_alu instid0(VALU_DEP_2) | instskip(NEXT) | instid1(VALU_DEP_2)
	v_add_co_u32 v1, vcc_lo, v1, v3
	v_add_co_ci_u32_e32 v2, vcc_lo, v2, v4, vcc_lo
	v_mbcnt_lo_u32_b32 v3, -1, 0
	s_delay_alu instid0(VALU_DEP_3) | instskip(NEXT) | instid1(VALU_DEP_3)
	v_add_co_u32 v1, vcc_lo, v1, v9
	v_add_co_ci_u32_e32 v2, vcc_lo, v2, v10, vcc_lo
	s_delay_alu instid0(VALU_DEP_3) | instskip(NEXT) | instid1(VALU_DEP_3)
	v_add_nc_u32_e32 v5, 1, v3
	v_add_co_u32 v1, vcc_lo, v1, v7
	s_delay_alu instid0(VALU_DEP_3) | instskip(NEXT) | instid1(VALU_DEP_2)
	v_add_co_ci_u32_e32 v2, vcc_lo, v2, v8, vcc_lo
	v_add_co_u32 v1, vcc_lo, v1, v13
	s_delay_alu instid0(VALU_DEP_2) | instskip(NEXT) | instid1(VALU_DEP_2)
	v_add_co_ci_u32_e32 v2, vcc_lo, v2, v14, vcc_lo
	v_add_co_u32 v1, vcc_lo, v1, v11
	s_delay_alu instid0(VALU_DEP_2) | instskip(NEXT) | instid1(VALU_DEP_2)
	;; [unrolled: 3-line block ×24, first 2 shown]
	v_add_co_ci_u32_e32 v2, vcc_lo, v2, v56, vcc_lo
	v_add_co_u32 v1, vcc_lo, v1, v61
	s_delay_alu instid0(VALU_DEP_2) | instskip(SKIP_2) | instid1(VALU_DEP_4)
	v_add_co_ci_u32_e32 v2, vcc_lo, v2, v62, vcc_lo
	v_cmp_ne_u32_e32 vcc_lo, 31, v3
	v_add_co_ci_u32_e32 v4, vcc_lo, 0, v3, vcc_lo
	v_add_co_u32 v1, vcc_lo, v1, v59
	s_delay_alu instid0(VALU_DEP_4) | instskip(NEXT) | instid1(VALU_DEP_2)
	v_add_co_ci_u32_e32 v2, vcc_lo, v2, v60, vcc_lo
	v_add_co_u32 v1, vcc_lo, v1, v63
	s_delay_alu instid0(VALU_DEP_4) | instskip(NEXT) | instid1(VALU_DEP_3)
	v_lshlrev_b32_e32 v4, 2, v4
	v_add_co_ci_u32_e32 v2, vcc_lo, v2, v64, vcc_lo
	ds_bpermute_b32 v7, v4, v1
	ds_bpermute_b32 v6, v4, v2
	v_and_b32_e32 v4, 0x60, v0
	s_delay_alu instid0(VALU_DEP_1) | instskip(NEXT) | instid1(VALU_DEP_1)
	v_sub_nc_u32_e64 v4, s2, v4 clamp
	v_cmp_lt_u32_e32 vcc_lo, v5, v4
	v_mov_b32_e32 v5, v1
	s_and_saveexec_b32 s3, vcc_lo
	s_cbranch_execz .LBB319_527
; %bb.526:
	s_waitcnt lgkmcnt(1)
	v_add_co_u32 v5, vcc_lo, v1, v7
	v_add_co_ci_u32_e32 v2, vcc_lo, 0, v2, vcc_lo
	s_delay_alu instid0(VALU_DEP_2) | instskip(SKIP_1) | instid1(VALU_DEP_2)
	v_add_co_u32 v1, vcc_lo, 0, v5
	s_waitcnt lgkmcnt(0)
	v_add_co_ci_u32_e32 v2, vcc_lo, v6, v2, vcc_lo
.LBB319_527:
	s_or_b32 exec_lo, exec_lo, s3
	v_cmp_gt_u32_e32 vcc_lo, 30, v3
	v_add_nc_u32_e32 v8, 2, v3
	s_mov_b32 s3, exec_lo
	s_waitcnt lgkmcnt(0)
	v_cndmask_b32_e64 v6, 0, 1, vcc_lo
	s_delay_alu instid0(VALU_DEP_1) | instskip(NEXT) | instid1(VALU_DEP_1)
	v_lshlrev_b32_e32 v6, 1, v6
	v_add_lshl_u32 v6, v6, v3, 2
	ds_bpermute_b32 v7, v6, v5
	ds_bpermute_b32 v6, v6, v2
	v_cmpx_lt_u32_e64 v8, v4
	s_cbranch_execz .LBB319_529
; %bb.528:
	s_waitcnt lgkmcnt(1)
	v_add_co_u32 v5, vcc_lo, v1, v7
	v_add_co_ci_u32_e32 v2, vcc_lo, 0, v2, vcc_lo
	s_delay_alu instid0(VALU_DEP_2) | instskip(SKIP_1) | instid1(VALU_DEP_2)
	v_add_co_u32 v1, vcc_lo, 0, v5
	s_waitcnt lgkmcnt(0)
	v_add_co_ci_u32_e32 v2, vcc_lo, v6, v2, vcc_lo
.LBB319_529:
	s_or_b32 exec_lo, exec_lo, s3
	v_cmp_gt_u32_e32 vcc_lo, 28, v3
	v_add_nc_u32_e32 v8, 4, v3
	s_mov_b32 s3, exec_lo
	s_waitcnt lgkmcnt(0)
	v_cndmask_b32_e64 v6, 0, 1, vcc_lo
	s_delay_alu instid0(VALU_DEP_1) | instskip(NEXT) | instid1(VALU_DEP_1)
	v_lshlrev_b32_e32 v6, 2, v6
	v_add_lshl_u32 v6, v6, v3, 2
	ds_bpermute_b32 v7, v6, v5
	ds_bpermute_b32 v6, v6, v2
	v_cmpx_lt_u32_e64 v8, v4
	;; [unrolled: 22-line block ×3, first 2 shown]
	s_cbranch_execz .LBB319_533
; %bb.532:
	s_waitcnt lgkmcnt(1)
	v_add_co_u32 v5, vcc_lo, v1, v7
	v_add_co_ci_u32_e32 v2, vcc_lo, 0, v2, vcc_lo
	s_delay_alu instid0(VALU_DEP_2) | instskip(SKIP_1) | instid1(VALU_DEP_2)
	v_add_co_u32 v1, vcc_lo, 0, v5
	s_waitcnt lgkmcnt(0)
	v_add_co_ci_u32_e32 v2, vcc_lo, v6, v2, vcc_lo
.LBB319_533:
	s_or_b32 exec_lo, exec_lo, s3
	v_cmp_gt_u32_e32 vcc_lo, 16, v3
	s_mov_b32 s3, exec_lo
	s_waitcnt lgkmcnt(0)
	v_cndmask_b32_e64 v6, 0, 1, vcc_lo
	s_delay_alu instid0(VALU_DEP_1) | instskip(NEXT) | instid1(VALU_DEP_1)
	v_lshlrev_b32_e32 v6, 4, v6
	v_add_lshl_u32 v7, v6, v3, 2
	ds_bpermute_b32 v6, v7, v5
	ds_bpermute_b32 v5, v7, v2
	v_add_nc_u32_e32 v7, 16, v3
	s_delay_alu instid0(VALU_DEP_1)
	v_cmpx_lt_u32_e64 v7, v4
	s_cbranch_execz .LBB319_535
; %bb.534:
	s_waitcnt lgkmcnt(1)
	v_add_co_u32 v1, vcc_lo, v1, v6
	v_add_co_ci_u32_e32 v2, vcc_lo, 0, v2, vcc_lo
	s_delay_alu instid0(VALU_DEP_2) | instskip(SKIP_1) | instid1(VALU_DEP_2)
	v_add_co_u32 v1, vcc_lo, v1, 0
	s_waitcnt lgkmcnt(0)
	v_add_co_ci_u32_e32 v2, vcc_lo, v2, v5, vcc_lo
.LBB319_535:
	s_or_b32 exec_lo, exec_lo, s3
	s_delay_alu instid0(SALU_CYCLE_1)
	s_mov_b32 s3, exec_lo
	v_cmpx_eq_u32_e32 0, v3
	s_cbranch_execz .LBB319_537
; %bb.536:
	v_lshrrev_b32_e32 v4, 2, v0
	s_delay_alu instid0(VALU_DEP_1)
	v_and_b32_e32 v4, 24, v4
	ds_store_b64 v4, v[1:2] offset:256
.LBB319_537:
	s_or_b32 exec_lo, exec_lo, s3
	s_delay_alu instid0(SALU_CYCLE_1)
	s_mov_b32 s3, exec_lo
	s_waitcnt lgkmcnt(0)
	s_barrier
	buffer_gl0_inv
	v_cmpx_gt_u32_e32 4, v0
	s_cbranch_execz .LBB319_543
; %bb.538:
	v_lshlrev_b32_e32 v1, 3, v3
	s_add_i32 s2, s2, 31
	s_delay_alu instid0(SALU_CYCLE_1) | instskip(SKIP_2) | instid1(VALU_DEP_1)
	s_lshr_b32 s2, s2, 5
	ds_load_b64 v[1:2], v1 offset:256
	v_and_b32_e32 v4, 3, v3
	v_cmp_ne_u32_e32 vcc_lo, 3, v4
	v_add_co_ci_u32_e32 v5, vcc_lo, 0, v3, vcc_lo
	s_delay_alu instid0(VALU_DEP_1) | instskip(SKIP_4) | instid1(VALU_DEP_1)
	v_lshlrev_b32_e32 v5, 2, v5
	s_waitcnt lgkmcnt(0)
	ds_bpermute_b32 v7, v5, v1
	ds_bpermute_b32 v6, v5, v2
	v_add_nc_u32_e32 v5, 1, v4
	v_cmp_gt_u32_e32 vcc_lo, s2, v5
	v_mov_b32_e32 v5, v1
	s_and_saveexec_b32 s4, vcc_lo
	s_cbranch_execz .LBB319_540
; %bb.539:
	s_waitcnt lgkmcnt(1)
	v_add_co_u32 v5, vcc_lo, v1, v7
	v_add_co_ci_u32_e32 v2, vcc_lo, 0, v2, vcc_lo
	s_delay_alu instid0(VALU_DEP_2) | instskip(SKIP_1) | instid1(VALU_DEP_2)
	v_add_co_u32 v1, vcc_lo, 0, v5
	s_waitcnt lgkmcnt(0)
	v_add_co_ci_u32_e32 v2, vcc_lo, v6, v2, vcc_lo
.LBB319_540:
	s_or_b32 exec_lo, exec_lo, s4
	v_cmp_gt_u32_e32 vcc_lo, 2, v4
	v_add_nc_u32_e32 v4, 2, v4
	s_waitcnt lgkmcnt(0)
	v_cndmask_b32_e64 v6, 0, 1, vcc_lo
	s_delay_alu instid0(VALU_DEP_2) | instskip(NEXT) | instid1(VALU_DEP_2)
	v_cmp_gt_u32_e32 vcc_lo, s2, v4
	v_lshlrev_b32_e32 v6, 1, v6
	s_delay_alu instid0(VALU_DEP_1)
	v_add_lshl_u32 v3, v6, v3, 2
	ds_bpermute_b32 v5, v3, v5
	ds_bpermute_b32 v3, v3, v2
	s_and_saveexec_b32 s2, vcc_lo
	s_cbranch_execz .LBB319_542
; %bb.541:
	s_waitcnt lgkmcnt(1)
	v_add_co_u32 v1, vcc_lo, v1, v5
	v_add_co_ci_u32_e32 v2, vcc_lo, 0, v2, vcc_lo
	s_delay_alu instid0(VALU_DEP_2) | instskip(SKIP_1) | instid1(VALU_DEP_2)
	v_add_co_u32 v1, vcc_lo, v1, 0
	s_waitcnt lgkmcnt(0)
	v_add_co_ci_u32_e32 v2, vcc_lo, v2, v3, vcc_lo
.LBB319_542:
	s_or_b32 exec_lo, exec_lo, s2
.LBB319_543:
	s_delay_alu instid0(SALU_CYCLE_1)
	s_or_b32 exec_lo, exec_lo, s3
	v_cmp_eq_u32_e64 s2, 0, v0
	s_branch .LBB319_605
.LBB319_544:
	s_cmp_eq_u32 s26, 16
                                        ; implicit-def: $vgpr1_vgpr2
	s_cbranch_scc0 .LBB319_605
; %bb.545:
	s_mov_b32 s19, 0
	s_lshl_b32 s4, s18, 11
	s_mov_b32 s5, s19
	s_lshr_b64 s[6:7], s[20:21], 11
	s_lshl_b64 s[2:3], s[4:5], 3
	s_delay_alu instid0(SALU_CYCLE_1)
	s_add_u32 s16, s24, s2
	s_addc_u32 s17, s25, s3
	s_cmp_lg_u64 s[6:7], s[18:19]
	s_cbranch_scc0 .LBB319_551
; %bb.546:
	v_lshlrev_b32_e32 v9, 3, v0
	global_load_b64 v[1:2], v9, s[16:17]
	s_waitcnt lgkmcnt(0)
	s_clause 0x1
	global_load_b64 v[3:4], v9, s[16:17] offset:1024
	global_load_b64 v[5:6], v9, s[16:17] offset:2048
	v_add_co_u32 v25, s2, s16, v9
	s_delay_alu instid0(VALU_DEP_1) | instskip(NEXT) | instid1(VALU_DEP_2)
	v_add_co_ci_u32_e64 v26, null, s17, 0, s2
	v_add_co_u32 v7, vcc_lo, v25, 0x2000
	s_delay_alu instid0(VALU_DEP_2)
	v_add_co_ci_u32_e32 v8, vcc_lo, 0, v26, vcc_lo
	s_clause 0x1
	global_load_b64 v[9:10], v9, s[16:17] offset:3072
	global_load_b64 v[11:12], v[7:8], off offset:-4096
	v_add_co_u32 v13, vcc_lo, 0x1000, v25
	v_add_co_ci_u32_e32 v14, vcc_lo, 0, v26, vcc_lo
	s_clause 0x3
	global_load_b64 v[15:16], v[13:14], off offset:1024
	global_load_b64 v[17:18], v[13:14], off offset:2048
	;; [unrolled: 1-line block ×3, first 2 shown]
	global_load_b64 v[7:8], v[7:8], off
	v_add_co_u32 v19, vcc_lo, 0x2000, v25
	v_add_co_ci_u32_e32 v20, vcc_lo, 0, v26, vcc_lo
	s_clause 0x2
	global_load_b64 v[21:22], v[19:20], off offset:1024
	global_load_b64 v[23:24], v[19:20], off offset:2048
	;; [unrolled: 1-line block ×3, first 2 shown]
	v_add_co_u32 v25, vcc_lo, 0x3000, v25
	v_add_co_ci_u32_e32 v26, vcc_lo, 0, v26, vcc_lo
	s_clause 0x3
	global_load_b64 v[27:28], v[25:26], off
	global_load_b64 v[29:30], v[25:26], off offset:1024
	global_load_b64 v[31:32], v[25:26], off offset:2048
	;; [unrolled: 1-line block ×3, first 2 shown]
	s_waitcnt vmcnt(15)
	v_cmp_neq_f64_e32 vcc_lo, 0, v[1:2]
	v_cndmask_b32_e64 v1, 0, 1, vcc_lo
	s_waitcnt vmcnt(14)
	v_cmp_neq_f64_e32 vcc_lo, 0, v[3:4]
	v_cndmask_b32_e64 v2, 0, 1, vcc_lo
	s_waitcnt vmcnt(13)
	v_cmp_neq_f64_e32 vcc_lo, 0, v[5:6]
	s_delay_alu instid0(VALU_DEP_2) | instskip(NEXT) | instid1(VALU_DEP_1)
	v_add_co_u32 v1, s2, v2, v1
	v_add_co_ci_u32_e64 v4, null, 0, 0, s2
	s_waitcnt vmcnt(11)
	v_cmp_neq_f64_e64 s2, 0, v[11:12]
	v_cndmask_b32_e64 v3, 0, 1, vcc_lo
	v_cmp_neq_f64_e32 vcc_lo, 0, v[9:10]
	v_cndmask_b32_e64 v2, 0, 1, vcc_lo
	s_delay_alu instid0(VALU_DEP_3)
	v_add_co_u32 v1, vcc_lo, v1, v3
	v_cndmask_b32_e64 v3, 0, 1, s2
	s_waitcnt vmcnt(10)
	v_cmp_neq_f64_e64 s2, 0, v[15:16]
	v_add_co_ci_u32_e32 v4, vcc_lo, 0, v4, vcc_lo
	v_add_co_u32 v1, vcc_lo, v1, v2
	s_delay_alu instid0(VALU_DEP_2) | instskip(NEXT) | instid1(VALU_DEP_2)
	v_add_co_ci_u32_e32 v4, vcc_lo, 0, v4, vcc_lo
	v_add_co_u32 v1, vcc_lo, v1, v3
	s_delay_alu instid0(VALU_DEP_2) | instskip(SKIP_3) | instid1(VALU_DEP_2)
	v_add_co_ci_u32_e32 v4, vcc_lo, 0, v4, vcc_lo
	v_cndmask_b32_e64 v2, 0, 1, s2
	s_waitcnt vmcnt(9)
	v_cmp_neq_f64_e64 s2, 0, v[17:18]
	v_add_co_u32 v1, vcc_lo, v1, v2
	v_add_co_ci_u32_e32 v4, vcc_lo, 0, v4, vcc_lo
	s_delay_alu instid0(VALU_DEP_3) | instskip(SKIP_2) | instid1(VALU_DEP_2)
	v_cndmask_b32_e64 v3, 0, 1, s2
	s_waitcnt vmcnt(8)
	v_cmp_neq_f64_e64 s2, 0, v[13:14]
	v_add_co_u32 v1, vcc_lo, v1, v3
	v_add_co_ci_u32_e32 v4, vcc_lo, 0, v4, vcc_lo
	s_delay_alu instid0(VALU_DEP_3) | instskip(SKIP_2) | instid1(VALU_DEP_2)
	;; [unrolled: 6-line block ×9, first 2 shown]
	v_cndmask_b32_e64 v3, 0, 1, s2
	s_waitcnt vmcnt(0)
	v_cmp_neq_f64_e64 s2, 0, v[25:26]
	v_add_co_u32 v1, vcc_lo, v1, v3
	v_add_co_ci_u32_e32 v3, vcc_lo, 0, v4, vcc_lo
	v_mov_b32_e32 v4, 0
	s_delay_alu instid0(VALU_DEP_4) | instskip(SKIP_1) | instid1(VALU_DEP_1)
	v_cndmask_b32_e64 v2, 0, 1, s2
	s_mov_b32 s2, exec_lo
	v_add_co_u32 v1, vcc_lo, v1, v2
	v_add_co_ci_u32_e32 v2, vcc_lo, 0, v3, vcc_lo
	s_delay_alu instid0(VALU_DEP_2) | instskip(NEXT) | instid1(VALU_DEP_1)
	v_mov_b32_dpp v3, v1 quad_perm:[1,0,3,2] row_mask:0xf bank_mask:0xf
	v_add_co_u32 v1, vcc_lo, v1, v3
	v_mov_b32_dpp v3, v4 quad_perm:[1,0,3,2] row_mask:0xf bank_mask:0xf
	s_delay_alu instid0(VALU_DEP_4) | instskip(NEXT) | instid1(VALU_DEP_3)
	v_add_co_ci_u32_e32 v2, vcc_lo, 0, v2, vcc_lo
	v_mov_b32_dpp v5, v1 quad_perm:[2,3,0,1] row_mask:0xf bank_mask:0xf
	v_add_co_u32 v1, vcc_lo, 0, v1
	s_delay_alu instid0(VALU_DEP_3) | instskip(NEXT) | instid1(VALU_DEP_2)
	v_add_co_ci_u32_e32 v2, vcc_lo, v3, v2, vcc_lo
	v_add_co_u32 v1, vcc_lo, v1, v5
	s_delay_alu instid0(VALU_DEP_2) | instskip(SKIP_1) | instid1(VALU_DEP_3)
	v_mov_b32_dpp v3, v2 quad_perm:[2,3,0,1] row_mask:0xf bank_mask:0xf
	v_add_co_ci_u32_e32 v2, vcc_lo, 0, v2, vcc_lo
	v_mov_b32_dpp v5, v1 row_ror:4 row_mask:0xf bank_mask:0xf
	v_add_co_u32 v1, vcc_lo, v1, 0
	s_delay_alu instid0(VALU_DEP_3) | instskip(NEXT) | instid1(VALU_DEP_2)
	v_add_co_ci_u32_e32 v2, vcc_lo, v2, v3, vcc_lo
	v_add_co_u32 v1, vcc_lo, v1, v5
	s_delay_alu instid0(VALU_DEP_2) | instskip(SKIP_1) | instid1(VALU_DEP_3)
	v_mov_b32_dpp v3, v2 row_ror:4 row_mask:0xf bank_mask:0xf
	v_add_co_ci_u32_e32 v2, vcc_lo, 0, v2, vcc_lo
	v_mov_b32_dpp v5, v1 row_ror:8 row_mask:0xf bank_mask:0xf
	v_add_co_u32 v1, vcc_lo, v1, 0
	s_delay_alu instid0(VALU_DEP_3) | instskip(NEXT) | instid1(VALU_DEP_2)
	v_add_co_ci_u32_e32 v2, vcc_lo, v2, v3, vcc_lo
	v_add_co_u32 v1, vcc_lo, v1, v5
	s_delay_alu instid0(VALU_DEP_2)
	v_mov_b32_dpp v3, v2 row_ror:8 row_mask:0xf bank_mask:0xf
	v_add_co_ci_u32_e32 v2, vcc_lo, 0, v2, vcc_lo
	ds_swizzle_b32 v5, v1 offset:swizzle(BROADCAST,32,15)
	v_add_co_u32 v1, vcc_lo, v1, 0
	v_add_co_ci_u32_e32 v2, vcc_lo, v2, v3, vcc_lo
	ds_swizzle_b32 v3, v2 offset:swizzle(BROADCAST,32,15)
	s_waitcnt lgkmcnt(1)
	v_add_co_u32 v1, vcc_lo, v1, v5
	v_add_co_ci_u32_e32 v2, vcc_lo, 0, v2, vcc_lo
	ds_bpermute_b32 v1, v4, v1 offset:124
	s_waitcnt lgkmcnt(1)
	v_add_nc_u32_e32 v2, v3, v2
	v_mbcnt_lo_u32_b32 v3, -1, 0
	ds_bpermute_b32 v2, v4, v2 offset:124
	v_cmpx_eq_u32_e32 0, v3
	s_cbranch_execz .LBB319_548
; %bb.547:
	v_lshrrev_b32_e32 v4, 2, v0
	s_delay_alu instid0(VALU_DEP_1)
	v_and_b32_e32 v4, 24, v4
	s_waitcnt lgkmcnt(0)
	ds_store_b64 v4, v[1:2] offset:32
.LBB319_548:
	s_or_b32 exec_lo, exec_lo, s2
	s_delay_alu instid0(SALU_CYCLE_1)
	s_mov_b32 s2, exec_lo
	s_waitcnt lgkmcnt(0)
	s_barrier
	buffer_gl0_inv
	v_cmpx_gt_u32_e32 32, v0
	s_cbranch_execz .LBB319_550
; %bb.549:
	v_and_b32_e32 v4, 3, v3
	s_delay_alu instid0(VALU_DEP_1) | instskip(SKIP_4) | instid1(VALU_DEP_2)
	v_lshlrev_b32_e32 v1, 3, v4
	v_cmp_ne_u32_e32 vcc_lo, 3, v4
	ds_load_b64 v[1:2], v1 offset:32
	v_add_co_ci_u32_e32 v5, vcc_lo, 0, v3, vcc_lo
	v_cmp_gt_u32_e32 vcc_lo, 2, v4
	v_lshlrev_b32_e32 v5, 2, v5
	v_cndmask_b32_e64 v4, 0, 1, vcc_lo
	s_delay_alu instid0(VALU_DEP_1) | instskip(NEXT) | instid1(VALU_DEP_1)
	v_lshlrev_b32_e32 v4, 1, v4
	v_add_lshl_u32 v3, v4, v3, 2
	s_waitcnt lgkmcnt(0)
	ds_bpermute_b32 v6, v5, v1
	ds_bpermute_b32 v5, v5, v2
	s_waitcnt lgkmcnt(1)
	v_add_co_u32 v1, vcc_lo, v1, v6
	v_add_co_ci_u32_e32 v2, vcc_lo, 0, v2, vcc_lo
	ds_bpermute_b32 v4, v3, v1
	v_add_co_u32 v1, vcc_lo, 0, v1
	s_waitcnt lgkmcnt(1)
	v_add_co_ci_u32_e32 v2, vcc_lo, v5, v2, vcc_lo
	ds_bpermute_b32 v3, v3, v2
	s_waitcnt lgkmcnt(1)
	v_add_co_u32 v1, vcc_lo, v1, v4
	v_add_co_ci_u32_e32 v2, vcc_lo, 0, v2, vcc_lo
	s_delay_alu instid0(VALU_DEP_2) | instskip(SKIP_1) | instid1(VALU_DEP_2)
	v_add_co_u32 v1, vcc_lo, v1, 0
	s_waitcnt lgkmcnt(0)
	v_add_co_ci_u32_e32 v2, vcc_lo, v2, v3, vcc_lo
.LBB319_550:
	s_or_b32 exec_lo, exec_lo, s2
	s_mov_b32 s2, 0
	s_branch .LBB319_552
.LBB319_551:
	s_mov_b32 s2, -1
                                        ; implicit-def: $vgpr1_vgpr2
.LBB319_552:
	s_delay_alu instid0(SALU_CYCLE_1)
	s_and_b32 vcc_lo, exec_lo, s2
	s_cbranch_vccz .LBB319_604
; %bb.553:
	s_sub_i32 s27, s20, s4
	s_mov_b32 s2, exec_lo
                                        ; implicit-def: $vgpr1_vgpr2_vgpr3_vgpr4_vgpr5_vgpr6_vgpr7_vgpr8_vgpr9_vgpr10_vgpr11_vgpr12_vgpr13_vgpr14_vgpr15_vgpr16_vgpr17_vgpr18_vgpr19_vgpr20_vgpr21_vgpr22_vgpr23_vgpr24_vgpr25_vgpr26_vgpr27_vgpr28_vgpr29_vgpr30_vgpr31_vgpr32
	v_cmpx_gt_u32_e64 s27, v0
	s_cbranch_execz .LBB319_555
; %bb.554:
	v_lshlrev_b32_e32 v1, 3, v0
	global_load_b64 v[1:2], v1, s[16:17]
	s_waitcnt vmcnt(0)
	v_cmp_neq_f64_e32 vcc_lo, 0, v[1:2]
	v_mov_b32_e32 v2, 0
	v_cndmask_b32_e64 v1, 0, 1, vcc_lo
.LBB319_555:
	s_or_b32 exec_lo, exec_lo, s2
	v_or_b32_e32 v33, 0x80, v0
	s_delay_alu instid0(VALU_DEP_1)
	v_cmp_gt_u32_e32 vcc_lo, s27, v33
	s_and_saveexec_b32 s3, vcc_lo
	s_cbranch_execz .LBB319_557
; %bb.556:
	s_waitcnt lgkmcnt(0)
	v_lshlrev_b32_e32 v3, 3, v0
	global_load_b64 v[3:4], v3, s[16:17] offset:1024
	s_waitcnt vmcnt(0)
	v_cmp_neq_f64_e64 s2, 0, v[3:4]
	v_mov_b32_e32 v4, 0
	s_delay_alu instid0(VALU_DEP_2)
	v_cndmask_b32_e64 v3, 0, 1, s2
.LBB319_557:
	s_or_b32 exec_lo, exec_lo, s3
	v_or_b32_e32 v33, 0x100, v0
	s_delay_alu instid0(VALU_DEP_1) | instskip(NEXT) | instid1(VALU_DEP_1)
	v_cmp_gt_u32_e64 s2, s27, v33
	s_and_saveexec_b32 s4, s2
	s_cbranch_execz .LBB319_559
; %bb.558:
	s_waitcnt lgkmcnt(1)
	v_lshlrev_b32_e32 v5, 3, v0
	global_load_b64 v[5:6], v5, s[16:17] offset:2048
	s_waitcnt vmcnt(0)
	v_cmp_neq_f64_e64 s3, 0, v[5:6]
	v_mov_b32_e32 v6, 0
	s_delay_alu instid0(VALU_DEP_2)
	v_cndmask_b32_e64 v5, 0, 1, s3
.LBB319_559:
	s_or_b32 exec_lo, exec_lo, s4
	v_or_b32_e32 v33, 0x180, v0
	s_delay_alu instid0(VALU_DEP_1) | instskip(NEXT) | instid1(VALU_DEP_1)
	v_cmp_gt_u32_e64 s3, s27, v33
	s_and_saveexec_b32 s5, s3
	s_cbranch_execz .LBB319_561
; %bb.560:
	v_lshlrev_b32_e32 v7, 3, v0
	global_load_b64 v[7:8], v7, s[16:17] offset:3072
	s_waitcnt vmcnt(0)
	v_cmp_neq_f64_e64 s4, 0, v[7:8]
	v_mov_b32_e32 v8, 0
	s_delay_alu instid0(VALU_DEP_2)
	v_cndmask_b32_e64 v7, 0, 1, s4
.LBB319_561:
	s_or_b32 exec_lo, exec_lo, s5
	v_or_b32_e32 v33, 0x200, v0
	s_delay_alu instid0(VALU_DEP_1) | instskip(NEXT) | instid1(VALU_DEP_1)
	v_cmp_gt_u32_e64 s4, s27, v33
	s_and_saveexec_b32 s6, s4
	s_cbranch_execz .LBB319_563
; %bb.562:
	v_lshlrev_b32_e32 v9, 3, v33
	global_load_b64 v[9:10], v9, s[16:17]
	s_waitcnt vmcnt(0)
	v_cmp_neq_f64_e64 s5, 0, v[9:10]
	v_mov_b32_e32 v10, 0
	s_delay_alu instid0(VALU_DEP_2)
	v_cndmask_b32_e64 v9, 0, 1, s5
.LBB319_563:
	s_or_b32 exec_lo, exec_lo, s6
	v_or_b32_e32 v33, 0x280, v0
	s_delay_alu instid0(VALU_DEP_1) | instskip(NEXT) | instid1(VALU_DEP_1)
	v_cmp_gt_u32_e64 s5, s27, v33
	s_and_saveexec_b32 s7, s5
	s_cbranch_execz .LBB319_565
; %bb.564:
	v_lshlrev_b32_e32 v11, 3, v33
	global_load_b64 v[11:12], v11, s[16:17]
	s_waitcnt vmcnt(0)
	v_cmp_neq_f64_e64 s6, 0, v[11:12]
	v_mov_b32_e32 v12, 0
	s_delay_alu instid0(VALU_DEP_2)
	v_cndmask_b32_e64 v11, 0, 1, s6
.LBB319_565:
	;; [unrolled: 15-line block ×12, first 2 shown]
	s_or_b32 exec_lo, exec_lo, s28
	s_waitcnt lgkmcnt(0)
	v_dual_cndmask_b32 v3, 0, v3 :: v_dual_cndmask_b32 v4, 0, v4
	v_cndmask_b32_e64 v5, 0, v5, s2
	v_cndmask_b32_e64 v6, 0, v6, s2
	s_min_u32 s2, s27, 0x80
	s_delay_alu instid0(VALU_DEP_3) | instskip(SKIP_2) | instid1(VALU_DEP_3)
	v_add_co_u32 v1, vcc_lo, v3, v1
	v_add_co_ci_u32_e32 v2, vcc_lo, v4, v2, vcc_lo
	v_cndmask_b32_e64 v3, 0, v7, s3
	v_add_co_u32 v1, vcc_lo, v1, v5
	s_delay_alu instid0(VALU_DEP_3) | instskip(SKIP_2) | instid1(VALU_DEP_4)
	v_add_co_ci_u32_e32 v2, vcc_lo, v2, v6, vcc_lo
	v_cndmask_b32_e64 v4, 0, v8, s3
	v_cndmask_b32_e64 v5, 0, v9, s4
	v_add_co_u32 v1, vcc_lo, v1, v3
	v_cndmask_b32_e64 v3, 0, v10, s4
	s_delay_alu instid0(VALU_DEP_4) | instskip(SKIP_1) | instid1(VALU_DEP_4)
	v_add_co_ci_u32_e32 v2, vcc_lo, v2, v4, vcc_lo
	v_cndmask_b32_e64 v4, 0, v11, s5
	v_add_co_u32 v1, vcc_lo, v1, v5
	s_delay_alu instid0(VALU_DEP_3) | instskip(SKIP_2) | instid1(VALU_DEP_4)
	v_add_co_ci_u32_e32 v2, vcc_lo, v2, v3, vcc_lo
	v_cndmask_b32_e64 v3, 0, v12, s5
	v_cndmask_b32_e64 v5, 0, v13, s6
	v_add_co_u32 v1, vcc_lo, v1, v4
	v_cndmask_b32_e64 v4, 0, v15, s7
	s_delay_alu instid0(VALU_DEP_4) | instskip(SKIP_1) | instid1(VALU_DEP_4)
	v_add_co_ci_u32_e32 v2, vcc_lo, v2, v3, vcc_lo
	v_cndmask_b32_e64 v3, 0, v14, s6
	v_add_co_u32 v1, vcc_lo, v1, v5
	v_cndmask_b32_e64 v5, 0, v17, s8
	v_cndmask_b32_e64 v6, 0, v31, s15
	s_delay_alu instid0(VALU_DEP_4) | instskip(SKIP_3) | instid1(VALU_DEP_3)
	v_add_co_ci_u32_e32 v2, vcc_lo, v2, v3, vcc_lo
	v_cndmask_b32_e64 v3, 0, v16, s7
	v_add_co_u32 v1, vcc_lo, v1, v4
	v_cndmask_b32_e64 v4, 0, v19, s9
	v_add_co_ci_u32_e32 v2, vcc_lo, v2, v3, vcc_lo
	v_cndmask_b32_e64 v3, 0, v18, s8
	s_delay_alu instid0(VALU_DEP_4) | instskip(SKIP_1) | instid1(VALU_DEP_3)
	v_add_co_u32 v1, vcc_lo, v1, v5
	v_cndmask_b32_e64 v5, 0, v21, s10
	v_add_co_ci_u32_e32 v2, vcc_lo, v2, v3, vcc_lo
	v_cndmask_b32_e64 v3, 0, v20, s9
	s_delay_alu instid0(VALU_DEP_4) | instskip(SKIP_1) | instid1(VALU_DEP_3)
	;; [unrolled: 5-line block ×5, first 2 shown]
	v_add_co_u32 v1, vcc_lo, v1, v5
	v_cndmask_b32_e64 v5, 0, v28, s13
	v_add_co_ci_u32_e32 v2, vcc_lo, v2, v3, vcc_lo
	v_mbcnt_lo_u32_b32 v3, -1, 0
	s_delay_alu instid0(VALU_DEP_4) | instskip(NEXT) | instid1(VALU_DEP_3)
	v_add_co_u32 v1, vcc_lo, v1, v4
	v_add_co_ci_u32_e32 v2, vcc_lo, v2, v5, vcc_lo
	s_delay_alu instid0(VALU_DEP_3) | instskip(SKIP_3) | instid1(VALU_DEP_3)
	v_cmp_ne_u32_e32 vcc_lo, 31, v3
	v_cndmask_b32_e64 v5, 0, v29, s14
	v_cndmask_b32_e64 v4, 0, v30, s14
	v_add_co_ci_u32_e32 v7, vcc_lo, 0, v3, vcc_lo
	v_add_co_u32 v1, vcc_lo, v1, v5
	s_delay_alu instid0(VALU_DEP_3) | instskip(SKIP_1) | instid1(VALU_DEP_3)
	v_add_co_ci_u32_e32 v2, vcc_lo, v2, v4, vcc_lo
	v_cndmask_b32_e64 v4, 0, v32, s15
	v_add_co_u32 v1, vcc_lo, v1, v6
	v_lshlrev_b32_e32 v5, 2, v7
	s_delay_alu instid0(VALU_DEP_3)
	v_add_co_ci_u32_e32 v2, vcc_lo, v2, v4, vcc_lo
	v_and_b32_e32 v4, 0x60, v0
	ds_bpermute_b32 v7, v5, v1
	ds_bpermute_b32 v6, v5, v2
	v_add_nc_u32_e32 v5, 1, v3
	v_sub_nc_u32_e64 v4, s2, v4 clamp
	s_delay_alu instid0(VALU_DEP_1)
	v_cmp_lt_u32_e32 vcc_lo, v5, v4
	v_mov_b32_e32 v5, v1
	s_and_saveexec_b32 s3, vcc_lo
	s_cbranch_execz .LBB319_587
; %bb.586:
	s_waitcnt lgkmcnt(1)
	v_add_co_u32 v5, vcc_lo, v1, v7
	v_add_co_ci_u32_e32 v2, vcc_lo, 0, v2, vcc_lo
	s_delay_alu instid0(VALU_DEP_2) | instskip(SKIP_1) | instid1(VALU_DEP_2)
	v_add_co_u32 v1, vcc_lo, v5, 0
	s_waitcnt lgkmcnt(0)
	v_add_co_ci_u32_e32 v2, vcc_lo, v2, v6, vcc_lo
.LBB319_587:
	s_or_b32 exec_lo, exec_lo, s3
	v_cmp_gt_u32_e32 vcc_lo, 30, v3
	v_add_nc_u32_e32 v8, 2, v3
	s_mov_b32 s3, exec_lo
	s_waitcnt lgkmcnt(0)
	v_cndmask_b32_e64 v6, 0, 1, vcc_lo
	s_delay_alu instid0(VALU_DEP_1) | instskip(NEXT) | instid1(VALU_DEP_1)
	v_lshlrev_b32_e32 v6, 1, v6
	v_add_lshl_u32 v6, v6, v3, 2
	ds_bpermute_b32 v7, v6, v5
	ds_bpermute_b32 v6, v6, v2
	v_cmpx_lt_u32_e64 v8, v4
	s_cbranch_execz .LBB319_589
; %bb.588:
	s_waitcnt lgkmcnt(1)
	v_add_co_u32 v5, vcc_lo, v1, v7
	v_add_co_ci_u32_e32 v2, vcc_lo, 0, v2, vcc_lo
	s_delay_alu instid0(VALU_DEP_2) | instskip(SKIP_1) | instid1(VALU_DEP_2)
	v_add_co_u32 v1, vcc_lo, 0, v5
	s_waitcnt lgkmcnt(0)
	v_add_co_ci_u32_e32 v2, vcc_lo, v6, v2, vcc_lo
.LBB319_589:
	s_or_b32 exec_lo, exec_lo, s3
	v_cmp_gt_u32_e32 vcc_lo, 28, v3
	v_add_nc_u32_e32 v8, 4, v3
	s_mov_b32 s3, exec_lo
	s_waitcnt lgkmcnt(0)
	v_cndmask_b32_e64 v6, 0, 1, vcc_lo
	s_delay_alu instid0(VALU_DEP_1) | instskip(NEXT) | instid1(VALU_DEP_1)
	v_lshlrev_b32_e32 v6, 2, v6
	v_add_lshl_u32 v6, v6, v3, 2
	ds_bpermute_b32 v7, v6, v5
	ds_bpermute_b32 v6, v6, v2
	v_cmpx_lt_u32_e64 v8, v4
	;; [unrolled: 22-line block ×3, first 2 shown]
	s_cbranch_execz .LBB319_593
; %bb.592:
	s_waitcnt lgkmcnt(1)
	v_add_co_u32 v5, vcc_lo, v1, v7
	v_add_co_ci_u32_e32 v2, vcc_lo, 0, v2, vcc_lo
	s_delay_alu instid0(VALU_DEP_2) | instskip(SKIP_1) | instid1(VALU_DEP_2)
	v_add_co_u32 v1, vcc_lo, 0, v5
	s_waitcnt lgkmcnt(0)
	v_add_co_ci_u32_e32 v2, vcc_lo, v6, v2, vcc_lo
.LBB319_593:
	s_or_b32 exec_lo, exec_lo, s3
	v_cmp_gt_u32_e32 vcc_lo, 16, v3
	s_mov_b32 s3, exec_lo
	s_waitcnt lgkmcnt(0)
	v_cndmask_b32_e64 v6, 0, 1, vcc_lo
	s_delay_alu instid0(VALU_DEP_1) | instskip(NEXT) | instid1(VALU_DEP_1)
	v_lshlrev_b32_e32 v6, 4, v6
	v_add_lshl_u32 v7, v6, v3, 2
	ds_bpermute_b32 v6, v7, v5
	ds_bpermute_b32 v5, v7, v2
	v_add_nc_u32_e32 v7, 16, v3
	s_delay_alu instid0(VALU_DEP_1)
	v_cmpx_lt_u32_e64 v7, v4
	s_cbranch_execz .LBB319_595
; %bb.594:
	s_waitcnt lgkmcnt(1)
	v_add_co_u32 v1, vcc_lo, v1, v6
	v_add_co_ci_u32_e32 v2, vcc_lo, 0, v2, vcc_lo
	s_delay_alu instid0(VALU_DEP_2) | instskip(SKIP_1) | instid1(VALU_DEP_2)
	v_add_co_u32 v1, vcc_lo, v1, 0
	s_waitcnt lgkmcnt(0)
	v_add_co_ci_u32_e32 v2, vcc_lo, v2, v5, vcc_lo
.LBB319_595:
	s_or_b32 exec_lo, exec_lo, s3
	s_delay_alu instid0(SALU_CYCLE_1)
	s_mov_b32 s3, exec_lo
	v_cmpx_eq_u32_e32 0, v3
	s_cbranch_execz .LBB319_597
; %bb.596:
	v_lshrrev_b32_e32 v4, 2, v0
	s_delay_alu instid0(VALU_DEP_1)
	v_and_b32_e32 v4, 24, v4
	ds_store_b64 v4, v[1:2] offset:256
.LBB319_597:
	s_or_b32 exec_lo, exec_lo, s3
	s_delay_alu instid0(SALU_CYCLE_1)
	s_mov_b32 s3, exec_lo
	s_waitcnt lgkmcnt(0)
	s_barrier
	buffer_gl0_inv
	v_cmpx_gt_u32_e32 4, v0
	s_cbranch_execz .LBB319_603
; %bb.598:
	v_lshlrev_b32_e32 v1, 3, v3
	s_add_i32 s2, s2, 31
	s_delay_alu instid0(SALU_CYCLE_1) | instskip(SKIP_2) | instid1(VALU_DEP_1)
	s_lshr_b32 s2, s2, 5
	ds_load_b64 v[1:2], v1 offset:256
	v_and_b32_e32 v4, 3, v3
	v_cmp_ne_u32_e32 vcc_lo, 3, v4
	v_add_co_ci_u32_e32 v5, vcc_lo, 0, v3, vcc_lo
	s_delay_alu instid0(VALU_DEP_1) | instskip(SKIP_4) | instid1(VALU_DEP_1)
	v_lshlrev_b32_e32 v5, 2, v5
	s_waitcnt lgkmcnt(0)
	ds_bpermute_b32 v7, v5, v1
	ds_bpermute_b32 v6, v5, v2
	v_add_nc_u32_e32 v5, 1, v4
	v_cmp_gt_u32_e32 vcc_lo, s2, v5
	v_mov_b32_e32 v5, v1
	s_and_saveexec_b32 s4, vcc_lo
	s_cbranch_execz .LBB319_600
; %bb.599:
	s_waitcnt lgkmcnt(1)
	v_add_co_u32 v5, vcc_lo, v1, v7
	v_add_co_ci_u32_e32 v2, vcc_lo, 0, v2, vcc_lo
	s_delay_alu instid0(VALU_DEP_2) | instskip(SKIP_1) | instid1(VALU_DEP_2)
	v_add_co_u32 v1, vcc_lo, 0, v5
	s_waitcnt lgkmcnt(0)
	v_add_co_ci_u32_e32 v2, vcc_lo, v6, v2, vcc_lo
.LBB319_600:
	s_or_b32 exec_lo, exec_lo, s4
	v_cmp_gt_u32_e32 vcc_lo, 2, v4
	v_add_nc_u32_e32 v4, 2, v4
	s_waitcnt lgkmcnt(0)
	v_cndmask_b32_e64 v6, 0, 1, vcc_lo
	s_delay_alu instid0(VALU_DEP_2) | instskip(NEXT) | instid1(VALU_DEP_2)
	v_cmp_gt_u32_e32 vcc_lo, s2, v4
	v_lshlrev_b32_e32 v6, 1, v6
	s_delay_alu instid0(VALU_DEP_1)
	v_add_lshl_u32 v3, v6, v3, 2
	ds_bpermute_b32 v5, v3, v5
	ds_bpermute_b32 v3, v3, v2
	s_and_saveexec_b32 s2, vcc_lo
	s_cbranch_execz .LBB319_602
; %bb.601:
	s_waitcnt lgkmcnt(1)
	v_add_co_u32 v1, vcc_lo, v1, v5
	v_add_co_ci_u32_e32 v2, vcc_lo, 0, v2, vcc_lo
	s_delay_alu instid0(VALU_DEP_2) | instskip(SKIP_1) | instid1(VALU_DEP_2)
	v_add_co_u32 v1, vcc_lo, v1, 0
	s_waitcnt lgkmcnt(0)
	v_add_co_ci_u32_e32 v2, vcc_lo, v2, v3, vcc_lo
.LBB319_602:
	s_or_b32 exec_lo, exec_lo, s2
.LBB319_603:
	s_delay_alu instid0(SALU_CYCLE_1)
	s_or_b32 exec_lo, exec_lo, s3
.LBB319_604:
	v_cmp_eq_u32_e64 s2, 0, v0
.LBB319_605:
	s_branch .LBB319_758
.LBB319_606:
	s_cmp_gt_i32 s26, 3
	s_cbranch_scc0 .LBB319_616
; %bb.607:
	s_cmp_gt_i32 s26, 7
	s_cbranch_scc0 .LBB319_617
; %bb.608:
	s_cmp_eq_u32 s26, 8
                                        ; implicit-def: $vgpr1_vgpr2
	s_cbranch_scc0 .LBB319_618
; %bb.609:
	s_mov_b32 s19, 0
	s_lshl_b32 s4, s18, 10
	s_mov_b32 s5, s19
	s_lshr_b64 s[6:7], s[20:21], 10
	s_lshl_b64 s[2:3], s[4:5], 3
	s_delay_alu instid0(SALU_CYCLE_1)
	s_add_u32 s8, s24, s2
	s_addc_u32 s9, s25, s3
	s_cmp_lg_u64 s[6:7], s[18:19]
	s_cbranch_scc0 .LBB319_619
; %bb.610:
	v_lshlrev_b32_e32 v7, 3, v0
	global_load_b64 v[1:2], v7, s[8:9]
	s_waitcnt lgkmcnt(0)
	global_load_b64 v[3:4], v7, s[8:9] offset:1024
	v_add_co_u32 v9, s2, s8, v7
	s_clause 0x1
	global_load_b64 v[5:6], v7, s[8:9] offset:2048
	global_load_b64 v[7:8], v7, s[8:9] offset:3072
	v_add_co_ci_u32_e64 v10, null, s9, 0, s2
	v_add_co_u32 v9, vcc_lo, 0x1000, v9
	s_delay_alu instid0(VALU_DEP_2)
	v_add_co_ci_u32_e32 v10, vcc_lo, 0, v10, vcc_lo
	s_clause 0x3
	global_load_b64 v[11:12], v[9:10], off
	global_load_b64 v[13:14], v[9:10], off offset:1024
	global_load_b64 v[15:16], v[9:10], off offset:2048
	;; [unrolled: 1-line block ×3, first 2 shown]
	s_waitcnt vmcnt(7)
	v_cmp_neq_f64_e32 vcc_lo, 0, v[1:2]
	v_cndmask_b32_e64 v1, 0, 1, vcc_lo
	s_waitcnt vmcnt(6)
	v_cmp_neq_f64_e32 vcc_lo, 0, v[3:4]
	v_cndmask_b32_e64 v2, 0, 1, vcc_lo
	s_waitcnt vmcnt(5)
	v_cmp_neq_f64_e32 vcc_lo, 0, v[5:6]
	s_delay_alu instid0(VALU_DEP_2) | instskip(NEXT) | instid1(VALU_DEP_1)
	v_add_co_u32 v1, s2, v2, v1
	v_add_co_ci_u32_e64 v4, null, 0, 0, s2
	s_waitcnt vmcnt(3)
	v_cmp_neq_f64_e64 s2, 0, v[11:12]
	v_cndmask_b32_e64 v3, 0, 1, vcc_lo
	v_cmp_neq_f64_e32 vcc_lo, 0, v[7:8]
	v_cndmask_b32_e64 v2, 0, 1, vcc_lo
	s_delay_alu instid0(VALU_DEP_3)
	v_add_co_u32 v1, vcc_lo, v1, v3
	v_cndmask_b32_e64 v3, 0, 1, s2
	s_waitcnt vmcnt(2)
	v_cmp_neq_f64_e64 s2, 0, v[13:14]
	v_add_co_ci_u32_e32 v4, vcc_lo, 0, v4, vcc_lo
	v_add_co_u32 v1, vcc_lo, v1, v2
	s_delay_alu instid0(VALU_DEP_2) | instskip(NEXT) | instid1(VALU_DEP_2)
	v_add_co_ci_u32_e32 v4, vcc_lo, 0, v4, vcc_lo
	v_add_co_u32 v1, vcc_lo, v1, v3
	s_delay_alu instid0(VALU_DEP_2) | instskip(SKIP_3) | instid1(VALU_DEP_2)
	v_add_co_ci_u32_e32 v4, vcc_lo, 0, v4, vcc_lo
	v_cndmask_b32_e64 v2, 0, 1, s2
	s_waitcnt vmcnt(1)
	v_cmp_neq_f64_e64 s2, 0, v[15:16]
	v_add_co_u32 v1, vcc_lo, v1, v2
	v_add_co_ci_u32_e32 v4, vcc_lo, 0, v4, vcc_lo
	s_delay_alu instid0(VALU_DEP_3) | instskip(SKIP_2) | instid1(VALU_DEP_2)
	v_cndmask_b32_e64 v3, 0, 1, s2
	s_waitcnt vmcnt(0)
	v_cmp_neq_f64_e64 s2, 0, v[9:10]
	v_add_co_u32 v1, vcc_lo, v1, v3
	v_add_co_ci_u32_e32 v3, vcc_lo, 0, v4, vcc_lo
	v_mov_b32_e32 v4, 0
	s_delay_alu instid0(VALU_DEP_4) | instskip(SKIP_1) | instid1(VALU_DEP_1)
	v_cndmask_b32_e64 v2, 0, 1, s2
	s_mov_b32 s2, exec_lo
	v_add_co_u32 v1, vcc_lo, v1, v2
	v_add_co_ci_u32_e32 v2, vcc_lo, 0, v3, vcc_lo
	s_delay_alu instid0(VALU_DEP_2) | instskip(NEXT) | instid1(VALU_DEP_1)
	v_mov_b32_dpp v3, v1 quad_perm:[1,0,3,2] row_mask:0xf bank_mask:0xf
	v_add_co_u32 v1, vcc_lo, v1, v3
	v_mov_b32_dpp v3, v4 quad_perm:[1,0,3,2] row_mask:0xf bank_mask:0xf
	s_delay_alu instid0(VALU_DEP_4) | instskip(NEXT) | instid1(VALU_DEP_3)
	v_add_co_ci_u32_e32 v2, vcc_lo, 0, v2, vcc_lo
	v_mov_b32_dpp v5, v1 quad_perm:[2,3,0,1] row_mask:0xf bank_mask:0xf
	v_add_co_u32 v1, vcc_lo, 0, v1
	s_delay_alu instid0(VALU_DEP_3) | instskip(NEXT) | instid1(VALU_DEP_2)
	v_add_co_ci_u32_e32 v2, vcc_lo, v3, v2, vcc_lo
	v_add_co_u32 v1, vcc_lo, v1, v5
	s_delay_alu instid0(VALU_DEP_2) | instskip(SKIP_1) | instid1(VALU_DEP_3)
	v_mov_b32_dpp v3, v2 quad_perm:[2,3,0,1] row_mask:0xf bank_mask:0xf
	v_add_co_ci_u32_e32 v2, vcc_lo, 0, v2, vcc_lo
	v_mov_b32_dpp v5, v1 row_ror:4 row_mask:0xf bank_mask:0xf
	v_add_co_u32 v1, vcc_lo, v1, 0
	s_delay_alu instid0(VALU_DEP_3) | instskip(NEXT) | instid1(VALU_DEP_2)
	v_add_co_ci_u32_e32 v2, vcc_lo, v2, v3, vcc_lo
	v_add_co_u32 v1, vcc_lo, v1, v5
	s_delay_alu instid0(VALU_DEP_2) | instskip(SKIP_1) | instid1(VALU_DEP_3)
	v_mov_b32_dpp v3, v2 row_ror:4 row_mask:0xf bank_mask:0xf
	v_add_co_ci_u32_e32 v2, vcc_lo, 0, v2, vcc_lo
	v_mov_b32_dpp v5, v1 row_ror:8 row_mask:0xf bank_mask:0xf
	v_add_co_u32 v1, vcc_lo, v1, 0
	s_delay_alu instid0(VALU_DEP_3) | instskip(NEXT) | instid1(VALU_DEP_2)
	v_add_co_ci_u32_e32 v2, vcc_lo, v2, v3, vcc_lo
	v_add_co_u32 v1, vcc_lo, v1, v5
	s_delay_alu instid0(VALU_DEP_2)
	v_mov_b32_dpp v3, v2 row_ror:8 row_mask:0xf bank_mask:0xf
	v_add_co_ci_u32_e32 v2, vcc_lo, 0, v2, vcc_lo
	ds_swizzle_b32 v5, v1 offset:swizzle(BROADCAST,32,15)
	v_add_co_u32 v1, vcc_lo, v1, 0
	v_add_co_ci_u32_e32 v2, vcc_lo, v2, v3, vcc_lo
	ds_swizzle_b32 v3, v2 offset:swizzle(BROADCAST,32,15)
	s_waitcnt lgkmcnt(1)
	v_add_co_u32 v1, vcc_lo, v1, v5
	v_add_co_ci_u32_e32 v2, vcc_lo, 0, v2, vcc_lo
	ds_bpermute_b32 v1, v4, v1 offset:124
	s_waitcnt lgkmcnt(1)
	v_add_nc_u32_e32 v2, v3, v2
	v_mbcnt_lo_u32_b32 v3, -1, 0
	ds_bpermute_b32 v2, v4, v2 offset:124
	v_cmpx_eq_u32_e32 0, v3
	s_cbranch_execz .LBB319_612
; %bb.611:
	v_lshrrev_b32_e32 v4, 2, v0
	s_delay_alu instid0(VALU_DEP_1)
	v_and_b32_e32 v4, 24, v4
	s_waitcnt lgkmcnt(0)
	ds_store_b64 v4, v[1:2] offset:224
.LBB319_612:
	s_or_b32 exec_lo, exec_lo, s2
	s_delay_alu instid0(SALU_CYCLE_1)
	s_mov_b32 s2, exec_lo
	s_waitcnt lgkmcnt(0)
	s_barrier
	buffer_gl0_inv
	v_cmpx_gt_u32_e32 32, v0
	s_cbranch_execz .LBB319_614
; %bb.613:
	v_lshl_or_b32 v1, v3, 3, 0xe0
	v_and_b32_e32 v4, 3, v3
	ds_load_b64 v[1:2], v1
	v_cmp_ne_u32_e32 vcc_lo, 3, v4
	v_add_co_ci_u32_e32 v5, vcc_lo, 0, v3, vcc_lo
	v_cmp_gt_u32_e32 vcc_lo, 2, v4
	s_delay_alu instid0(VALU_DEP_2) | instskip(SKIP_1) | instid1(VALU_DEP_1)
	v_lshlrev_b32_e32 v5, 2, v5
	v_cndmask_b32_e64 v4, 0, 1, vcc_lo
	v_lshlrev_b32_e32 v4, 1, v4
	s_waitcnt lgkmcnt(0)
	ds_bpermute_b32 v6, v5, v1
	ds_bpermute_b32 v5, v5, v2
	v_add_lshl_u32 v3, v4, v3, 2
	s_waitcnt lgkmcnt(1)
	v_add_co_u32 v1, vcc_lo, v1, v6
	v_add_co_ci_u32_e32 v2, vcc_lo, 0, v2, vcc_lo
	ds_bpermute_b32 v4, v3, v1
	v_add_co_u32 v1, vcc_lo, 0, v1
	s_waitcnt lgkmcnt(1)
	v_add_co_ci_u32_e32 v2, vcc_lo, v5, v2, vcc_lo
	ds_bpermute_b32 v3, v3, v2
	s_waitcnt lgkmcnt(1)
	v_add_co_u32 v1, vcc_lo, v1, v4
	v_add_co_ci_u32_e32 v2, vcc_lo, 0, v2, vcc_lo
	s_delay_alu instid0(VALU_DEP_2) | instskip(SKIP_1) | instid1(VALU_DEP_2)
	v_add_co_u32 v1, vcc_lo, v1, 0
	s_waitcnt lgkmcnt(0)
	v_add_co_ci_u32_e32 v2, vcc_lo, v2, v3, vcc_lo
.LBB319_614:
	s_or_b32 exec_lo, exec_lo, s2
.LBB319_615:
	v_cmp_eq_u32_e64 s2, 0, v0
	s_branch .LBB319_692
.LBB319_616:
                                        ; implicit-def: $vgpr1_vgpr2
	s_cbranch_execnz .LBB319_693
	s_branch .LBB319_758
.LBB319_617:
                                        ; implicit-def: $vgpr1_vgpr2
	s_cbranch_execnz .LBB319_655
	s_branch .LBB319_692
.LBB319_618:
	s_branch .LBB319_692
.LBB319_619:
                                        ; implicit-def: $vgpr1_vgpr2
	s_cbranch_execz .LBB319_615
; %bb.620:
	s_sub_i32 s10, s20, s4
	s_mov_b32 s2, exec_lo
                                        ; implicit-def: $vgpr1_vgpr2_vgpr3_vgpr4_vgpr5_vgpr6_vgpr7_vgpr8_vgpr9_vgpr10_vgpr11_vgpr12_vgpr13_vgpr14_vgpr15_vgpr16
	v_cmpx_gt_u32_e64 s10, v0
	s_cbranch_execz .LBB319_622
; %bb.621:
	v_lshlrev_b32_e32 v1, 3, v0
	global_load_b64 v[1:2], v1, s[8:9]
	s_waitcnt vmcnt(0)
	v_cmp_neq_f64_e32 vcc_lo, 0, v[1:2]
	v_mov_b32_e32 v2, 0
	v_cndmask_b32_e64 v1, 0, 1, vcc_lo
.LBB319_622:
	s_or_b32 exec_lo, exec_lo, s2
	v_or_b32_e32 v17, 0x80, v0
	s_delay_alu instid0(VALU_DEP_1)
	v_cmp_gt_u32_e32 vcc_lo, s10, v17
	s_and_saveexec_b32 s3, vcc_lo
	s_cbranch_execz .LBB319_624
; %bb.623:
	s_waitcnt lgkmcnt(0)
	v_lshlrev_b32_e32 v3, 3, v0
	global_load_b64 v[3:4], v3, s[8:9] offset:1024
	s_waitcnt vmcnt(0)
	v_cmp_neq_f64_e64 s2, 0, v[3:4]
	v_mov_b32_e32 v4, 0
	s_delay_alu instid0(VALU_DEP_2)
	v_cndmask_b32_e64 v3, 0, 1, s2
.LBB319_624:
	s_or_b32 exec_lo, exec_lo, s3
	v_or_b32_e32 v17, 0x100, v0
	s_delay_alu instid0(VALU_DEP_1) | instskip(NEXT) | instid1(VALU_DEP_1)
	v_cmp_gt_u32_e64 s2, s10, v17
	s_and_saveexec_b32 s4, s2
	s_cbranch_execz .LBB319_626
; %bb.625:
	s_waitcnt lgkmcnt(1)
	v_lshlrev_b32_e32 v5, 3, v0
	global_load_b64 v[5:6], v5, s[8:9] offset:2048
	s_waitcnt vmcnt(0)
	v_cmp_neq_f64_e64 s3, 0, v[5:6]
	v_mov_b32_e32 v6, 0
	s_delay_alu instid0(VALU_DEP_2)
	v_cndmask_b32_e64 v5, 0, 1, s3
.LBB319_626:
	s_or_b32 exec_lo, exec_lo, s4
	v_or_b32_e32 v17, 0x180, v0
	s_delay_alu instid0(VALU_DEP_1) | instskip(NEXT) | instid1(VALU_DEP_1)
	v_cmp_gt_u32_e64 s3, s10, v17
	s_and_saveexec_b32 s5, s3
	s_cbranch_execz .LBB319_628
; %bb.627:
	v_lshlrev_b32_e32 v7, 3, v0
	global_load_b64 v[7:8], v7, s[8:9] offset:3072
	s_waitcnt vmcnt(0)
	v_cmp_neq_f64_e64 s4, 0, v[7:8]
	v_mov_b32_e32 v8, 0
	s_delay_alu instid0(VALU_DEP_2)
	v_cndmask_b32_e64 v7, 0, 1, s4
.LBB319_628:
	s_or_b32 exec_lo, exec_lo, s5
	v_or_b32_e32 v17, 0x200, v0
	s_delay_alu instid0(VALU_DEP_1) | instskip(NEXT) | instid1(VALU_DEP_1)
	v_cmp_gt_u32_e64 s4, s10, v17
	s_and_saveexec_b32 s6, s4
	s_cbranch_execz .LBB319_630
; %bb.629:
	v_lshlrev_b32_e32 v9, 3, v17
	global_load_b64 v[9:10], v9, s[8:9]
	s_waitcnt vmcnt(0)
	v_cmp_neq_f64_e64 s5, 0, v[9:10]
	v_mov_b32_e32 v10, 0
	s_delay_alu instid0(VALU_DEP_2)
	v_cndmask_b32_e64 v9, 0, 1, s5
.LBB319_630:
	s_or_b32 exec_lo, exec_lo, s6
	v_or_b32_e32 v17, 0x280, v0
	s_delay_alu instid0(VALU_DEP_1) | instskip(NEXT) | instid1(VALU_DEP_1)
	v_cmp_gt_u32_e64 s5, s10, v17
	s_and_saveexec_b32 s7, s5
	s_cbranch_execz .LBB319_632
; %bb.631:
	v_lshlrev_b32_e32 v11, 3, v17
	global_load_b64 v[11:12], v11, s[8:9]
	s_waitcnt vmcnt(0)
	v_cmp_neq_f64_e64 s6, 0, v[11:12]
	v_mov_b32_e32 v12, 0
	s_delay_alu instid0(VALU_DEP_2)
	v_cndmask_b32_e64 v11, 0, 1, s6
.LBB319_632:
	;; [unrolled: 15-line block ×4, first 2 shown]
	s_or_b32 exec_lo, exec_lo, s11
	s_waitcnt lgkmcnt(0)
	v_dual_cndmask_b32 v3, 0, v3 :: v_dual_cndmask_b32 v4, 0, v4
	v_cndmask_b32_e64 v5, 0, v5, s2
	v_cndmask_b32_e64 v6, 0, v6, s2
	s_min_u32 s2, s10, 0x80
	s_delay_alu instid0(VALU_DEP_3) | instskip(SKIP_2) | instid1(VALU_DEP_3)
	v_add_co_u32 v1, vcc_lo, v3, v1
	v_add_co_ci_u32_e32 v2, vcc_lo, v4, v2, vcc_lo
	v_cndmask_b32_e64 v3, 0, v7, s3
	v_add_co_u32 v1, vcc_lo, v1, v5
	s_delay_alu instid0(VALU_DEP_3) | instskip(SKIP_2) | instid1(VALU_DEP_4)
	v_add_co_ci_u32_e32 v2, vcc_lo, v2, v6, vcc_lo
	v_cndmask_b32_e64 v4, 0, v8, s3
	v_cndmask_b32_e64 v5, 0, v9, s4
	v_add_co_u32 v1, vcc_lo, v1, v3
	v_cndmask_b32_e64 v3, 0, v10, s4
	s_delay_alu instid0(VALU_DEP_4) | instskip(SKIP_1) | instid1(VALU_DEP_4)
	v_add_co_ci_u32_e32 v2, vcc_lo, v2, v4, vcc_lo
	v_cndmask_b32_e64 v4, 0, v11, s5
	v_add_co_u32 v1, vcc_lo, v1, v5
	s_delay_alu instid0(VALU_DEP_3) | instskip(SKIP_2) | instid1(VALU_DEP_4)
	v_add_co_ci_u32_e32 v2, vcc_lo, v2, v3, vcc_lo
	v_cndmask_b32_e64 v5, 0, v12, s5
	v_mbcnt_lo_u32_b32 v3, -1, 0
	v_add_co_u32 v1, vcc_lo, v1, v4
	v_cndmask_b32_e64 v4, 0, v14, s6
	s_delay_alu instid0(VALU_DEP_4) | instskip(NEXT) | instid1(VALU_DEP_4)
	v_add_co_ci_u32_e32 v2, vcc_lo, v2, v5, vcc_lo
	v_cmp_ne_u32_e32 vcc_lo, 31, v3
	v_cndmask_b32_e64 v5, 0, v13, s6
	v_cndmask_b32_e64 v6, 0, v15, s7
	v_add_co_ci_u32_e32 v7, vcc_lo, 0, v3, vcc_lo
	s_delay_alu instid0(VALU_DEP_3) | instskip(SKIP_2) | instid1(VALU_DEP_3)
	v_add_co_u32 v1, vcc_lo, v1, v5
	v_add_co_ci_u32_e32 v2, vcc_lo, v2, v4, vcc_lo
	v_cndmask_b32_e64 v4, 0, v16, s7
	v_add_co_u32 v1, vcc_lo, v1, v6
	v_lshlrev_b32_e32 v5, 2, v7
	s_delay_alu instid0(VALU_DEP_3)
	v_add_co_ci_u32_e32 v2, vcc_lo, v2, v4, vcc_lo
	v_and_b32_e32 v4, 0x60, v0
	ds_bpermute_b32 v7, v5, v1
	ds_bpermute_b32 v6, v5, v2
	v_add_nc_u32_e32 v5, 1, v3
	v_sub_nc_u32_e64 v4, s2, v4 clamp
	s_delay_alu instid0(VALU_DEP_1)
	v_cmp_lt_u32_e32 vcc_lo, v5, v4
	v_mov_b32_e32 v5, v1
	s_and_saveexec_b32 s3, vcc_lo
	s_cbranch_execz .LBB319_638
; %bb.637:
	s_waitcnt lgkmcnt(1)
	v_add_co_u32 v5, vcc_lo, v1, v7
	v_add_co_ci_u32_e32 v2, vcc_lo, 0, v2, vcc_lo
	s_delay_alu instid0(VALU_DEP_2) | instskip(SKIP_1) | instid1(VALU_DEP_2)
	v_add_co_u32 v1, vcc_lo, v5, 0
	s_waitcnt lgkmcnt(0)
	v_add_co_ci_u32_e32 v2, vcc_lo, v2, v6, vcc_lo
.LBB319_638:
	s_or_b32 exec_lo, exec_lo, s3
	v_cmp_gt_u32_e32 vcc_lo, 30, v3
	v_add_nc_u32_e32 v8, 2, v3
	s_mov_b32 s3, exec_lo
	s_waitcnt lgkmcnt(0)
	v_cndmask_b32_e64 v6, 0, 1, vcc_lo
	s_delay_alu instid0(VALU_DEP_1) | instskip(NEXT) | instid1(VALU_DEP_1)
	v_lshlrev_b32_e32 v6, 1, v6
	v_add_lshl_u32 v6, v6, v3, 2
	ds_bpermute_b32 v7, v6, v5
	ds_bpermute_b32 v6, v6, v2
	v_cmpx_lt_u32_e64 v8, v4
	s_cbranch_execz .LBB319_640
; %bb.639:
	s_waitcnt lgkmcnt(1)
	v_add_co_u32 v5, vcc_lo, v1, v7
	v_add_co_ci_u32_e32 v2, vcc_lo, 0, v2, vcc_lo
	s_delay_alu instid0(VALU_DEP_2) | instskip(SKIP_1) | instid1(VALU_DEP_2)
	v_add_co_u32 v1, vcc_lo, 0, v5
	s_waitcnt lgkmcnt(0)
	v_add_co_ci_u32_e32 v2, vcc_lo, v6, v2, vcc_lo
.LBB319_640:
	s_or_b32 exec_lo, exec_lo, s3
	v_cmp_gt_u32_e32 vcc_lo, 28, v3
	v_add_nc_u32_e32 v8, 4, v3
	s_mov_b32 s3, exec_lo
	s_waitcnt lgkmcnt(0)
	v_cndmask_b32_e64 v6, 0, 1, vcc_lo
	s_delay_alu instid0(VALU_DEP_1) | instskip(NEXT) | instid1(VALU_DEP_1)
	v_lshlrev_b32_e32 v6, 2, v6
	v_add_lshl_u32 v6, v6, v3, 2
	ds_bpermute_b32 v7, v6, v5
	ds_bpermute_b32 v6, v6, v2
	v_cmpx_lt_u32_e64 v8, v4
	;; [unrolled: 22-line block ×3, first 2 shown]
	s_cbranch_execz .LBB319_644
; %bb.643:
	s_waitcnt lgkmcnt(1)
	v_add_co_u32 v5, vcc_lo, v1, v7
	v_add_co_ci_u32_e32 v2, vcc_lo, 0, v2, vcc_lo
	s_delay_alu instid0(VALU_DEP_2) | instskip(SKIP_1) | instid1(VALU_DEP_2)
	v_add_co_u32 v1, vcc_lo, 0, v5
	s_waitcnt lgkmcnt(0)
	v_add_co_ci_u32_e32 v2, vcc_lo, v6, v2, vcc_lo
.LBB319_644:
	s_or_b32 exec_lo, exec_lo, s3
	v_cmp_gt_u32_e32 vcc_lo, 16, v3
	s_mov_b32 s3, exec_lo
	s_waitcnt lgkmcnt(0)
	v_cndmask_b32_e64 v6, 0, 1, vcc_lo
	s_delay_alu instid0(VALU_DEP_1) | instskip(NEXT) | instid1(VALU_DEP_1)
	v_lshlrev_b32_e32 v6, 4, v6
	v_add_lshl_u32 v7, v6, v3, 2
	ds_bpermute_b32 v6, v7, v5
	ds_bpermute_b32 v5, v7, v2
	v_add_nc_u32_e32 v7, 16, v3
	s_delay_alu instid0(VALU_DEP_1)
	v_cmpx_lt_u32_e64 v7, v4
	s_cbranch_execz .LBB319_646
; %bb.645:
	s_waitcnt lgkmcnt(1)
	v_add_co_u32 v1, vcc_lo, v1, v6
	v_add_co_ci_u32_e32 v2, vcc_lo, 0, v2, vcc_lo
	s_delay_alu instid0(VALU_DEP_2) | instskip(SKIP_1) | instid1(VALU_DEP_2)
	v_add_co_u32 v1, vcc_lo, v1, 0
	s_waitcnt lgkmcnt(0)
	v_add_co_ci_u32_e32 v2, vcc_lo, v2, v5, vcc_lo
.LBB319_646:
	s_or_b32 exec_lo, exec_lo, s3
	s_delay_alu instid0(SALU_CYCLE_1)
	s_mov_b32 s3, exec_lo
	v_cmpx_eq_u32_e32 0, v3
	s_cbranch_execz .LBB319_648
; %bb.647:
	v_lshrrev_b32_e32 v4, 2, v0
	s_delay_alu instid0(VALU_DEP_1)
	v_and_b32_e32 v4, 24, v4
	ds_store_b64 v4, v[1:2] offset:256
.LBB319_648:
	s_or_b32 exec_lo, exec_lo, s3
	s_delay_alu instid0(SALU_CYCLE_1)
	s_mov_b32 s3, exec_lo
	s_waitcnt lgkmcnt(0)
	s_barrier
	buffer_gl0_inv
	v_cmpx_gt_u32_e32 4, v0
	s_cbranch_execz .LBB319_654
; %bb.649:
	v_lshlrev_b32_e32 v1, 3, v3
	s_add_i32 s2, s2, 31
	s_delay_alu instid0(SALU_CYCLE_1) | instskip(SKIP_2) | instid1(VALU_DEP_1)
	s_lshr_b32 s2, s2, 5
	ds_load_b64 v[1:2], v1 offset:256
	v_and_b32_e32 v4, 3, v3
	v_cmp_ne_u32_e32 vcc_lo, 3, v4
	v_add_co_ci_u32_e32 v5, vcc_lo, 0, v3, vcc_lo
	s_delay_alu instid0(VALU_DEP_1) | instskip(SKIP_4) | instid1(VALU_DEP_1)
	v_lshlrev_b32_e32 v5, 2, v5
	s_waitcnt lgkmcnt(0)
	ds_bpermute_b32 v7, v5, v1
	ds_bpermute_b32 v6, v5, v2
	v_add_nc_u32_e32 v5, 1, v4
	v_cmp_gt_u32_e32 vcc_lo, s2, v5
	v_mov_b32_e32 v5, v1
	s_and_saveexec_b32 s4, vcc_lo
	s_cbranch_execz .LBB319_651
; %bb.650:
	s_waitcnt lgkmcnt(1)
	v_add_co_u32 v5, vcc_lo, v1, v7
	v_add_co_ci_u32_e32 v2, vcc_lo, 0, v2, vcc_lo
	s_delay_alu instid0(VALU_DEP_2) | instskip(SKIP_1) | instid1(VALU_DEP_2)
	v_add_co_u32 v1, vcc_lo, 0, v5
	s_waitcnt lgkmcnt(0)
	v_add_co_ci_u32_e32 v2, vcc_lo, v6, v2, vcc_lo
.LBB319_651:
	s_or_b32 exec_lo, exec_lo, s4
	v_cmp_gt_u32_e32 vcc_lo, 2, v4
	v_add_nc_u32_e32 v4, 2, v4
	s_waitcnt lgkmcnt(0)
	v_cndmask_b32_e64 v6, 0, 1, vcc_lo
	s_delay_alu instid0(VALU_DEP_2) | instskip(NEXT) | instid1(VALU_DEP_2)
	v_cmp_gt_u32_e32 vcc_lo, s2, v4
	v_lshlrev_b32_e32 v6, 1, v6
	s_delay_alu instid0(VALU_DEP_1)
	v_add_lshl_u32 v3, v6, v3, 2
	ds_bpermute_b32 v5, v3, v5
	ds_bpermute_b32 v3, v3, v2
	s_and_saveexec_b32 s2, vcc_lo
	s_cbranch_execz .LBB319_653
; %bb.652:
	s_waitcnt lgkmcnt(1)
	v_add_co_u32 v1, vcc_lo, v1, v5
	v_add_co_ci_u32_e32 v2, vcc_lo, 0, v2, vcc_lo
	s_delay_alu instid0(VALU_DEP_2) | instskip(SKIP_1) | instid1(VALU_DEP_2)
	v_add_co_u32 v1, vcc_lo, v1, 0
	s_waitcnt lgkmcnt(0)
	v_add_co_ci_u32_e32 v2, vcc_lo, v2, v3, vcc_lo
.LBB319_653:
	s_or_b32 exec_lo, exec_lo, s2
.LBB319_654:
	s_delay_alu instid0(SALU_CYCLE_1)
	s_or_b32 exec_lo, exec_lo, s3
	v_cmp_eq_u32_e64 s2, 0, v0
	s_branch .LBB319_692
.LBB319_655:
	s_cmp_eq_u32 s26, 4
                                        ; implicit-def: $vgpr1_vgpr2
	s_cbranch_scc0 .LBB319_692
; %bb.656:
	s_mov_b32 s19, 0
	s_lshl_b32 s2, s18, 9
	s_mov_b32 s3, s19
	s_lshr_b64 s[6:7], s[20:21], 9
	s_lshl_b64 s[4:5], s[2:3], 3
	s_delay_alu instid0(SALU_CYCLE_1)
	s_add_u32 s4, s24, s4
	s_addc_u32 s5, s25, s5
	s_cmp_lg_u64 s[6:7], s[18:19]
	s_cbranch_scc0 .LBB319_662
; %bb.657:
	v_lshlrev_b32_e32 v7, 3, v0
	global_load_b64 v[1:2], v7, s[4:5]
	s_waitcnt lgkmcnt(0)
	s_clause 0x2
	global_load_b64 v[3:4], v7, s[4:5] offset:1024
	global_load_b64 v[5:6], v7, s[4:5] offset:2048
	;; [unrolled: 1-line block ×3, first 2 shown]
	s_waitcnt vmcnt(3)
	v_cmp_neq_f64_e32 vcc_lo, 0, v[1:2]
	v_cndmask_b32_e64 v1, 0, 1, vcc_lo
	s_waitcnt vmcnt(2)
	v_cmp_neq_f64_e32 vcc_lo, 0, v[3:4]
	v_cndmask_b32_e64 v2, 0, 1, vcc_lo
	s_waitcnt vmcnt(1)
	v_cmp_neq_f64_e32 vcc_lo, 0, v[5:6]
	s_delay_alu instid0(VALU_DEP_2) | instskip(NEXT) | instid1(VALU_DEP_1)
	v_add_co_u32 v1, s3, v2, v1
	v_add_co_ci_u32_e64 v4, null, 0, 0, s3
	s_mov_b32 s3, exec_lo
	v_cndmask_b32_e64 v3, 0, 1, vcc_lo
	s_waitcnt vmcnt(0)
	v_cmp_neq_f64_e32 vcc_lo, 0, v[7:8]
	v_cndmask_b32_e64 v2, 0, 1, vcc_lo
	s_delay_alu instid0(VALU_DEP_3) | instskip(SKIP_2) | instid1(VALU_DEP_3)
	v_add_co_u32 v1, vcc_lo, v1, v3
	v_add_co_ci_u32_e32 v3, vcc_lo, 0, v4, vcc_lo
	v_mov_b32_e32 v4, 0
	v_add_co_u32 v1, vcc_lo, v1, v2
	s_delay_alu instid0(VALU_DEP_3) | instskip(NEXT) | instid1(VALU_DEP_2)
	v_add_co_ci_u32_e32 v2, vcc_lo, 0, v3, vcc_lo
	v_mov_b32_dpp v3, v1 quad_perm:[1,0,3,2] row_mask:0xf bank_mask:0xf
	s_delay_alu instid0(VALU_DEP_1) | instskip(SKIP_1) | instid1(VALU_DEP_4)
	v_add_co_u32 v1, vcc_lo, v1, v3
	v_mov_b32_dpp v3, v4 quad_perm:[1,0,3,2] row_mask:0xf bank_mask:0xf
	v_add_co_ci_u32_e32 v2, vcc_lo, 0, v2, vcc_lo
	s_delay_alu instid0(VALU_DEP_3) | instskip(SKIP_1) | instid1(VALU_DEP_3)
	v_mov_b32_dpp v5, v1 quad_perm:[2,3,0,1] row_mask:0xf bank_mask:0xf
	v_add_co_u32 v1, vcc_lo, 0, v1
	v_add_co_ci_u32_e32 v2, vcc_lo, v3, v2, vcc_lo
	s_delay_alu instid0(VALU_DEP_2) | instskip(NEXT) | instid1(VALU_DEP_2)
	v_add_co_u32 v1, vcc_lo, v1, v5
	v_mov_b32_dpp v3, v2 quad_perm:[2,3,0,1] row_mask:0xf bank_mask:0xf
	v_add_co_ci_u32_e32 v2, vcc_lo, 0, v2, vcc_lo
	s_delay_alu instid0(VALU_DEP_3) | instskip(SKIP_1) | instid1(VALU_DEP_3)
	v_mov_b32_dpp v5, v1 row_ror:4 row_mask:0xf bank_mask:0xf
	v_add_co_u32 v1, vcc_lo, v1, 0
	v_add_co_ci_u32_e32 v2, vcc_lo, v2, v3, vcc_lo
	s_delay_alu instid0(VALU_DEP_2) | instskip(NEXT) | instid1(VALU_DEP_2)
	v_add_co_u32 v1, vcc_lo, v1, v5
	v_mov_b32_dpp v3, v2 row_ror:4 row_mask:0xf bank_mask:0xf
	v_add_co_ci_u32_e32 v2, vcc_lo, 0, v2, vcc_lo
	s_delay_alu instid0(VALU_DEP_3) | instskip(SKIP_1) | instid1(VALU_DEP_3)
	v_mov_b32_dpp v5, v1 row_ror:8 row_mask:0xf bank_mask:0xf
	v_add_co_u32 v1, vcc_lo, v1, 0
	v_add_co_ci_u32_e32 v2, vcc_lo, v2, v3, vcc_lo
	s_delay_alu instid0(VALU_DEP_2) | instskip(NEXT) | instid1(VALU_DEP_2)
	v_add_co_u32 v1, vcc_lo, v1, v5
	v_mov_b32_dpp v3, v2 row_ror:8 row_mask:0xf bank_mask:0xf
	v_add_co_ci_u32_e32 v2, vcc_lo, 0, v2, vcc_lo
	ds_swizzle_b32 v5, v1 offset:swizzle(BROADCAST,32,15)
	v_add_co_u32 v1, vcc_lo, v1, 0
	v_add_co_ci_u32_e32 v2, vcc_lo, v2, v3, vcc_lo
	ds_swizzle_b32 v3, v2 offset:swizzle(BROADCAST,32,15)
	s_waitcnt lgkmcnt(1)
	v_add_co_u32 v1, vcc_lo, v1, v5
	v_add_co_ci_u32_e32 v2, vcc_lo, 0, v2, vcc_lo
	ds_bpermute_b32 v1, v4, v1 offset:124
	s_waitcnt lgkmcnt(1)
	v_add_nc_u32_e32 v2, v3, v2
	v_mbcnt_lo_u32_b32 v3, -1, 0
	ds_bpermute_b32 v2, v4, v2 offset:124
	v_cmpx_eq_u32_e32 0, v3
	s_cbranch_execz .LBB319_659
; %bb.658:
	v_lshrrev_b32_e32 v4, 2, v0
	s_delay_alu instid0(VALU_DEP_1)
	v_and_b32_e32 v4, 24, v4
	s_waitcnt lgkmcnt(0)
	ds_store_b64 v4, v[1:2] offset:160
.LBB319_659:
	s_or_b32 exec_lo, exec_lo, s3
	s_delay_alu instid0(SALU_CYCLE_1)
	s_mov_b32 s3, exec_lo
	s_waitcnt lgkmcnt(0)
	s_barrier
	buffer_gl0_inv
	v_cmpx_gt_u32_e32 32, v0
	s_cbranch_execz .LBB319_661
; %bb.660:
	v_and_b32_e32 v4, 3, v3
	s_delay_alu instid0(VALU_DEP_1) | instskip(SKIP_4) | instid1(VALU_DEP_2)
	v_lshlrev_b32_e32 v1, 3, v4
	v_cmp_ne_u32_e32 vcc_lo, 3, v4
	ds_load_b64 v[1:2], v1 offset:160
	v_add_co_ci_u32_e32 v5, vcc_lo, 0, v3, vcc_lo
	v_cmp_gt_u32_e32 vcc_lo, 2, v4
	v_lshlrev_b32_e32 v5, 2, v5
	v_cndmask_b32_e64 v4, 0, 1, vcc_lo
	s_delay_alu instid0(VALU_DEP_1) | instskip(NEXT) | instid1(VALU_DEP_1)
	v_lshlrev_b32_e32 v4, 1, v4
	v_add_lshl_u32 v3, v4, v3, 2
	s_waitcnt lgkmcnt(0)
	ds_bpermute_b32 v6, v5, v1
	ds_bpermute_b32 v5, v5, v2
	s_waitcnt lgkmcnt(1)
	v_add_co_u32 v1, vcc_lo, v1, v6
	v_add_co_ci_u32_e32 v2, vcc_lo, 0, v2, vcc_lo
	ds_bpermute_b32 v4, v3, v1
	v_add_co_u32 v1, vcc_lo, 0, v1
	s_waitcnt lgkmcnt(1)
	v_add_co_ci_u32_e32 v2, vcc_lo, v5, v2, vcc_lo
	ds_bpermute_b32 v3, v3, v2
	s_waitcnt lgkmcnt(1)
	v_add_co_u32 v1, vcc_lo, v1, v4
	v_add_co_ci_u32_e32 v2, vcc_lo, 0, v2, vcc_lo
	s_delay_alu instid0(VALU_DEP_2) | instskip(SKIP_1) | instid1(VALU_DEP_2)
	v_add_co_u32 v1, vcc_lo, v1, 0
	s_waitcnt lgkmcnt(0)
	v_add_co_ci_u32_e32 v2, vcc_lo, v2, v3, vcc_lo
.LBB319_661:
	s_or_b32 exec_lo, exec_lo, s3
	s_mov_b32 s3, 0
	s_branch .LBB319_663
.LBB319_662:
	s_mov_b32 s3, -1
                                        ; implicit-def: $vgpr1_vgpr2
.LBB319_663:
	s_delay_alu instid0(SALU_CYCLE_1)
	s_and_b32 vcc_lo, exec_lo, s3
	s_cbranch_vccz .LBB319_691
; %bb.664:
	s_sub_i32 s6, s20, s2
	s_mov_b32 s2, exec_lo
                                        ; implicit-def: $vgpr1_vgpr2_vgpr3_vgpr4_vgpr5_vgpr6_vgpr7_vgpr8
	v_cmpx_gt_u32_e64 s6, v0
	s_cbranch_execz .LBB319_666
; %bb.665:
	v_lshlrev_b32_e32 v1, 3, v0
	global_load_b64 v[1:2], v1, s[4:5]
	s_waitcnt vmcnt(0)
	v_cmp_neq_f64_e32 vcc_lo, 0, v[1:2]
	v_mov_b32_e32 v2, 0
	v_cndmask_b32_e64 v1, 0, 1, vcc_lo
.LBB319_666:
	s_or_b32 exec_lo, exec_lo, s2
	v_or_b32_e32 v9, 0x80, v0
	s_delay_alu instid0(VALU_DEP_1)
	v_cmp_gt_u32_e32 vcc_lo, s6, v9
	s_and_saveexec_b32 s3, vcc_lo
	s_cbranch_execz .LBB319_668
; %bb.667:
	s_waitcnt lgkmcnt(0)
	v_lshlrev_b32_e32 v3, 3, v0
	global_load_b64 v[3:4], v3, s[4:5] offset:1024
	s_waitcnt vmcnt(0)
	v_cmp_neq_f64_e64 s2, 0, v[3:4]
	v_mov_b32_e32 v4, 0
	s_delay_alu instid0(VALU_DEP_2)
	v_cndmask_b32_e64 v3, 0, 1, s2
.LBB319_668:
	s_or_b32 exec_lo, exec_lo, s3
	v_or_b32_e32 v9, 0x100, v0
	s_delay_alu instid0(VALU_DEP_1) | instskip(NEXT) | instid1(VALU_DEP_1)
	v_cmp_gt_u32_e64 s2, s6, v9
	s_and_saveexec_b32 s7, s2
	s_cbranch_execz .LBB319_670
; %bb.669:
	s_waitcnt lgkmcnt(1)
	v_lshlrev_b32_e32 v5, 3, v0
	global_load_b64 v[5:6], v5, s[4:5] offset:2048
	s_waitcnt vmcnt(0)
	v_cmp_neq_f64_e64 s3, 0, v[5:6]
	v_mov_b32_e32 v6, 0
	s_delay_alu instid0(VALU_DEP_2)
	v_cndmask_b32_e64 v5, 0, 1, s3
.LBB319_670:
	s_or_b32 exec_lo, exec_lo, s7
	v_or_b32_e32 v9, 0x180, v0
	s_delay_alu instid0(VALU_DEP_1) | instskip(NEXT) | instid1(VALU_DEP_1)
	v_cmp_gt_u32_e64 s3, s6, v9
	s_and_saveexec_b32 s7, s3
	s_cbranch_execz .LBB319_672
; %bb.671:
	v_lshlrev_b32_e32 v7, 3, v0
	global_load_b64 v[7:8], v7, s[4:5] offset:3072
	s_waitcnt vmcnt(0)
	v_cmp_neq_f64_e64 s4, 0, v[7:8]
	v_mov_b32_e32 v8, 0
	s_delay_alu instid0(VALU_DEP_2)
	v_cndmask_b32_e64 v7, 0, 1, s4
.LBB319_672:
	s_or_b32 exec_lo, exec_lo, s7
	s_waitcnt lgkmcnt(0)
	v_dual_cndmask_b32 v9, 0, v3 :: v_dual_cndmask_b32 v4, 0, v4
	v_mbcnt_lo_u32_b32 v3, -1, 0
	v_cndmask_b32_e64 v5, 0, v5, s2
	s_delay_alu instid0(VALU_DEP_3) | instskip(NEXT) | instid1(VALU_DEP_4)
	v_add_co_u32 v1, vcc_lo, v9, v1
	v_add_co_ci_u32_e32 v2, vcc_lo, v4, v2, vcc_lo
	s_delay_alu instid0(VALU_DEP_4)
	v_cmp_ne_u32_e32 vcc_lo, 31, v3
	v_cndmask_b32_e64 v4, 0, v6, s2
	v_cndmask_b32_e64 v6, 0, v7, s3
	s_min_u32 s2, s6, 0x80
	v_add_co_ci_u32_e32 v7, vcc_lo, 0, v3, vcc_lo
	v_add_co_u32 v1, vcc_lo, v1, v5
	v_add_co_ci_u32_e32 v2, vcc_lo, v2, v4, vcc_lo
	v_cndmask_b32_e64 v4, 0, v8, s3
	s_delay_alu instid0(VALU_DEP_3) | instskip(SKIP_1) | instid1(VALU_DEP_3)
	v_add_co_u32 v1, vcc_lo, v1, v6
	v_lshlrev_b32_e32 v5, 2, v7
	v_add_co_ci_u32_e32 v2, vcc_lo, v2, v4, vcc_lo
	v_and_b32_e32 v4, 0x60, v0
	ds_bpermute_b32 v7, v5, v1
	ds_bpermute_b32 v6, v5, v2
	v_add_nc_u32_e32 v5, 1, v3
	v_sub_nc_u32_e64 v4, s2, v4 clamp
	s_delay_alu instid0(VALU_DEP_1)
	v_cmp_lt_u32_e32 vcc_lo, v5, v4
	v_mov_b32_e32 v5, v1
	s_and_saveexec_b32 s3, vcc_lo
	s_cbranch_execz .LBB319_674
; %bb.673:
	s_waitcnt lgkmcnt(1)
	v_add_co_u32 v5, vcc_lo, v1, v7
	v_add_co_ci_u32_e32 v2, vcc_lo, 0, v2, vcc_lo
	s_delay_alu instid0(VALU_DEP_2) | instskip(SKIP_1) | instid1(VALU_DEP_2)
	v_add_co_u32 v1, vcc_lo, v5, 0
	s_waitcnt lgkmcnt(0)
	v_add_co_ci_u32_e32 v2, vcc_lo, v2, v6, vcc_lo
.LBB319_674:
	s_or_b32 exec_lo, exec_lo, s3
	v_cmp_gt_u32_e32 vcc_lo, 30, v3
	v_add_nc_u32_e32 v8, 2, v3
	s_mov_b32 s3, exec_lo
	s_waitcnt lgkmcnt(0)
	v_cndmask_b32_e64 v6, 0, 1, vcc_lo
	s_delay_alu instid0(VALU_DEP_1) | instskip(NEXT) | instid1(VALU_DEP_1)
	v_lshlrev_b32_e32 v6, 1, v6
	v_add_lshl_u32 v6, v6, v3, 2
	ds_bpermute_b32 v7, v6, v5
	ds_bpermute_b32 v6, v6, v2
	v_cmpx_lt_u32_e64 v8, v4
	s_cbranch_execz .LBB319_676
; %bb.675:
	s_waitcnt lgkmcnt(1)
	v_add_co_u32 v5, vcc_lo, v1, v7
	v_add_co_ci_u32_e32 v2, vcc_lo, 0, v2, vcc_lo
	s_delay_alu instid0(VALU_DEP_2) | instskip(SKIP_1) | instid1(VALU_DEP_2)
	v_add_co_u32 v1, vcc_lo, 0, v5
	s_waitcnt lgkmcnt(0)
	v_add_co_ci_u32_e32 v2, vcc_lo, v6, v2, vcc_lo
.LBB319_676:
	s_or_b32 exec_lo, exec_lo, s3
	v_cmp_gt_u32_e32 vcc_lo, 28, v3
	v_add_nc_u32_e32 v8, 4, v3
	s_mov_b32 s3, exec_lo
	s_waitcnt lgkmcnt(0)
	v_cndmask_b32_e64 v6, 0, 1, vcc_lo
	s_delay_alu instid0(VALU_DEP_1) | instskip(NEXT) | instid1(VALU_DEP_1)
	v_lshlrev_b32_e32 v6, 2, v6
	v_add_lshl_u32 v6, v6, v3, 2
	ds_bpermute_b32 v7, v6, v5
	ds_bpermute_b32 v6, v6, v2
	v_cmpx_lt_u32_e64 v8, v4
	;; [unrolled: 22-line block ×3, first 2 shown]
	s_cbranch_execz .LBB319_680
; %bb.679:
	s_waitcnt lgkmcnt(1)
	v_add_co_u32 v5, vcc_lo, v1, v7
	v_add_co_ci_u32_e32 v2, vcc_lo, 0, v2, vcc_lo
	s_delay_alu instid0(VALU_DEP_2) | instskip(SKIP_1) | instid1(VALU_DEP_2)
	v_add_co_u32 v1, vcc_lo, 0, v5
	s_waitcnt lgkmcnt(0)
	v_add_co_ci_u32_e32 v2, vcc_lo, v6, v2, vcc_lo
.LBB319_680:
	s_or_b32 exec_lo, exec_lo, s3
	v_cmp_gt_u32_e32 vcc_lo, 16, v3
	s_mov_b32 s3, exec_lo
	s_waitcnt lgkmcnt(0)
	v_cndmask_b32_e64 v6, 0, 1, vcc_lo
	s_delay_alu instid0(VALU_DEP_1) | instskip(NEXT) | instid1(VALU_DEP_1)
	v_lshlrev_b32_e32 v6, 4, v6
	v_add_lshl_u32 v7, v6, v3, 2
	ds_bpermute_b32 v6, v7, v5
	ds_bpermute_b32 v5, v7, v2
	v_add_nc_u32_e32 v7, 16, v3
	s_delay_alu instid0(VALU_DEP_1)
	v_cmpx_lt_u32_e64 v7, v4
	s_cbranch_execz .LBB319_682
; %bb.681:
	s_waitcnt lgkmcnt(1)
	v_add_co_u32 v1, vcc_lo, v1, v6
	v_add_co_ci_u32_e32 v2, vcc_lo, 0, v2, vcc_lo
	s_delay_alu instid0(VALU_DEP_2) | instskip(SKIP_1) | instid1(VALU_DEP_2)
	v_add_co_u32 v1, vcc_lo, v1, 0
	s_waitcnt lgkmcnt(0)
	v_add_co_ci_u32_e32 v2, vcc_lo, v2, v5, vcc_lo
.LBB319_682:
	s_or_b32 exec_lo, exec_lo, s3
	s_delay_alu instid0(SALU_CYCLE_1)
	s_mov_b32 s3, exec_lo
	v_cmpx_eq_u32_e32 0, v3
	s_cbranch_execz .LBB319_684
; %bb.683:
	v_lshrrev_b32_e32 v4, 2, v0
	s_delay_alu instid0(VALU_DEP_1)
	v_and_b32_e32 v4, 24, v4
	ds_store_b64 v4, v[1:2] offset:256
.LBB319_684:
	s_or_b32 exec_lo, exec_lo, s3
	s_delay_alu instid0(SALU_CYCLE_1)
	s_mov_b32 s3, exec_lo
	s_waitcnt lgkmcnt(0)
	s_barrier
	buffer_gl0_inv
	v_cmpx_gt_u32_e32 4, v0
	s_cbranch_execz .LBB319_690
; %bb.685:
	v_lshlrev_b32_e32 v1, 3, v3
	s_add_i32 s2, s2, 31
	s_delay_alu instid0(SALU_CYCLE_1) | instskip(SKIP_2) | instid1(VALU_DEP_1)
	s_lshr_b32 s2, s2, 5
	ds_load_b64 v[1:2], v1 offset:256
	v_and_b32_e32 v4, 3, v3
	v_cmp_ne_u32_e32 vcc_lo, 3, v4
	v_add_co_ci_u32_e32 v5, vcc_lo, 0, v3, vcc_lo
	s_delay_alu instid0(VALU_DEP_1) | instskip(SKIP_4) | instid1(VALU_DEP_1)
	v_lshlrev_b32_e32 v5, 2, v5
	s_waitcnt lgkmcnt(0)
	ds_bpermute_b32 v7, v5, v1
	ds_bpermute_b32 v6, v5, v2
	v_add_nc_u32_e32 v5, 1, v4
	v_cmp_gt_u32_e32 vcc_lo, s2, v5
	v_mov_b32_e32 v5, v1
	s_and_saveexec_b32 s4, vcc_lo
	s_cbranch_execz .LBB319_687
; %bb.686:
	s_waitcnt lgkmcnt(1)
	v_add_co_u32 v5, vcc_lo, v1, v7
	v_add_co_ci_u32_e32 v2, vcc_lo, 0, v2, vcc_lo
	s_delay_alu instid0(VALU_DEP_2) | instskip(SKIP_1) | instid1(VALU_DEP_2)
	v_add_co_u32 v1, vcc_lo, 0, v5
	s_waitcnt lgkmcnt(0)
	v_add_co_ci_u32_e32 v2, vcc_lo, v6, v2, vcc_lo
.LBB319_687:
	s_or_b32 exec_lo, exec_lo, s4
	v_cmp_gt_u32_e32 vcc_lo, 2, v4
	v_add_nc_u32_e32 v4, 2, v4
	s_waitcnt lgkmcnt(0)
	v_cndmask_b32_e64 v6, 0, 1, vcc_lo
	s_delay_alu instid0(VALU_DEP_2) | instskip(NEXT) | instid1(VALU_DEP_2)
	v_cmp_gt_u32_e32 vcc_lo, s2, v4
	v_lshlrev_b32_e32 v6, 1, v6
	s_delay_alu instid0(VALU_DEP_1)
	v_add_lshl_u32 v3, v6, v3, 2
	ds_bpermute_b32 v5, v3, v5
	ds_bpermute_b32 v3, v3, v2
	s_and_saveexec_b32 s2, vcc_lo
	s_cbranch_execz .LBB319_689
; %bb.688:
	s_waitcnt lgkmcnt(1)
	v_add_co_u32 v1, vcc_lo, v1, v5
	v_add_co_ci_u32_e32 v2, vcc_lo, 0, v2, vcc_lo
	s_delay_alu instid0(VALU_DEP_2) | instskip(SKIP_1) | instid1(VALU_DEP_2)
	v_add_co_u32 v1, vcc_lo, v1, 0
	s_waitcnt lgkmcnt(0)
	v_add_co_ci_u32_e32 v2, vcc_lo, v2, v3, vcc_lo
.LBB319_689:
	s_or_b32 exec_lo, exec_lo, s2
.LBB319_690:
	s_delay_alu instid0(SALU_CYCLE_1)
	s_or_b32 exec_lo, exec_lo, s3
.LBB319_691:
	v_cmp_eq_u32_e64 s2, 0, v0
.LBB319_692:
	s_branch .LBB319_758
.LBB319_693:
	s_cmp_gt_i32 s26, 1
	s_cbranch_scc0 .LBB319_702
; %bb.694:
	s_cmp_eq_u32 s26, 2
                                        ; implicit-def: $vgpr1_vgpr2
	s_cbranch_scc0 .LBB319_703
; %bb.695:
	s_mov_b32 s19, 0
	s_lshl_b32 s4, s18, 8
	s_mov_b32 s5, s19
	s_lshr_b64 s[6:7], s[20:21], 8
	s_lshl_b64 s[2:3], s[4:5], 3
	s_delay_alu instid0(SALU_CYCLE_1)
	s_add_u32 s2, s24, s2
	s_addc_u32 s3, s25, s3
	s_cmp_lg_u64 s[6:7], s[18:19]
	s_cbranch_scc0 .LBB319_704
; %bb.696:
	s_waitcnt lgkmcnt(0)
	v_lshlrev_b32_e32 v3, 3, v0
	s_clause 0x1
	global_load_b64 v[1:2], v3, s[2:3]
	global_load_b64 v[3:4], v3, s[2:3] offset:1024
	s_waitcnt vmcnt(1)
	v_cmp_neq_f64_e32 vcc_lo, 0, v[1:2]
	v_cndmask_b32_e64 v1, 0, 1, vcc_lo
	s_waitcnt vmcnt(0)
	v_cmp_neq_f64_e32 vcc_lo, 0, v[3:4]
	v_mov_b32_e32 v4, 0
	v_cndmask_b32_e64 v2, 0, 1, vcc_lo
	s_delay_alu instid0(VALU_DEP_1) | instskip(NEXT) | instid1(VALU_DEP_1)
	v_add_co_u32 v1, s5, v2, v1
	v_add_co_ci_u32_e64 v2, null, 0, 0, s5
	s_mov_b32 s5, exec_lo
	s_delay_alu instid0(VALU_DEP_2) | instskip(NEXT) | instid1(VALU_DEP_1)
	v_mov_b32_dpp v3, v1 quad_perm:[1,0,3,2] row_mask:0xf bank_mask:0xf
	v_add_co_u32 v1, vcc_lo, v1, v3
	v_mov_b32_dpp v3, v4 quad_perm:[1,0,3,2] row_mask:0xf bank_mask:0xf
	v_add_co_ci_u32_e32 v2, vcc_lo, 0, v2, vcc_lo
	s_delay_alu instid0(VALU_DEP_3) | instskip(SKIP_1) | instid1(VALU_DEP_3)
	v_mov_b32_dpp v5, v1 quad_perm:[2,3,0,1] row_mask:0xf bank_mask:0xf
	v_add_co_u32 v1, vcc_lo, 0, v1
	v_add_co_ci_u32_e32 v2, vcc_lo, v3, v2, vcc_lo
	s_delay_alu instid0(VALU_DEP_2) | instskip(NEXT) | instid1(VALU_DEP_2)
	v_add_co_u32 v1, vcc_lo, v1, v5
	v_mov_b32_dpp v3, v2 quad_perm:[2,3,0,1] row_mask:0xf bank_mask:0xf
	v_add_co_ci_u32_e32 v2, vcc_lo, 0, v2, vcc_lo
	s_delay_alu instid0(VALU_DEP_3) | instskip(SKIP_1) | instid1(VALU_DEP_3)
	v_mov_b32_dpp v5, v1 row_ror:4 row_mask:0xf bank_mask:0xf
	v_add_co_u32 v1, vcc_lo, v1, 0
	v_add_co_ci_u32_e32 v2, vcc_lo, v2, v3, vcc_lo
	s_delay_alu instid0(VALU_DEP_2) | instskip(NEXT) | instid1(VALU_DEP_2)
	v_add_co_u32 v1, vcc_lo, v1, v5
	v_mov_b32_dpp v3, v2 row_ror:4 row_mask:0xf bank_mask:0xf
	v_add_co_ci_u32_e32 v2, vcc_lo, 0, v2, vcc_lo
	s_delay_alu instid0(VALU_DEP_3) | instskip(SKIP_1) | instid1(VALU_DEP_3)
	v_mov_b32_dpp v5, v1 row_ror:8 row_mask:0xf bank_mask:0xf
	v_add_co_u32 v1, vcc_lo, v1, 0
	v_add_co_ci_u32_e32 v2, vcc_lo, v2, v3, vcc_lo
	s_delay_alu instid0(VALU_DEP_2) | instskip(NEXT) | instid1(VALU_DEP_2)
	v_add_co_u32 v1, vcc_lo, v1, v5
	v_mov_b32_dpp v3, v2 row_ror:8 row_mask:0xf bank_mask:0xf
	v_add_co_ci_u32_e32 v2, vcc_lo, 0, v2, vcc_lo
	ds_swizzle_b32 v5, v1 offset:swizzle(BROADCAST,32,15)
	v_add_co_u32 v1, vcc_lo, v1, 0
	v_add_co_ci_u32_e32 v2, vcc_lo, v2, v3, vcc_lo
	ds_swizzle_b32 v3, v2 offset:swizzle(BROADCAST,32,15)
	s_waitcnt lgkmcnt(1)
	v_add_co_u32 v1, vcc_lo, v1, v5
	v_add_co_ci_u32_e32 v2, vcc_lo, 0, v2, vcc_lo
	ds_bpermute_b32 v1, v4, v1 offset:124
	s_waitcnt lgkmcnt(1)
	v_add_nc_u32_e32 v2, v3, v2
	v_mbcnt_lo_u32_b32 v3, -1, 0
	ds_bpermute_b32 v2, v4, v2 offset:124
	v_cmpx_eq_u32_e32 0, v3
	s_cbranch_execz .LBB319_698
; %bb.697:
	v_lshrrev_b32_e32 v4, 2, v0
	s_delay_alu instid0(VALU_DEP_1)
	v_and_b32_e32 v4, 24, v4
	s_waitcnt lgkmcnt(0)
	ds_store_b64 v4, v[1:2] offset:96
.LBB319_698:
	s_or_b32 exec_lo, exec_lo, s5
	s_delay_alu instid0(SALU_CYCLE_1)
	s_mov_b32 s5, exec_lo
	s_waitcnt lgkmcnt(0)
	s_barrier
	buffer_gl0_inv
	v_cmpx_gt_u32_e32 32, v0
	s_cbranch_execz .LBB319_700
; %bb.699:
	v_and_b32_e32 v4, 3, v3
	s_delay_alu instid0(VALU_DEP_1) | instskip(SKIP_4) | instid1(VALU_DEP_2)
	v_lshlrev_b32_e32 v1, 3, v4
	v_cmp_ne_u32_e32 vcc_lo, 3, v4
	ds_load_b64 v[1:2], v1 offset:96
	v_add_co_ci_u32_e32 v5, vcc_lo, 0, v3, vcc_lo
	v_cmp_gt_u32_e32 vcc_lo, 2, v4
	v_lshlrev_b32_e32 v5, 2, v5
	v_cndmask_b32_e64 v4, 0, 1, vcc_lo
	s_delay_alu instid0(VALU_DEP_1) | instskip(NEXT) | instid1(VALU_DEP_1)
	v_lshlrev_b32_e32 v4, 1, v4
	v_add_lshl_u32 v3, v4, v3, 2
	s_waitcnt lgkmcnt(0)
	ds_bpermute_b32 v6, v5, v1
	ds_bpermute_b32 v5, v5, v2
	s_waitcnt lgkmcnt(1)
	v_add_co_u32 v1, vcc_lo, v1, v6
	v_add_co_ci_u32_e32 v2, vcc_lo, 0, v2, vcc_lo
	ds_bpermute_b32 v4, v3, v1
	v_add_co_u32 v1, vcc_lo, 0, v1
	s_waitcnt lgkmcnt(1)
	v_add_co_ci_u32_e32 v2, vcc_lo, v5, v2, vcc_lo
	ds_bpermute_b32 v3, v3, v2
	s_waitcnt lgkmcnt(1)
	v_add_co_u32 v1, vcc_lo, v1, v4
	v_add_co_ci_u32_e32 v2, vcc_lo, 0, v2, vcc_lo
	s_delay_alu instid0(VALU_DEP_2) | instskip(SKIP_1) | instid1(VALU_DEP_2)
	v_add_co_u32 v1, vcc_lo, v1, 0
	s_waitcnt lgkmcnt(0)
	v_add_co_ci_u32_e32 v2, vcc_lo, v2, v3, vcc_lo
.LBB319_700:
	s_or_b32 exec_lo, exec_lo, s5
.LBB319_701:
	v_cmp_eq_u32_e64 s2, 0, v0
	s_branch .LBB319_758
.LBB319_702:
                                        ; implicit-def: $vgpr1_vgpr2
	s_cbranch_execnz .LBB319_728
	s_branch .LBB319_758
.LBB319_703:
	s_branch .LBB319_758
.LBB319_704:
                                        ; implicit-def: $vgpr1_vgpr2
	s_cbranch_execz .LBB319_701
; %bb.705:
	s_sub_i32 s4, s20, s4
	s_mov_b32 s5, exec_lo
                                        ; implicit-def: $vgpr1_vgpr2_vgpr3_vgpr4
	v_cmpx_gt_u32_e64 s4, v0
	s_cbranch_execz .LBB319_707
; %bb.706:
	v_lshlrev_b32_e32 v1, 3, v0
	global_load_b64 v[1:2], v1, s[2:3]
	s_waitcnt vmcnt(0)
	v_cmp_neq_f64_e32 vcc_lo, 0, v[1:2]
	v_mov_b32_e32 v2, 0
	v_cndmask_b32_e64 v1, 0, 1, vcc_lo
.LBB319_707:
	s_or_b32 exec_lo, exec_lo, s5
	s_waitcnt lgkmcnt(1)
	v_or_b32_e32 v5, 0x80, v0
	s_delay_alu instid0(VALU_DEP_1)
	v_cmp_gt_u32_e32 vcc_lo, s4, v5
	s_and_saveexec_b32 s5, vcc_lo
	s_cbranch_execz .LBB319_709
; %bb.708:
	s_waitcnt lgkmcnt(0)
	v_lshlrev_b32_e32 v3, 3, v0
	global_load_b64 v[3:4], v3, s[2:3] offset:1024
	s_waitcnt vmcnt(0)
	v_cmp_neq_f64_e64 s2, 0, v[3:4]
	v_mov_b32_e32 v4, 0
	s_delay_alu instid0(VALU_DEP_2)
	v_cndmask_b32_e64 v3, 0, 1, s2
.LBB319_709:
	s_or_b32 exec_lo, exec_lo, s5
	v_mbcnt_lo_u32_b32 v5, -1, 0
	s_waitcnt lgkmcnt(0)
	s_delay_alu instid0(VALU_DEP_2) | instskip(NEXT) | instid1(VALU_DEP_2)
	v_dual_cndmask_b32 v3, 0, v3 :: v_dual_cndmask_b32 v4, 0, v4
	v_cmp_ne_u32_e64 s2, 31, v5
	s_delay_alu instid0(VALU_DEP_2) | instskip(NEXT) | instid1(VALU_DEP_3)
	v_add_co_u32 v1, vcc_lo, v3, v1
	v_add_co_ci_u32_e32 v2, vcc_lo, v4, v2, vcc_lo
	s_delay_alu instid0(VALU_DEP_3) | instskip(SKIP_3) | instid1(VALU_DEP_3)
	v_add_co_ci_u32_e64 v6, s2, 0, v5, s2
	v_and_b32_e32 v3, 0x60, v0
	s_min_u32 s2, s4, 0x80
	v_add_nc_u32_e32 v4, 1, v5
	v_lshlrev_b32_e32 v6, 2, v6
	s_delay_alu instid0(VALU_DEP_3)
	v_sub_nc_u32_e64 v3, s2, v3 clamp
	ds_bpermute_b32 v7, v6, v1
	ds_bpermute_b32 v6, v6, v2
	v_cmp_lt_u32_e32 vcc_lo, v4, v3
	v_mov_b32_e32 v4, v1
	s_and_saveexec_b32 s3, vcc_lo
	s_cbranch_execz .LBB319_711
; %bb.710:
	s_waitcnt lgkmcnt(1)
	v_add_co_u32 v4, vcc_lo, v1, v7
	v_add_co_ci_u32_e32 v2, vcc_lo, 0, v2, vcc_lo
	s_delay_alu instid0(VALU_DEP_2) | instskip(SKIP_1) | instid1(VALU_DEP_2)
	v_add_co_u32 v1, vcc_lo, 0, v4
	s_waitcnt lgkmcnt(0)
	v_add_co_ci_u32_e32 v2, vcc_lo, v6, v2, vcc_lo
.LBB319_711:
	s_or_b32 exec_lo, exec_lo, s3
	v_cmp_gt_u32_e32 vcc_lo, 30, v5
	v_add_nc_u32_e32 v8, 2, v5
	s_mov_b32 s3, exec_lo
	s_waitcnt lgkmcnt(0)
	v_cndmask_b32_e64 v6, 0, 1, vcc_lo
	s_delay_alu instid0(VALU_DEP_1) | instskip(NEXT) | instid1(VALU_DEP_1)
	v_lshlrev_b32_e32 v6, 1, v6
	v_add_lshl_u32 v6, v6, v5, 2
	ds_bpermute_b32 v7, v6, v4
	ds_bpermute_b32 v6, v6, v2
	v_cmpx_lt_u32_e64 v8, v3
	s_cbranch_execz .LBB319_713
; %bb.712:
	s_waitcnt lgkmcnt(1)
	v_add_co_u32 v4, vcc_lo, v1, v7
	v_add_co_ci_u32_e32 v2, vcc_lo, 0, v2, vcc_lo
	s_delay_alu instid0(VALU_DEP_2) | instskip(SKIP_1) | instid1(VALU_DEP_2)
	v_add_co_u32 v1, vcc_lo, 0, v4
	s_waitcnt lgkmcnt(0)
	v_add_co_ci_u32_e32 v2, vcc_lo, v6, v2, vcc_lo
.LBB319_713:
	s_or_b32 exec_lo, exec_lo, s3
	v_cmp_gt_u32_e32 vcc_lo, 28, v5
	v_add_nc_u32_e32 v8, 4, v5
	s_mov_b32 s3, exec_lo
	s_waitcnt lgkmcnt(0)
	v_cndmask_b32_e64 v6, 0, 1, vcc_lo
	s_delay_alu instid0(VALU_DEP_1) | instskip(NEXT) | instid1(VALU_DEP_1)
	v_lshlrev_b32_e32 v6, 2, v6
	v_add_lshl_u32 v6, v6, v5, 2
	ds_bpermute_b32 v7, v6, v4
	ds_bpermute_b32 v6, v6, v2
	v_cmpx_lt_u32_e64 v8, v3
	;; [unrolled: 22-line block ×3, first 2 shown]
	s_cbranch_execz .LBB319_717
; %bb.716:
	s_waitcnt lgkmcnt(1)
	v_add_co_u32 v4, vcc_lo, v1, v7
	v_add_co_ci_u32_e32 v2, vcc_lo, 0, v2, vcc_lo
	s_delay_alu instid0(VALU_DEP_2) | instskip(SKIP_1) | instid1(VALU_DEP_2)
	v_add_co_u32 v1, vcc_lo, 0, v4
	s_waitcnt lgkmcnt(0)
	v_add_co_ci_u32_e32 v2, vcc_lo, v6, v2, vcc_lo
.LBB319_717:
	s_or_b32 exec_lo, exec_lo, s3
	v_cmp_gt_u32_e32 vcc_lo, 16, v5
	s_mov_b32 s3, exec_lo
	s_waitcnt lgkmcnt(0)
	v_cndmask_b32_e64 v6, 0, 1, vcc_lo
	s_delay_alu instid0(VALU_DEP_1) | instskip(NEXT) | instid1(VALU_DEP_1)
	v_lshlrev_b32_e32 v6, 4, v6
	v_add_lshl_u32 v7, v6, v5, 2
	ds_bpermute_b32 v6, v7, v4
	ds_bpermute_b32 v4, v7, v2
	v_add_nc_u32_e32 v7, 16, v5
	s_delay_alu instid0(VALU_DEP_1)
	v_cmpx_lt_u32_e64 v7, v3
	s_cbranch_execz .LBB319_719
; %bb.718:
	s_waitcnt lgkmcnt(1)
	v_add_co_u32 v1, vcc_lo, v1, v6
	v_add_co_ci_u32_e32 v2, vcc_lo, 0, v2, vcc_lo
	s_delay_alu instid0(VALU_DEP_2) | instskip(SKIP_1) | instid1(VALU_DEP_2)
	v_add_co_u32 v1, vcc_lo, v1, 0
	s_waitcnt lgkmcnt(0)
	v_add_co_ci_u32_e32 v2, vcc_lo, v2, v4, vcc_lo
.LBB319_719:
	s_or_b32 exec_lo, exec_lo, s3
	s_delay_alu instid0(SALU_CYCLE_1)
	s_mov_b32 s3, exec_lo
	v_cmpx_eq_u32_e32 0, v5
	s_cbranch_execz .LBB319_721
; %bb.720:
	v_lshrrev_b32_e32 v3, 2, v0
	s_delay_alu instid0(VALU_DEP_1)
	v_and_b32_e32 v3, 24, v3
	ds_store_b64 v3, v[1:2] offset:256
.LBB319_721:
	s_or_b32 exec_lo, exec_lo, s3
	s_delay_alu instid0(SALU_CYCLE_1)
	s_mov_b32 s3, exec_lo
	s_waitcnt lgkmcnt(0)
	s_barrier
	buffer_gl0_inv
	v_cmpx_gt_u32_e32 4, v0
	s_cbranch_execz .LBB319_727
; %bb.722:
	v_lshlrev_b32_e32 v1, 3, v5
	s_add_i32 s2, s2, 31
	s_delay_alu instid0(SALU_CYCLE_1) | instskip(SKIP_2) | instid1(VALU_DEP_1)
	s_lshr_b32 s2, s2, 5
	ds_load_b64 v[1:2], v1 offset:256
	v_and_b32_e32 v3, 3, v5
	v_cmp_ne_u32_e32 vcc_lo, 3, v3
	v_add_co_ci_u32_e32 v4, vcc_lo, 0, v5, vcc_lo
	s_delay_alu instid0(VALU_DEP_1) | instskip(SKIP_4) | instid1(VALU_DEP_1)
	v_lshlrev_b32_e32 v4, 2, v4
	s_waitcnt lgkmcnt(0)
	ds_bpermute_b32 v7, v4, v1
	ds_bpermute_b32 v6, v4, v2
	v_add_nc_u32_e32 v4, 1, v3
	v_cmp_gt_u32_e32 vcc_lo, s2, v4
	v_mov_b32_e32 v4, v1
	s_and_saveexec_b32 s4, vcc_lo
	s_cbranch_execz .LBB319_724
; %bb.723:
	s_waitcnt lgkmcnt(1)
	v_add_co_u32 v4, vcc_lo, v1, v7
	v_add_co_ci_u32_e32 v2, vcc_lo, 0, v2, vcc_lo
	s_delay_alu instid0(VALU_DEP_2) | instskip(SKIP_1) | instid1(VALU_DEP_2)
	v_add_co_u32 v1, vcc_lo, 0, v4
	s_waitcnt lgkmcnt(0)
	v_add_co_ci_u32_e32 v2, vcc_lo, v6, v2, vcc_lo
.LBB319_724:
	s_or_b32 exec_lo, exec_lo, s4
	v_cmp_gt_u32_e32 vcc_lo, 2, v3
	v_add_nc_u32_e32 v3, 2, v3
	s_waitcnt lgkmcnt(0)
	v_cndmask_b32_e64 v6, 0, 1, vcc_lo
	s_delay_alu instid0(VALU_DEP_2) | instskip(NEXT) | instid1(VALU_DEP_2)
	v_cmp_gt_u32_e32 vcc_lo, s2, v3
	v_lshlrev_b32_e32 v6, 1, v6
	s_delay_alu instid0(VALU_DEP_1)
	v_add_lshl_u32 v6, v6, v5, 2
	ds_bpermute_b32 v5, v6, v4
	ds_bpermute_b32 v4, v6, v2
	s_and_saveexec_b32 s2, vcc_lo
	s_cbranch_execz .LBB319_726
; %bb.725:
	s_waitcnt lgkmcnt(1)
	v_add_co_u32 v1, vcc_lo, v1, v5
	v_add_co_ci_u32_e32 v2, vcc_lo, 0, v2, vcc_lo
	s_delay_alu instid0(VALU_DEP_2) | instskip(SKIP_1) | instid1(VALU_DEP_2)
	v_add_co_u32 v1, vcc_lo, v1, 0
	s_waitcnt lgkmcnt(0)
	v_add_co_ci_u32_e32 v2, vcc_lo, v2, v4, vcc_lo
.LBB319_726:
	s_or_b32 exec_lo, exec_lo, s2
.LBB319_727:
	s_delay_alu instid0(SALU_CYCLE_1)
	s_or_b32 exec_lo, exec_lo, s3
	v_cmp_eq_u32_e64 s2, 0, v0
	s_branch .LBB319_758
.LBB319_728:
	s_cmp_eq_u32 s26, 1
                                        ; implicit-def: $vgpr1_vgpr2
	s_cbranch_scc0 .LBB319_758
; %bb.729:
	s_mov_b32 s3, 0
	s_waitcnt lgkmcnt(0)
	v_mbcnt_lo_u32_b32 v3, -1, 0
	s_lshr_b64 s[4:5], s[20:21], 7
	s_mov_b32 s19, s3
	s_lshl_b32 s2, s18, 7
	s_cmp_lg_u64 s[4:5], s[18:19]
	s_cbranch_scc0 .LBB319_735
; %bb.730:
	s_lshl_b64 s[4:5], s[2:3], 3
	v_dual_mov_b32 v4, 0 :: v_dual_lshlrev_b32 v1, 3, v0
	s_add_u32 s4, s24, s4
	s_addc_u32 s5, s25, s5
	global_load_b64 v[1:2], v1, s[4:5]
	s_waitcnt vmcnt(0)
	v_cmp_neq_f64_e32 vcc_lo, 0, v[1:2]
	v_cndmask_b32_e64 v1, 0, 1, vcc_lo
	s_delay_alu instid0(VALU_DEP_1) | instskip(NEXT) | instid1(VALU_DEP_1)
	v_mov_b32_dpp v2, v1 quad_perm:[1,0,3,2] row_mask:0xf bank_mask:0xf
	v_add_co_u32 v1, s4, v2, v1
	v_mov_b32_dpp v2, v4 quad_perm:[1,0,3,2] row_mask:0xf bank_mask:0xf
	v_add_co_ci_u32_e64 v5, null, 0, 0, s4
	s_delay_alu instid0(VALU_DEP_3) | instskip(SKIP_1) | instid1(VALU_DEP_3)
	v_mov_b32_dpp v6, v1 quad_perm:[2,3,0,1] row_mask:0xf bank_mask:0xf
	v_add_co_u32 v1, vcc_lo, 0, v1
	v_add_co_ci_u32_e32 v2, vcc_lo, v2, v5, vcc_lo
	s_mov_b32 s4, exec_lo
	s_delay_alu instid0(VALU_DEP_2) | instskip(NEXT) | instid1(VALU_DEP_2)
	v_add_co_u32 v1, vcc_lo, v1, v6
	v_mov_b32_dpp v5, v2 quad_perm:[2,3,0,1] row_mask:0xf bank_mask:0xf
	v_add_co_ci_u32_e32 v2, vcc_lo, 0, v2, vcc_lo
	s_delay_alu instid0(VALU_DEP_3) | instskip(SKIP_1) | instid1(VALU_DEP_3)
	v_mov_b32_dpp v6, v1 row_ror:4 row_mask:0xf bank_mask:0xf
	v_add_co_u32 v1, vcc_lo, v1, 0
	v_add_co_ci_u32_e32 v2, vcc_lo, v2, v5, vcc_lo
	s_delay_alu instid0(VALU_DEP_2) | instskip(NEXT) | instid1(VALU_DEP_2)
	v_add_co_u32 v1, vcc_lo, v1, v6
	v_mov_b32_dpp v5, v2 row_ror:4 row_mask:0xf bank_mask:0xf
	v_add_co_ci_u32_e32 v2, vcc_lo, 0, v2, vcc_lo
	s_delay_alu instid0(VALU_DEP_3) | instskip(SKIP_1) | instid1(VALU_DEP_3)
	v_mov_b32_dpp v6, v1 row_ror:8 row_mask:0xf bank_mask:0xf
	v_add_co_u32 v1, vcc_lo, v1, 0
	v_add_co_ci_u32_e32 v2, vcc_lo, v2, v5, vcc_lo
	s_delay_alu instid0(VALU_DEP_2) | instskip(NEXT) | instid1(VALU_DEP_2)
	v_add_co_u32 v1, vcc_lo, v1, v6
	v_mov_b32_dpp v5, v2 row_ror:8 row_mask:0xf bank_mask:0xf
	v_add_co_ci_u32_e32 v2, vcc_lo, 0, v2, vcc_lo
	ds_swizzle_b32 v6, v1 offset:swizzle(BROADCAST,32,15)
	v_add_co_u32 v1, vcc_lo, v1, 0
	v_add_co_ci_u32_e32 v2, vcc_lo, v2, v5, vcc_lo
	ds_swizzle_b32 v5, v2 offset:swizzle(BROADCAST,32,15)
	s_waitcnt lgkmcnt(1)
	v_add_co_u32 v1, vcc_lo, v1, v6
	v_add_co_ci_u32_e32 v2, vcc_lo, 0, v2, vcc_lo
	ds_bpermute_b32 v1, v4, v1 offset:124
	s_waitcnt lgkmcnt(1)
	v_add_nc_u32_e32 v2, v5, v2
	ds_bpermute_b32 v2, v4, v2 offset:124
	v_cmpx_eq_u32_e32 0, v3
	s_cbranch_execz .LBB319_732
; %bb.731:
	v_lshrrev_b32_e32 v4, 2, v0
	s_delay_alu instid0(VALU_DEP_1)
	v_and_b32_e32 v4, 24, v4
	s_waitcnt lgkmcnt(0)
	ds_store_b64 v4, v[1:2] offset:64
.LBB319_732:
	s_or_b32 exec_lo, exec_lo, s4
	s_delay_alu instid0(SALU_CYCLE_1)
	s_mov_b32 s4, exec_lo
	s_waitcnt lgkmcnt(0)
	s_barrier
	buffer_gl0_inv
	v_cmpx_gt_u32_e32 32, v0
	s_cbranch_execz .LBB319_734
; %bb.733:
	v_and_b32_e32 v4, 3, v3
	s_delay_alu instid0(VALU_DEP_1) | instskip(SKIP_4) | instid1(VALU_DEP_2)
	v_lshlrev_b32_e32 v1, 3, v4
	v_cmp_ne_u32_e32 vcc_lo, 3, v4
	ds_load_b64 v[1:2], v1 offset:64
	v_add_co_ci_u32_e32 v5, vcc_lo, 0, v3, vcc_lo
	v_cmp_gt_u32_e32 vcc_lo, 2, v4
	v_lshlrev_b32_e32 v5, 2, v5
	v_cndmask_b32_e64 v4, 0, 1, vcc_lo
	s_delay_alu instid0(VALU_DEP_1) | instskip(NEXT) | instid1(VALU_DEP_1)
	v_lshlrev_b32_e32 v4, 1, v4
	v_add_lshl_u32 v4, v4, v3, 2
	s_waitcnt lgkmcnt(0)
	ds_bpermute_b32 v6, v5, v1
	ds_bpermute_b32 v5, v5, v2
	s_waitcnt lgkmcnt(1)
	v_add_co_u32 v1, vcc_lo, v1, v6
	v_add_co_ci_u32_e32 v2, vcc_lo, 0, v2, vcc_lo
	ds_bpermute_b32 v6, v4, v1
	v_add_co_u32 v1, vcc_lo, 0, v1
	s_waitcnt lgkmcnt(1)
	v_add_co_ci_u32_e32 v2, vcc_lo, v5, v2, vcc_lo
	ds_bpermute_b32 v4, v4, v2
	s_waitcnt lgkmcnt(1)
	v_add_co_u32 v1, vcc_lo, v1, v6
	v_add_co_ci_u32_e32 v2, vcc_lo, 0, v2, vcc_lo
	s_delay_alu instid0(VALU_DEP_2) | instskip(SKIP_1) | instid1(VALU_DEP_2)
	v_add_co_u32 v1, vcc_lo, v1, 0
	s_waitcnt lgkmcnt(0)
	v_add_co_ci_u32_e32 v2, vcc_lo, v2, v4, vcc_lo
.LBB319_734:
	s_or_b32 exec_lo, exec_lo, s4
	s_branch .LBB319_757
.LBB319_735:
                                        ; implicit-def: $vgpr1_vgpr2
	s_cbranch_execz .LBB319_757
; %bb.736:
	s_sub_i32 s4, s20, s2
	s_mov_b32 s5, exec_lo
                                        ; implicit-def: $vgpr1_vgpr2
	v_cmpx_gt_u32_e64 s4, v0
	s_cbranch_execz .LBB319_738
; %bb.737:
	s_lshl_b64 s[2:3], s[2:3], 3
	v_lshlrev_b32_e32 v1, 3, v0
	s_add_u32 s2, s24, s2
	s_addc_u32 s3, s25, s3
	global_load_b64 v[1:2], v1, s[2:3]
	s_mov_b32 s2, 0
	s_waitcnt vmcnt(0)
	v_cmp_neq_f64_e32 vcc_lo, 0, v[1:2]
	v_mov_b32_e32 v2, s2
	v_cndmask_b32_e64 v1, 0, 1, vcc_lo
.LBB319_738:
	s_or_b32 exec_lo, exec_lo, s5
	v_cmp_ne_u32_e32 vcc_lo, 31, v3
	s_min_u32 s2, s4, 0x80
	v_add_nc_u32_e32 v5, 1, v3
	v_add_co_ci_u32_e32 v4, vcc_lo, 0, v3, vcc_lo
	s_delay_alu instid0(VALU_DEP_1) | instskip(SKIP_3) | instid1(VALU_DEP_1)
	v_lshlrev_b32_e32 v4, 2, v4
	ds_bpermute_b32 v7, v4, v1
	ds_bpermute_b32 v6, v4, v2
	v_and_b32_e32 v4, 0x60, v0
	v_sub_nc_u32_e64 v4, s2, v4 clamp
	s_delay_alu instid0(VALU_DEP_1)
	v_cmp_lt_u32_e32 vcc_lo, v5, v4
	v_mov_b32_e32 v5, v1
	s_and_saveexec_b32 s3, vcc_lo
	s_cbranch_execz .LBB319_740
; %bb.739:
	s_waitcnt lgkmcnt(1)
	v_add_co_u32 v5, vcc_lo, v1, v7
	v_add_co_ci_u32_e32 v2, vcc_lo, 0, v2, vcc_lo
	s_delay_alu instid0(VALU_DEP_2) | instskip(SKIP_1) | instid1(VALU_DEP_2)
	v_add_co_u32 v1, vcc_lo, 0, v5
	s_waitcnt lgkmcnt(0)
	v_add_co_ci_u32_e32 v2, vcc_lo, v6, v2, vcc_lo
.LBB319_740:
	s_or_b32 exec_lo, exec_lo, s3
	v_cmp_gt_u32_e32 vcc_lo, 30, v3
	v_add_nc_u32_e32 v8, 2, v3
	s_mov_b32 s3, exec_lo
	s_waitcnt lgkmcnt(0)
	v_cndmask_b32_e64 v6, 0, 1, vcc_lo
	s_delay_alu instid0(VALU_DEP_1) | instskip(NEXT) | instid1(VALU_DEP_1)
	v_lshlrev_b32_e32 v6, 1, v6
	v_add_lshl_u32 v6, v6, v3, 2
	ds_bpermute_b32 v7, v6, v5
	ds_bpermute_b32 v6, v6, v2
	v_cmpx_lt_u32_e64 v8, v4
	s_cbranch_execz .LBB319_742
; %bb.741:
	s_waitcnt lgkmcnt(1)
	v_add_co_u32 v5, vcc_lo, v1, v7
	v_add_co_ci_u32_e32 v2, vcc_lo, 0, v2, vcc_lo
	s_delay_alu instid0(VALU_DEP_2) | instskip(SKIP_1) | instid1(VALU_DEP_2)
	v_add_co_u32 v1, vcc_lo, 0, v5
	s_waitcnt lgkmcnt(0)
	v_add_co_ci_u32_e32 v2, vcc_lo, v6, v2, vcc_lo
.LBB319_742:
	s_or_b32 exec_lo, exec_lo, s3
	v_cmp_gt_u32_e32 vcc_lo, 28, v3
	v_add_nc_u32_e32 v8, 4, v3
	s_mov_b32 s3, exec_lo
	s_waitcnt lgkmcnt(0)
	v_cndmask_b32_e64 v6, 0, 1, vcc_lo
	s_delay_alu instid0(VALU_DEP_1) | instskip(NEXT) | instid1(VALU_DEP_1)
	v_lshlrev_b32_e32 v6, 2, v6
	v_add_lshl_u32 v6, v6, v3, 2
	ds_bpermute_b32 v7, v6, v5
	ds_bpermute_b32 v6, v6, v2
	v_cmpx_lt_u32_e64 v8, v4
	;; [unrolled: 22-line block ×3, first 2 shown]
	s_cbranch_execz .LBB319_746
; %bb.745:
	s_waitcnt lgkmcnt(1)
	v_add_co_u32 v5, vcc_lo, v1, v7
	v_add_co_ci_u32_e32 v2, vcc_lo, 0, v2, vcc_lo
	s_delay_alu instid0(VALU_DEP_2) | instskip(SKIP_1) | instid1(VALU_DEP_2)
	v_add_co_u32 v1, vcc_lo, 0, v5
	s_waitcnt lgkmcnt(0)
	v_add_co_ci_u32_e32 v2, vcc_lo, v6, v2, vcc_lo
.LBB319_746:
	s_or_b32 exec_lo, exec_lo, s3
	v_cmp_gt_u32_e32 vcc_lo, 16, v3
	s_mov_b32 s3, exec_lo
	s_waitcnt lgkmcnt(0)
	v_cndmask_b32_e64 v6, 0, 1, vcc_lo
	s_delay_alu instid0(VALU_DEP_1) | instskip(NEXT) | instid1(VALU_DEP_1)
	v_lshlrev_b32_e32 v6, 4, v6
	v_add_lshl_u32 v7, v6, v3, 2
	ds_bpermute_b32 v6, v7, v5
	ds_bpermute_b32 v5, v7, v2
	v_add_nc_u32_e32 v7, 16, v3
	s_delay_alu instid0(VALU_DEP_1)
	v_cmpx_lt_u32_e64 v7, v4
	s_cbranch_execz .LBB319_748
; %bb.747:
	s_waitcnt lgkmcnt(1)
	v_add_co_u32 v1, vcc_lo, v1, v6
	v_add_co_ci_u32_e32 v2, vcc_lo, 0, v2, vcc_lo
	s_delay_alu instid0(VALU_DEP_2) | instskip(SKIP_1) | instid1(VALU_DEP_2)
	v_add_co_u32 v1, vcc_lo, v1, 0
	s_waitcnt lgkmcnt(0)
	v_add_co_ci_u32_e32 v2, vcc_lo, v2, v5, vcc_lo
.LBB319_748:
	s_or_b32 exec_lo, exec_lo, s3
	s_delay_alu instid0(SALU_CYCLE_1)
	s_mov_b32 s3, exec_lo
	v_cmpx_eq_u32_e32 0, v3
	s_cbranch_execz .LBB319_750
; %bb.749:
	v_lshrrev_b32_e32 v4, 2, v0
	s_delay_alu instid0(VALU_DEP_1)
	v_and_b32_e32 v4, 24, v4
	ds_store_b64 v4, v[1:2] offset:256
.LBB319_750:
	s_or_b32 exec_lo, exec_lo, s3
	s_delay_alu instid0(SALU_CYCLE_1)
	s_mov_b32 s3, exec_lo
	s_waitcnt lgkmcnt(0)
	s_barrier
	buffer_gl0_inv
	v_cmpx_gt_u32_e32 4, v0
	s_cbranch_execz .LBB319_756
; %bb.751:
	v_lshlrev_b32_e32 v1, 3, v3
	s_add_i32 s2, s2, 31
	s_delay_alu instid0(SALU_CYCLE_1) | instskip(SKIP_2) | instid1(VALU_DEP_1)
	s_lshr_b32 s2, s2, 5
	ds_load_b64 v[1:2], v1 offset:256
	v_and_b32_e32 v4, 3, v3
	v_cmp_ne_u32_e32 vcc_lo, 3, v4
	v_add_co_ci_u32_e32 v5, vcc_lo, 0, v3, vcc_lo
	s_delay_alu instid0(VALU_DEP_1) | instskip(SKIP_4) | instid1(VALU_DEP_1)
	v_lshlrev_b32_e32 v5, 2, v5
	s_waitcnt lgkmcnt(0)
	ds_bpermute_b32 v7, v5, v1
	ds_bpermute_b32 v6, v5, v2
	v_add_nc_u32_e32 v5, 1, v4
	v_cmp_gt_u32_e32 vcc_lo, s2, v5
	v_mov_b32_e32 v5, v1
	s_and_saveexec_b32 s4, vcc_lo
	s_cbranch_execz .LBB319_753
; %bb.752:
	s_waitcnt lgkmcnt(1)
	v_add_co_u32 v5, vcc_lo, v1, v7
	v_add_co_ci_u32_e32 v2, vcc_lo, 0, v2, vcc_lo
	s_delay_alu instid0(VALU_DEP_2) | instskip(SKIP_1) | instid1(VALU_DEP_2)
	v_add_co_u32 v1, vcc_lo, 0, v5
	s_waitcnt lgkmcnt(0)
	v_add_co_ci_u32_e32 v2, vcc_lo, v6, v2, vcc_lo
.LBB319_753:
	s_or_b32 exec_lo, exec_lo, s4
	v_cmp_gt_u32_e32 vcc_lo, 2, v4
	v_add_nc_u32_e32 v4, 2, v4
	s_waitcnt lgkmcnt(0)
	v_cndmask_b32_e64 v6, 0, 1, vcc_lo
	s_delay_alu instid0(VALU_DEP_2) | instskip(NEXT) | instid1(VALU_DEP_2)
	v_cmp_gt_u32_e32 vcc_lo, s2, v4
	v_lshlrev_b32_e32 v6, 1, v6
	s_delay_alu instid0(VALU_DEP_1)
	v_add_lshl_u32 v3, v6, v3, 2
	ds_bpermute_b32 v5, v3, v5
	ds_bpermute_b32 v3, v3, v2
	s_and_saveexec_b32 s2, vcc_lo
	s_cbranch_execz .LBB319_755
; %bb.754:
	s_waitcnt lgkmcnt(1)
	v_add_co_u32 v1, vcc_lo, v1, v5
	v_add_co_ci_u32_e32 v2, vcc_lo, 0, v2, vcc_lo
	s_delay_alu instid0(VALU_DEP_2) | instskip(SKIP_1) | instid1(VALU_DEP_2)
	v_add_co_u32 v1, vcc_lo, v1, 0
	s_waitcnt lgkmcnt(0)
	v_add_co_ci_u32_e32 v2, vcc_lo, v2, v3, vcc_lo
.LBB319_755:
	s_or_b32 exec_lo, exec_lo, s2
.LBB319_756:
	s_delay_alu instid0(SALU_CYCLE_1)
	s_or_b32 exec_lo, exec_lo, s3
.LBB319_757:
	v_cmp_eq_u32_e64 s2, 0, v0
.LBB319_758:
	s_delay_alu instid0(VALU_DEP_1)
	s_and_saveexec_b32 s3, s2
	s_cbranch_execz .LBB319_760
; %bb.759:
	s_load_b64 s[0:1], s[0:1], 0x28
	s_cmp_lg_u64 s[20:21], 0
	s_cselect_b32 vcc_lo, -1, 0
	s_lshl_b64 s[2:3], s[18:19], 3
	v_cndmask_b32_e32 v0, 0, v1, vcc_lo
	v_cndmask_b32_e32 v2, 0, v2, vcc_lo
	s_waitcnt lgkmcnt(0)
	s_delay_alu instid0(VALU_DEP_2) | instskip(NEXT) | instid1(VALU_DEP_2)
	v_add_co_u32 v0, vcc_lo, v0, s0
	v_add_co_ci_u32_e32 v1, vcc_lo, s1, v2, vcc_lo
	v_mov_b32_e32 v2, 0
	s_add_u32 s0, s22, s2
	s_addc_u32 s1, s23, s3
	global_store_b64 v2, v[0:1], s[0:1]
.LBB319_760:
	s_nop 0
	s_sendmsg sendmsg(MSG_DEALLOC_VGPRS)
	s_endpgm
	.section	.rodata,"a",@progbits
	.p2align	6, 0x0
	.amdhsa_kernel _ZN7rocprim17ROCPRIM_400000_NS6detail17trampoline_kernelINS0_14default_configENS1_22reduce_config_selectorIbEEZNS1_11reduce_implILb1ES3_N6hipcub16HIPCUB_304000_NS22TransformInputIteratorIb7NonZeroIdEPdlEEPllNS8_6detail34convert_binary_result_type_wrapperINS8_3SumESD_lEEEE10hipError_tPvRmT1_T2_T3_mT4_P12ihipStream_tbEUlT_E1_NS1_11comp_targetILNS1_3genE9ELNS1_11target_archE1100ELNS1_3gpuE3ELNS1_3repE0EEENS1_30default_config_static_selectorELNS0_4arch9wavefront6targetE0EEEvSM_
		.amdhsa_group_segment_fixed_size 288
		.amdhsa_private_segment_fixed_size 20
		.amdhsa_kernarg_size 56
		.amdhsa_user_sgpr_count 15
		.amdhsa_user_sgpr_dispatch_ptr 0
		.amdhsa_user_sgpr_queue_ptr 0
		.amdhsa_user_sgpr_kernarg_segment_ptr 1
		.amdhsa_user_sgpr_dispatch_id 0
		.amdhsa_user_sgpr_private_segment_size 0
		.amdhsa_wavefront_size32 1
		.amdhsa_uses_dynamic_stack 0
		.amdhsa_enable_private_segment 1
		.amdhsa_system_sgpr_workgroup_id_x 1
		.amdhsa_system_sgpr_workgroup_id_y 0
		.amdhsa_system_sgpr_workgroup_id_z 0
		.amdhsa_system_sgpr_workgroup_info 0
		.amdhsa_system_vgpr_workitem_id 0
		.amdhsa_next_free_vgpr 256
		.amdhsa_next_free_sgpr 29
		.amdhsa_reserve_vcc 1
		.amdhsa_float_round_mode_32 0
		.amdhsa_float_round_mode_16_64 0
		.amdhsa_float_denorm_mode_32 3
		.amdhsa_float_denorm_mode_16_64 3
		.amdhsa_dx10_clamp 1
		.amdhsa_ieee_mode 1
		.amdhsa_fp16_overflow 0
		.amdhsa_workgroup_processor_mode 1
		.amdhsa_memory_ordered 1
		.amdhsa_forward_progress 0
		.amdhsa_shared_vgpr_count 0
		.amdhsa_exception_fp_ieee_invalid_op 0
		.amdhsa_exception_fp_denorm_src 0
		.amdhsa_exception_fp_ieee_div_zero 0
		.amdhsa_exception_fp_ieee_overflow 0
		.amdhsa_exception_fp_ieee_underflow 0
		.amdhsa_exception_fp_ieee_inexact 0
		.amdhsa_exception_int_div_zero 0
	.end_amdhsa_kernel
	.section	.text._ZN7rocprim17ROCPRIM_400000_NS6detail17trampoline_kernelINS0_14default_configENS1_22reduce_config_selectorIbEEZNS1_11reduce_implILb1ES3_N6hipcub16HIPCUB_304000_NS22TransformInputIteratorIb7NonZeroIdEPdlEEPllNS8_6detail34convert_binary_result_type_wrapperINS8_3SumESD_lEEEE10hipError_tPvRmT1_T2_T3_mT4_P12ihipStream_tbEUlT_E1_NS1_11comp_targetILNS1_3genE9ELNS1_11target_archE1100ELNS1_3gpuE3ELNS1_3repE0EEENS1_30default_config_static_selectorELNS0_4arch9wavefront6targetE0EEEvSM_,"axG",@progbits,_ZN7rocprim17ROCPRIM_400000_NS6detail17trampoline_kernelINS0_14default_configENS1_22reduce_config_selectorIbEEZNS1_11reduce_implILb1ES3_N6hipcub16HIPCUB_304000_NS22TransformInputIteratorIb7NonZeroIdEPdlEEPllNS8_6detail34convert_binary_result_type_wrapperINS8_3SumESD_lEEEE10hipError_tPvRmT1_T2_T3_mT4_P12ihipStream_tbEUlT_E1_NS1_11comp_targetILNS1_3genE9ELNS1_11target_archE1100ELNS1_3gpuE3ELNS1_3repE0EEENS1_30default_config_static_selectorELNS0_4arch9wavefront6targetE0EEEvSM_,comdat
.Lfunc_end319:
	.size	_ZN7rocprim17ROCPRIM_400000_NS6detail17trampoline_kernelINS0_14default_configENS1_22reduce_config_selectorIbEEZNS1_11reduce_implILb1ES3_N6hipcub16HIPCUB_304000_NS22TransformInputIteratorIb7NonZeroIdEPdlEEPllNS8_6detail34convert_binary_result_type_wrapperINS8_3SumESD_lEEEE10hipError_tPvRmT1_T2_T3_mT4_P12ihipStream_tbEUlT_E1_NS1_11comp_targetILNS1_3genE9ELNS1_11target_archE1100ELNS1_3gpuE3ELNS1_3repE0EEENS1_30default_config_static_selectorELNS0_4arch9wavefront6targetE0EEEvSM_, .Lfunc_end319-_ZN7rocprim17ROCPRIM_400000_NS6detail17trampoline_kernelINS0_14default_configENS1_22reduce_config_selectorIbEEZNS1_11reduce_implILb1ES3_N6hipcub16HIPCUB_304000_NS22TransformInputIteratorIb7NonZeroIdEPdlEEPllNS8_6detail34convert_binary_result_type_wrapperINS8_3SumESD_lEEEE10hipError_tPvRmT1_T2_T3_mT4_P12ihipStream_tbEUlT_E1_NS1_11comp_targetILNS1_3genE9ELNS1_11target_archE1100ELNS1_3gpuE3ELNS1_3repE0EEENS1_30default_config_static_selectorELNS0_4arch9wavefront6targetE0EEEvSM_
                                        ; -- End function
	.section	.AMDGPU.csdata,"",@progbits
; Kernel info:
; codeLenInByte = 47912
; NumSgprs: 31
; NumVgprs: 256
; ScratchSize: 20
; MemoryBound: 0
; FloatMode: 240
; IeeeMode: 1
; LDSByteSize: 288 bytes/workgroup (compile time only)
; SGPRBlocks: 3
; VGPRBlocks: 31
; NumSGPRsForWavesPerEU: 31
; NumVGPRsForWavesPerEU: 256
; Occupancy: 5
; WaveLimiterHint : 1
; COMPUTE_PGM_RSRC2:SCRATCH_EN: 1
; COMPUTE_PGM_RSRC2:USER_SGPR: 15
; COMPUTE_PGM_RSRC2:TRAP_HANDLER: 0
; COMPUTE_PGM_RSRC2:TGID_X_EN: 1
; COMPUTE_PGM_RSRC2:TGID_Y_EN: 0
; COMPUTE_PGM_RSRC2:TGID_Z_EN: 0
; COMPUTE_PGM_RSRC2:TIDIG_COMP_CNT: 0
	.section	.text._ZN7rocprim17ROCPRIM_400000_NS6detail17trampoline_kernelINS0_14default_configENS1_22reduce_config_selectorIbEEZNS1_11reduce_implILb1ES3_N6hipcub16HIPCUB_304000_NS22TransformInputIteratorIb7NonZeroIdEPdlEEPllNS8_6detail34convert_binary_result_type_wrapperINS8_3SumESD_lEEEE10hipError_tPvRmT1_T2_T3_mT4_P12ihipStream_tbEUlT_E1_NS1_11comp_targetILNS1_3genE8ELNS1_11target_archE1030ELNS1_3gpuE2ELNS1_3repE0EEENS1_30default_config_static_selectorELNS0_4arch9wavefront6targetE0EEEvSM_,"axG",@progbits,_ZN7rocprim17ROCPRIM_400000_NS6detail17trampoline_kernelINS0_14default_configENS1_22reduce_config_selectorIbEEZNS1_11reduce_implILb1ES3_N6hipcub16HIPCUB_304000_NS22TransformInputIteratorIb7NonZeroIdEPdlEEPllNS8_6detail34convert_binary_result_type_wrapperINS8_3SumESD_lEEEE10hipError_tPvRmT1_T2_T3_mT4_P12ihipStream_tbEUlT_E1_NS1_11comp_targetILNS1_3genE8ELNS1_11target_archE1030ELNS1_3gpuE2ELNS1_3repE0EEENS1_30default_config_static_selectorELNS0_4arch9wavefront6targetE0EEEvSM_,comdat
	.protected	_ZN7rocprim17ROCPRIM_400000_NS6detail17trampoline_kernelINS0_14default_configENS1_22reduce_config_selectorIbEEZNS1_11reduce_implILb1ES3_N6hipcub16HIPCUB_304000_NS22TransformInputIteratorIb7NonZeroIdEPdlEEPllNS8_6detail34convert_binary_result_type_wrapperINS8_3SumESD_lEEEE10hipError_tPvRmT1_T2_T3_mT4_P12ihipStream_tbEUlT_E1_NS1_11comp_targetILNS1_3genE8ELNS1_11target_archE1030ELNS1_3gpuE2ELNS1_3repE0EEENS1_30default_config_static_selectorELNS0_4arch9wavefront6targetE0EEEvSM_ ; -- Begin function _ZN7rocprim17ROCPRIM_400000_NS6detail17trampoline_kernelINS0_14default_configENS1_22reduce_config_selectorIbEEZNS1_11reduce_implILb1ES3_N6hipcub16HIPCUB_304000_NS22TransformInputIteratorIb7NonZeroIdEPdlEEPllNS8_6detail34convert_binary_result_type_wrapperINS8_3SumESD_lEEEE10hipError_tPvRmT1_T2_T3_mT4_P12ihipStream_tbEUlT_E1_NS1_11comp_targetILNS1_3genE8ELNS1_11target_archE1030ELNS1_3gpuE2ELNS1_3repE0EEENS1_30default_config_static_selectorELNS0_4arch9wavefront6targetE0EEEvSM_
	.globl	_ZN7rocprim17ROCPRIM_400000_NS6detail17trampoline_kernelINS0_14default_configENS1_22reduce_config_selectorIbEEZNS1_11reduce_implILb1ES3_N6hipcub16HIPCUB_304000_NS22TransformInputIteratorIb7NonZeroIdEPdlEEPllNS8_6detail34convert_binary_result_type_wrapperINS8_3SumESD_lEEEE10hipError_tPvRmT1_T2_T3_mT4_P12ihipStream_tbEUlT_E1_NS1_11comp_targetILNS1_3genE8ELNS1_11target_archE1030ELNS1_3gpuE2ELNS1_3repE0EEENS1_30default_config_static_selectorELNS0_4arch9wavefront6targetE0EEEvSM_
	.p2align	8
	.type	_ZN7rocprim17ROCPRIM_400000_NS6detail17trampoline_kernelINS0_14default_configENS1_22reduce_config_selectorIbEEZNS1_11reduce_implILb1ES3_N6hipcub16HIPCUB_304000_NS22TransformInputIteratorIb7NonZeroIdEPdlEEPllNS8_6detail34convert_binary_result_type_wrapperINS8_3SumESD_lEEEE10hipError_tPvRmT1_T2_T3_mT4_P12ihipStream_tbEUlT_E1_NS1_11comp_targetILNS1_3genE8ELNS1_11target_archE1030ELNS1_3gpuE2ELNS1_3repE0EEENS1_30default_config_static_selectorELNS0_4arch9wavefront6targetE0EEEvSM_,@function
_ZN7rocprim17ROCPRIM_400000_NS6detail17trampoline_kernelINS0_14default_configENS1_22reduce_config_selectorIbEEZNS1_11reduce_implILb1ES3_N6hipcub16HIPCUB_304000_NS22TransformInputIteratorIb7NonZeroIdEPdlEEPllNS8_6detail34convert_binary_result_type_wrapperINS8_3SumESD_lEEEE10hipError_tPvRmT1_T2_T3_mT4_P12ihipStream_tbEUlT_E1_NS1_11comp_targetILNS1_3genE8ELNS1_11target_archE1030ELNS1_3gpuE2ELNS1_3repE0EEENS1_30default_config_static_selectorELNS0_4arch9wavefront6targetE0EEEvSM_: ; @_ZN7rocprim17ROCPRIM_400000_NS6detail17trampoline_kernelINS0_14default_configENS1_22reduce_config_selectorIbEEZNS1_11reduce_implILb1ES3_N6hipcub16HIPCUB_304000_NS22TransformInputIteratorIb7NonZeroIdEPdlEEPllNS8_6detail34convert_binary_result_type_wrapperINS8_3SumESD_lEEEE10hipError_tPvRmT1_T2_T3_mT4_P12ihipStream_tbEUlT_E1_NS1_11comp_targetILNS1_3genE8ELNS1_11target_archE1030ELNS1_3gpuE2ELNS1_3repE0EEENS1_30default_config_static_selectorELNS0_4arch9wavefront6targetE0EEEvSM_
; %bb.0:
	.section	.rodata,"a",@progbits
	.p2align	6, 0x0
	.amdhsa_kernel _ZN7rocprim17ROCPRIM_400000_NS6detail17trampoline_kernelINS0_14default_configENS1_22reduce_config_selectorIbEEZNS1_11reduce_implILb1ES3_N6hipcub16HIPCUB_304000_NS22TransformInputIteratorIb7NonZeroIdEPdlEEPllNS8_6detail34convert_binary_result_type_wrapperINS8_3SumESD_lEEEE10hipError_tPvRmT1_T2_T3_mT4_P12ihipStream_tbEUlT_E1_NS1_11comp_targetILNS1_3genE8ELNS1_11target_archE1030ELNS1_3gpuE2ELNS1_3repE0EEENS1_30default_config_static_selectorELNS0_4arch9wavefront6targetE0EEEvSM_
		.amdhsa_group_segment_fixed_size 0
		.amdhsa_private_segment_fixed_size 0
		.amdhsa_kernarg_size 56
		.amdhsa_user_sgpr_count 15
		.amdhsa_user_sgpr_dispatch_ptr 0
		.amdhsa_user_sgpr_queue_ptr 0
		.amdhsa_user_sgpr_kernarg_segment_ptr 1
		.amdhsa_user_sgpr_dispatch_id 0
		.amdhsa_user_sgpr_private_segment_size 0
		.amdhsa_wavefront_size32 1
		.amdhsa_uses_dynamic_stack 0
		.amdhsa_enable_private_segment 0
		.amdhsa_system_sgpr_workgroup_id_x 1
		.amdhsa_system_sgpr_workgroup_id_y 0
		.amdhsa_system_sgpr_workgroup_id_z 0
		.amdhsa_system_sgpr_workgroup_info 0
		.amdhsa_system_vgpr_workitem_id 0
		.amdhsa_next_free_vgpr 1
		.amdhsa_next_free_sgpr 1
		.amdhsa_reserve_vcc 0
		.amdhsa_float_round_mode_32 0
		.amdhsa_float_round_mode_16_64 0
		.amdhsa_float_denorm_mode_32 3
		.amdhsa_float_denorm_mode_16_64 3
		.amdhsa_dx10_clamp 1
		.amdhsa_ieee_mode 1
		.amdhsa_fp16_overflow 0
		.amdhsa_workgroup_processor_mode 1
		.amdhsa_memory_ordered 1
		.amdhsa_forward_progress 0
		.amdhsa_shared_vgpr_count 0
		.amdhsa_exception_fp_ieee_invalid_op 0
		.amdhsa_exception_fp_denorm_src 0
		.amdhsa_exception_fp_ieee_div_zero 0
		.amdhsa_exception_fp_ieee_overflow 0
		.amdhsa_exception_fp_ieee_underflow 0
		.amdhsa_exception_fp_ieee_inexact 0
		.amdhsa_exception_int_div_zero 0
	.end_amdhsa_kernel
	.section	.text._ZN7rocprim17ROCPRIM_400000_NS6detail17trampoline_kernelINS0_14default_configENS1_22reduce_config_selectorIbEEZNS1_11reduce_implILb1ES3_N6hipcub16HIPCUB_304000_NS22TransformInputIteratorIb7NonZeroIdEPdlEEPllNS8_6detail34convert_binary_result_type_wrapperINS8_3SumESD_lEEEE10hipError_tPvRmT1_T2_T3_mT4_P12ihipStream_tbEUlT_E1_NS1_11comp_targetILNS1_3genE8ELNS1_11target_archE1030ELNS1_3gpuE2ELNS1_3repE0EEENS1_30default_config_static_selectorELNS0_4arch9wavefront6targetE0EEEvSM_,"axG",@progbits,_ZN7rocprim17ROCPRIM_400000_NS6detail17trampoline_kernelINS0_14default_configENS1_22reduce_config_selectorIbEEZNS1_11reduce_implILb1ES3_N6hipcub16HIPCUB_304000_NS22TransformInputIteratorIb7NonZeroIdEPdlEEPllNS8_6detail34convert_binary_result_type_wrapperINS8_3SumESD_lEEEE10hipError_tPvRmT1_T2_T3_mT4_P12ihipStream_tbEUlT_E1_NS1_11comp_targetILNS1_3genE8ELNS1_11target_archE1030ELNS1_3gpuE2ELNS1_3repE0EEENS1_30default_config_static_selectorELNS0_4arch9wavefront6targetE0EEEvSM_,comdat
.Lfunc_end320:
	.size	_ZN7rocprim17ROCPRIM_400000_NS6detail17trampoline_kernelINS0_14default_configENS1_22reduce_config_selectorIbEEZNS1_11reduce_implILb1ES3_N6hipcub16HIPCUB_304000_NS22TransformInputIteratorIb7NonZeroIdEPdlEEPllNS8_6detail34convert_binary_result_type_wrapperINS8_3SumESD_lEEEE10hipError_tPvRmT1_T2_T3_mT4_P12ihipStream_tbEUlT_E1_NS1_11comp_targetILNS1_3genE8ELNS1_11target_archE1030ELNS1_3gpuE2ELNS1_3repE0EEENS1_30default_config_static_selectorELNS0_4arch9wavefront6targetE0EEEvSM_, .Lfunc_end320-_ZN7rocprim17ROCPRIM_400000_NS6detail17trampoline_kernelINS0_14default_configENS1_22reduce_config_selectorIbEEZNS1_11reduce_implILb1ES3_N6hipcub16HIPCUB_304000_NS22TransformInputIteratorIb7NonZeroIdEPdlEEPllNS8_6detail34convert_binary_result_type_wrapperINS8_3SumESD_lEEEE10hipError_tPvRmT1_T2_T3_mT4_P12ihipStream_tbEUlT_E1_NS1_11comp_targetILNS1_3genE8ELNS1_11target_archE1030ELNS1_3gpuE2ELNS1_3repE0EEENS1_30default_config_static_selectorELNS0_4arch9wavefront6targetE0EEEvSM_
                                        ; -- End function
	.section	.AMDGPU.csdata,"",@progbits
; Kernel info:
; codeLenInByte = 0
; NumSgprs: 0
; NumVgprs: 0
; ScratchSize: 0
; MemoryBound: 0
; FloatMode: 240
; IeeeMode: 1
; LDSByteSize: 0 bytes/workgroup (compile time only)
; SGPRBlocks: 0
; VGPRBlocks: 0
; NumSGPRsForWavesPerEU: 1
; NumVGPRsForWavesPerEU: 1
; Occupancy: 16
; WaveLimiterHint : 0
; COMPUTE_PGM_RSRC2:SCRATCH_EN: 0
; COMPUTE_PGM_RSRC2:USER_SGPR: 15
; COMPUTE_PGM_RSRC2:TRAP_HANDLER: 0
; COMPUTE_PGM_RSRC2:TGID_X_EN: 1
; COMPUTE_PGM_RSRC2:TGID_Y_EN: 0
; COMPUTE_PGM_RSRC2:TGID_Z_EN: 0
; COMPUTE_PGM_RSRC2:TIDIG_COMP_CNT: 0
	.section	.text._ZN7rocprim17ROCPRIM_400000_NS6detail17trampoline_kernelINS0_14default_configENS1_25partition_config_selectorILNS1_17partition_subalgoE5ElNS0_10empty_typeEbEEZZNS1_14partition_implILS5_5ELb0ES3_mN6hipcub16HIPCUB_304000_NS21CountingInputIteratorIllEEPS6_NSA_22TransformInputIteratorIb7NonZeroIdEPdlEENS0_5tupleIJPlS6_EEENSJ_IJSD_SD_EEES6_SK_JS6_EEE10hipError_tPvRmT3_T4_T5_T6_T7_T9_mT8_P12ihipStream_tbDpT10_ENKUlT_T0_E_clISt17integral_constantIbLb0EES16_EEDaS11_S12_EUlS11_E_NS1_11comp_targetILNS1_3genE0ELNS1_11target_archE4294967295ELNS1_3gpuE0ELNS1_3repE0EEENS1_30default_config_static_selectorELNS0_4arch9wavefront6targetE0EEEvT1_,"axG",@progbits,_ZN7rocprim17ROCPRIM_400000_NS6detail17trampoline_kernelINS0_14default_configENS1_25partition_config_selectorILNS1_17partition_subalgoE5ElNS0_10empty_typeEbEEZZNS1_14partition_implILS5_5ELb0ES3_mN6hipcub16HIPCUB_304000_NS21CountingInputIteratorIllEEPS6_NSA_22TransformInputIteratorIb7NonZeroIdEPdlEENS0_5tupleIJPlS6_EEENSJ_IJSD_SD_EEES6_SK_JS6_EEE10hipError_tPvRmT3_T4_T5_T6_T7_T9_mT8_P12ihipStream_tbDpT10_ENKUlT_T0_E_clISt17integral_constantIbLb0EES16_EEDaS11_S12_EUlS11_E_NS1_11comp_targetILNS1_3genE0ELNS1_11target_archE4294967295ELNS1_3gpuE0ELNS1_3repE0EEENS1_30default_config_static_selectorELNS0_4arch9wavefront6targetE0EEEvT1_,comdat
	.protected	_ZN7rocprim17ROCPRIM_400000_NS6detail17trampoline_kernelINS0_14default_configENS1_25partition_config_selectorILNS1_17partition_subalgoE5ElNS0_10empty_typeEbEEZZNS1_14partition_implILS5_5ELb0ES3_mN6hipcub16HIPCUB_304000_NS21CountingInputIteratorIllEEPS6_NSA_22TransformInputIteratorIb7NonZeroIdEPdlEENS0_5tupleIJPlS6_EEENSJ_IJSD_SD_EEES6_SK_JS6_EEE10hipError_tPvRmT3_T4_T5_T6_T7_T9_mT8_P12ihipStream_tbDpT10_ENKUlT_T0_E_clISt17integral_constantIbLb0EES16_EEDaS11_S12_EUlS11_E_NS1_11comp_targetILNS1_3genE0ELNS1_11target_archE4294967295ELNS1_3gpuE0ELNS1_3repE0EEENS1_30default_config_static_selectorELNS0_4arch9wavefront6targetE0EEEvT1_ ; -- Begin function _ZN7rocprim17ROCPRIM_400000_NS6detail17trampoline_kernelINS0_14default_configENS1_25partition_config_selectorILNS1_17partition_subalgoE5ElNS0_10empty_typeEbEEZZNS1_14partition_implILS5_5ELb0ES3_mN6hipcub16HIPCUB_304000_NS21CountingInputIteratorIllEEPS6_NSA_22TransformInputIteratorIb7NonZeroIdEPdlEENS0_5tupleIJPlS6_EEENSJ_IJSD_SD_EEES6_SK_JS6_EEE10hipError_tPvRmT3_T4_T5_T6_T7_T9_mT8_P12ihipStream_tbDpT10_ENKUlT_T0_E_clISt17integral_constantIbLb0EES16_EEDaS11_S12_EUlS11_E_NS1_11comp_targetILNS1_3genE0ELNS1_11target_archE4294967295ELNS1_3gpuE0ELNS1_3repE0EEENS1_30default_config_static_selectorELNS0_4arch9wavefront6targetE0EEEvT1_
	.globl	_ZN7rocprim17ROCPRIM_400000_NS6detail17trampoline_kernelINS0_14default_configENS1_25partition_config_selectorILNS1_17partition_subalgoE5ElNS0_10empty_typeEbEEZZNS1_14partition_implILS5_5ELb0ES3_mN6hipcub16HIPCUB_304000_NS21CountingInputIteratorIllEEPS6_NSA_22TransformInputIteratorIb7NonZeroIdEPdlEENS0_5tupleIJPlS6_EEENSJ_IJSD_SD_EEES6_SK_JS6_EEE10hipError_tPvRmT3_T4_T5_T6_T7_T9_mT8_P12ihipStream_tbDpT10_ENKUlT_T0_E_clISt17integral_constantIbLb0EES16_EEDaS11_S12_EUlS11_E_NS1_11comp_targetILNS1_3genE0ELNS1_11target_archE4294967295ELNS1_3gpuE0ELNS1_3repE0EEENS1_30default_config_static_selectorELNS0_4arch9wavefront6targetE0EEEvT1_
	.p2align	8
	.type	_ZN7rocprim17ROCPRIM_400000_NS6detail17trampoline_kernelINS0_14default_configENS1_25partition_config_selectorILNS1_17partition_subalgoE5ElNS0_10empty_typeEbEEZZNS1_14partition_implILS5_5ELb0ES3_mN6hipcub16HIPCUB_304000_NS21CountingInputIteratorIllEEPS6_NSA_22TransformInputIteratorIb7NonZeroIdEPdlEENS0_5tupleIJPlS6_EEENSJ_IJSD_SD_EEES6_SK_JS6_EEE10hipError_tPvRmT3_T4_T5_T6_T7_T9_mT8_P12ihipStream_tbDpT10_ENKUlT_T0_E_clISt17integral_constantIbLb0EES16_EEDaS11_S12_EUlS11_E_NS1_11comp_targetILNS1_3genE0ELNS1_11target_archE4294967295ELNS1_3gpuE0ELNS1_3repE0EEENS1_30default_config_static_selectorELNS0_4arch9wavefront6targetE0EEEvT1_,@function
_ZN7rocprim17ROCPRIM_400000_NS6detail17trampoline_kernelINS0_14default_configENS1_25partition_config_selectorILNS1_17partition_subalgoE5ElNS0_10empty_typeEbEEZZNS1_14partition_implILS5_5ELb0ES3_mN6hipcub16HIPCUB_304000_NS21CountingInputIteratorIllEEPS6_NSA_22TransformInputIteratorIb7NonZeroIdEPdlEENS0_5tupleIJPlS6_EEENSJ_IJSD_SD_EEES6_SK_JS6_EEE10hipError_tPvRmT3_T4_T5_T6_T7_T9_mT8_P12ihipStream_tbDpT10_ENKUlT_T0_E_clISt17integral_constantIbLb0EES16_EEDaS11_S12_EUlS11_E_NS1_11comp_targetILNS1_3genE0ELNS1_11target_archE4294967295ELNS1_3gpuE0ELNS1_3repE0EEENS1_30default_config_static_selectorELNS0_4arch9wavefront6targetE0EEEvT1_: ; @_ZN7rocprim17ROCPRIM_400000_NS6detail17trampoline_kernelINS0_14default_configENS1_25partition_config_selectorILNS1_17partition_subalgoE5ElNS0_10empty_typeEbEEZZNS1_14partition_implILS5_5ELb0ES3_mN6hipcub16HIPCUB_304000_NS21CountingInputIteratorIllEEPS6_NSA_22TransformInputIteratorIb7NonZeroIdEPdlEENS0_5tupleIJPlS6_EEENSJ_IJSD_SD_EEES6_SK_JS6_EEE10hipError_tPvRmT3_T4_T5_T6_T7_T9_mT8_P12ihipStream_tbDpT10_ENKUlT_T0_E_clISt17integral_constantIbLb0EES16_EEDaS11_S12_EUlS11_E_NS1_11comp_targetILNS1_3genE0ELNS1_11target_archE4294967295ELNS1_3gpuE0ELNS1_3repE0EEENS1_30default_config_static_selectorELNS0_4arch9wavefront6targetE0EEEvT1_
; %bb.0:
	.section	.rodata,"a",@progbits
	.p2align	6, 0x0
	.amdhsa_kernel _ZN7rocprim17ROCPRIM_400000_NS6detail17trampoline_kernelINS0_14default_configENS1_25partition_config_selectorILNS1_17partition_subalgoE5ElNS0_10empty_typeEbEEZZNS1_14partition_implILS5_5ELb0ES3_mN6hipcub16HIPCUB_304000_NS21CountingInputIteratorIllEEPS6_NSA_22TransformInputIteratorIb7NonZeroIdEPdlEENS0_5tupleIJPlS6_EEENSJ_IJSD_SD_EEES6_SK_JS6_EEE10hipError_tPvRmT3_T4_T5_T6_T7_T9_mT8_P12ihipStream_tbDpT10_ENKUlT_T0_E_clISt17integral_constantIbLb0EES16_EEDaS11_S12_EUlS11_E_NS1_11comp_targetILNS1_3genE0ELNS1_11target_archE4294967295ELNS1_3gpuE0ELNS1_3repE0EEENS1_30default_config_static_selectorELNS0_4arch9wavefront6targetE0EEEvT1_
		.amdhsa_group_segment_fixed_size 0
		.amdhsa_private_segment_fixed_size 0
		.amdhsa_kernarg_size 120
		.amdhsa_user_sgpr_count 15
		.amdhsa_user_sgpr_dispatch_ptr 0
		.amdhsa_user_sgpr_queue_ptr 0
		.amdhsa_user_sgpr_kernarg_segment_ptr 1
		.amdhsa_user_sgpr_dispatch_id 0
		.amdhsa_user_sgpr_private_segment_size 0
		.amdhsa_wavefront_size32 1
		.amdhsa_uses_dynamic_stack 0
		.amdhsa_enable_private_segment 0
		.amdhsa_system_sgpr_workgroup_id_x 1
		.amdhsa_system_sgpr_workgroup_id_y 0
		.amdhsa_system_sgpr_workgroup_id_z 0
		.amdhsa_system_sgpr_workgroup_info 0
		.amdhsa_system_vgpr_workitem_id 0
		.amdhsa_next_free_vgpr 1
		.amdhsa_next_free_sgpr 1
		.amdhsa_reserve_vcc 0
		.amdhsa_float_round_mode_32 0
		.amdhsa_float_round_mode_16_64 0
		.amdhsa_float_denorm_mode_32 3
		.amdhsa_float_denorm_mode_16_64 3
		.amdhsa_dx10_clamp 1
		.amdhsa_ieee_mode 1
		.amdhsa_fp16_overflow 0
		.amdhsa_workgroup_processor_mode 1
		.amdhsa_memory_ordered 1
		.amdhsa_forward_progress 0
		.amdhsa_shared_vgpr_count 0
		.amdhsa_exception_fp_ieee_invalid_op 0
		.amdhsa_exception_fp_denorm_src 0
		.amdhsa_exception_fp_ieee_div_zero 0
		.amdhsa_exception_fp_ieee_overflow 0
		.amdhsa_exception_fp_ieee_underflow 0
		.amdhsa_exception_fp_ieee_inexact 0
		.amdhsa_exception_int_div_zero 0
	.end_amdhsa_kernel
	.section	.text._ZN7rocprim17ROCPRIM_400000_NS6detail17trampoline_kernelINS0_14default_configENS1_25partition_config_selectorILNS1_17partition_subalgoE5ElNS0_10empty_typeEbEEZZNS1_14partition_implILS5_5ELb0ES3_mN6hipcub16HIPCUB_304000_NS21CountingInputIteratorIllEEPS6_NSA_22TransformInputIteratorIb7NonZeroIdEPdlEENS0_5tupleIJPlS6_EEENSJ_IJSD_SD_EEES6_SK_JS6_EEE10hipError_tPvRmT3_T4_T5_T6_T7_T9_mT8_P12ihipStream_tbDpT10_ENKUlT_T0_E_clISt17integral_constantIbLb0EES16_EEDaS11_S12_EUlS11_E_NS1_11comp_targetILNS1_3genE0ELNS1_11target_archE4294967295ELNS1_3gpuE0ELNS1_3repE0EEENS1_30default_config_static_selectorELNS0_4arch9wavefront6targetE0EEEvT1_,"axG",@progbits,_ZN7rocprim17ROCPRIM_400000_NS6detail17trampoline_kernelINS0_14default_configENS1_25partition_config_selectorILNS1_17partition_subalgoE5ElNS0_10empty_typeEbEEZZNS1_14partition_implILS5_5ELb0ES3_mN6hipcub16HIPCUB_304000_NS21CountingInputIteratorIllEEPS6_NSA_22TransformInputIteratorIb7NonZeroIdEPdlEENS0_5tupleIJPlS6_EEENSJ_IJSD_SD_EEES6_SK_JS6_EEE10hipError_tPvRmT3_T4_T5_T6_T7_T9_mT8_P12ihipStream_tbDpT10_ENKUlT_T0_E_clISt17integral_constantIbLb0EES16_EEDaS11_S12_EUlS11_E_NS1_11comp_targetILNS1_3genE0ELNS1_11target_archE4294967295ELNS1_3gpuE0ELNS1_3repE0EEENS1_30default_config_static_selectorELNS0_4arch9wavefront6targetE0EEEvT1_,comdat
.Lfunc_end321:
	.size	_ZN7rocprim17ROCPRIM_400000_NS6detail17trampoline_kernelINS0_14default_configENS1_25partition_config_selectorILNS1_17partition_subalgoE5ElNS0_10empty_typeEbEEZZNS1_14partition_implILS5_5ELb0ES3_mN6hipcub16HIPCUB_304000_NS21CountingInputIteratorIllEEPS6_NSA_22TransformInputIteratorIb7NonZeroIdEPdlEENS0_5tupleIJPlS6_EEENSJ_IJSD_SD_EEES6_SK_JS6_EEE10hipError_tPvRmT3_T4_T5_T6_T7_T9_mT8_P12ihipStream_tbDpT10_ENKUlT_T0_E_clISt17integral_constantIbLb0EES16_EEDaS11_S12_EUlS11_E_NS1_11comp_targetILNS1_3genE0ELNS1_11target_archE4294967295ELNS1_3gpuE0ELNS1_3repE0EEENS1_30default_config_static_selectorELNS0_4arch9wavefront6targetE0EEEvT1_, .Lfunc_end321-_ZN7rocprim17ROCPRIM_400000_NS6detail17trampoline_kernelINS0_14default_configENS1_25partition_config_selectorILNS1_17partition_subalgoE5ElNS0_10empty_typeEbEEZZNS1_14partition_implILS5_5ELb0ES3_mN6hipcub16HIPCUB_304000_NS21CountingInputIteratorIllEEPS6_NSA_22TransformInputIteratorIb7NonZeroIdEPdlEENS0_5tupleIJPlS6_EEENSJ_IJSD_SD_EEES6_SK_JS6_EEE10hipError_tPvRmT3_T4_T5_T6_T7_T9_mT8_P12ihipStream_tbDpT10_ENKUlT_T0_E_clISt17integral_constantIbLb0EES16_EEDaS11_S12_EUlS11_E_NS1_11comp_targetILNS1_3genE0ELNS1_11target_archE4294967295ELNS1_3gpuE0ELNS1_3repE0EEENS1_30default_config_static_selectorELNS0_4arch9wavefront6targetE0EEEvT1_
                                        ; -- End function
	.section	.AMDGPU.csdata,"",@progbits
; Kernel info:
; codeLenInByte = 0
; NumSgprs: 0
; NumVgprs: 0
; ScratchSize: 0
; MemoryBound: 0
; FloatMode: 240
; IeeeMode: 1
; LDSByteSize: 0 bytes/workgroup (compile time only)
; SGPRBlocks: 0
; VGPRBlocks: 0
; NumSGPRsForWavesPerEU: 1
; NumVGPRsForWavesPerEU: 1
; Occupancy: 16
; WaveLimiterHint : 0
; COMPUTE_PGM_RSRC2:SCRATCH_EN: 0
; COMPUTE_PGM_RSRC2:USER_SGPR: 15
; COMPUTE_PGM_RSRC2:TRAP_HANDLER: 0
; COMPUTE_PGM_RSRC2:TGID_X_EN: 1
; COMPUTE_PGM_RSRC2:TGID_Y_EN: 0
; COMPUTE_PGM_RSRC2:TGID_Z_EN: 0
; COMPUTE_PGM_RSRC2:TIDIG_COMP_CNT: 0
	.section	.text._ZN7rocprim17ROCPRIM_400000_NS6detail17trampoline_kernelINS0_14default_configENS1_25partition_config_selectorILNS1_17partition_subalgoE5ElNS0_10empty_typeEbEEZZNS1_14partition_implILS5_5ELb0ES3_mN6hipcub16HIPCUB_304000_NS21CountingInputIteratorIllEEPS6_NSA_22TransformInputIteratorIb7NonZeroIdEPdlEENS0_5tupleIJPlS6_EEENSJ_IJSD_SD_EEES6_SK_JS6_EEE10hipError_tPvRmT3_T4_T5_T6_T7_T9_mT8_P12ihipStream_tbDpT10_ENKUlT_T0_E_clISt17integral_constantIbLb0EES16_EEDaS11_S12_EUlS11_E_NS1_11comp_targetILNS1_3genE5ELNS1_11target_archE942ELNS1_3gpuE9ELNS1_3repE0EEENS1_30default_config_static_selectorELNS0_4arch9wavefront6targetE0EEEvT1_,"axG",@progbits,_ZN7rocprim17ROCPRIM_400000_NS6detail17trampoline_kernelINS0_14default_configENS1_25partition_config_selectorILNS1_17partition_subalgoE5ElNS0_10empty_typeEbEEZZNS1_14partition_implILS5_5ELb0ES3_mN6hipcub16HIPCUB_304000_NS21CountingInputIteratorIllEEPS6_NSA_22TransformInputIteratorIb7NonZeroIdEPdlEENS0_5tupleIJPlS6_EEENSJ_IJSD_SD_EEES6_SK_JS6_EEE10hipError_tPvRmT3_T4_T5_T6_T7_T9_mT8_P12ihipStream_tbDpT10_ENKUlT_T0_E_clISt17integral_constantIbLb0EES16_EEDaS11_S12_EUlS11_E_NS1_11comp_targetILNS1_3genE5ELNS1_11target_archE942ELNS1_3gpuE9ELNS1_3repE0EEENS1_30default_config_static_selectorELNS0_4arch9wavefront6targetE0EEEvT1_,comdat
	.protected	_ZN7rocprim17ROCPRIM_400000_NS6detail17trampoline_kernelINS0_14default_configENS1_25partition_config_selectorILNS1_17partition_subalgoE5ElNS0_10empty_typeEbEEZZNS1_14partition_implILS5_5ELb0ES3_mN6hipcub16HIPCUB_304000_NS21CountingInputIteratorIllEEPS6_NSA_22TransformInputIteratorIb7NonZeroIdEPdlEENS0_5tupleIJPlS6_EEENSJ_IJSD_SD_EEES6_SK_JS6_EEE10hipError_tPvRmT3_T4_T5_T6_T7_T9_mT8_P12ihipStream_tbDpT10_ENKUlT_T0_E_clISt17integral_constantIbLb0EES16_EEDaS11_S12_EUlS11_E_NS1_11comp_targetILNS1_3genE5ELNS1_11target_archE942ELNS1_3gpuE9ELNS1_3repE0EEENS1_30default_config_static_selectorELNS0_4arch9wavefront6targetE0EEEvT1_ ; -- Begin function _ZN7rocprim17ROCPRIM_400000_NS6detail17trampoline_kernelINS0_14default_configENS1_25partition_config_selectorILNS1_17partition_subalgoE5ElNS0_10empty_typeEbEEZZNS1_14partition_implILS5_5ELb0ES3_mN6hipcub16HIPCUB_304000_NS21CountingInputIteratorIllEEPS6_NSA_22TransformInputIteratorIb7NonZeroIdEPdlEENS0_5tupleIJPlS6_EEENSJ_IJSD_SD_EEES6_SK_JS6_EEE10hipError_tPvRmT3_T4_T5_T6_T7_T9_mT8_P12ihipStream_tbDpT10_ENKUlT_T0_E_clISt17integral_constantIbLb0EES16_EEDaS11_S12_EUlS11_E_NS1_11comp_targetILNS1_3genE5ELNS1_11target_archE942ELNS1_3gpuE9ELNS1_3repE0EEENS1_30default_config_static_selectorELNS0_4arch9wavefront6targetE0EEEvT1_
	.globl	_ZN7rocprim17ROCPRIM_400000_NS6detail17trampoline_kernelINS0_14default_configENS1_25partition_config_selectorILNS1_17partition_subalgoE5ElNS0_10empty_typeEbEEZZNS1_14partition_implILS5_5ELb0ES3_mN6hipcub16HIPCUB_304000_NS21CountingInputIteratorIllEEPS6_NSA_22TransformInputIteratorIb7NonZeroIdEPdlEENS0_5tupleIJPlS6_EEENSJ_IJSD_SD_EEES6_SK_JS6_EEE10hipError_tPvRmT3_T4_T5_T6_T7_T9_mT8_P12ihipStream_tbDpT10_ENKUlT_T0_E_clISt17integral_constantIbLb0EES16_EEDaS11_S12_EUlS11_E_NS1_11comp_targetILNS1_3genE5ELNS1_11target_archE942ELNS1_3gpuE9ELNS1_3repE0EEENS1_30default_config_static_selectorELNS0_4arch9wavefront6targetE0EEEvT1_
	.p2align	8
	.type	_ZN7rocprim17ROCPRIM_400000_NS6detail17trampoline_kernelINS0_14default_configENS1_25partition_config_selectorILNS1_17partition_subalgoE5ElNS0_10empty_typeEbEEZZNS1_14partition_implILS5_5ELb0ES3_mN6hipcub16HIPCUB_304000_NS21CountingInputIteratorIllEEPS6_NSA_22TransformInputIteratorIb7NonZeroIdEPdlEENS0_5tupleIJPlS6_EEENSJ_IJSD_SD_EEES6_SK_JS6_EEE10hipError_tPvRmT3_T4_T5_T6_T7_T9_mT8_P12ihipStream_tbDpT10_ENKUlT_T0_E_clISt17integral_constantIbLb0EES16_EEDaS11_S12_EUlS11_E_NS1_11comp_targetILNS1_3genE5ELNS1_11target_archE942ELNS1_3gpuE9ELNS1_3repE0EEENS1_30default_config_static_selectorELNS0_4arch9wavefront6targetE0EEEvT1_,@function
_ZN7rocprim17ROCPRIM_400000_NS6detail17trampoline_kernelINS0_14default_configENS1_25partition_config_selectorILNS1_17partition_subalgoE5ElNS0_10empty_typeEbEEZZNS1_14partition_implILS5_5ELb0ES3_mN6hipcub16HIPCUB_304000_NS21CountingInputIteratorIllEEPS6_NSA_22TransformInputIteratorIb7NonZeroIdEPdlEENS0_5tupleIJPlS6_EEENSJ_IJSD_SD_EEES6_SK_JS6_EEE10hipError_tPvRmT3_T4_T5_T6_T7_T9_mT8_P12ihipStream_tbDpT10_ENKUlT_T0_E_clISt17integral_constantIbLb0EES16_EEDaS11_S12_EUlS11_E_NS1_11comp_targetILNS1_3genE5ELNS1_11target_archE942ELNS1_3gpuE9ELNS1_3repE0EEENS1_30default_config_static_selectorELNS0_4arch9wavefront6targetE0EEEvT1_: ; @_ZN7rocprim17ROCPRIM_400000_NS6detail17trampoline_kernelINS0_14default_configENS1_25partition_config_selectorILNS1_17partition_subalgoE5ElNS0_10empty_typeEbEEZZNS1_14partition_implILS5_5ELb0ES3_mN6hipcub16HIPCUB_304000_NS21CountingInputIteratorIllEEPS6_NSA_22TransformInputIteratorIb7NonZeroIdEPdlEENS0_5tupleIJPlS6_EEENSJ_IJSD_SD_EEES6_SK_JS6_EEE10hipError_tPvRmT3_T4_T5_T6_T7_T9_mT8_P12ihipStream_tbDpT10_ENKUlT_T0_E_clISt17integral_constantIbLb0EES16_EEDaS11_S12_EUlS11_E_NS1_11comp_targetILNS1_3genE5ELNS1_11target_archE942ELNS1_3gpuE9ELNS1_3repE0EEENS1_30default_config_static_selectorELNS0_4arch9wavefront6targetE0EEEvT1_
; %bb.0:
	.section	.rodata,"a",@progbits
	.p2align	6, 0x0
	.amdhsa_kernel _ZN7rocprim17ROCPRIM_400000_NS6detail17trampoline_kernelINS0_14default_configENS1_25partition_config_selectorILNS1_17partition_subalgoE5ElNS0_10empty_typeEbEEZZNS1_14partition_implILS5_5ELb0ES3_mN6hipcub16HIPCUB_304000_NS21CountingInputIteratorIllEEPS6_NSA_22TransformInputIteratorIb7NonZeroIdEPdlEENS0_5tupleIJPlS6_EEENSJ_IJSD_SD_EEES6_SK_JS6_EEE10hipError_tPvRmT3_T4_T5_T6_T7_T9_mT8_P12ihipStream_tbDpT10_ENKUlT_T0_E_clISt17integral_constantIbLb0EES16_EEDaS11_S12_EUlS11_E_NS1_11comp_targetILNS1_3genE5ELNS1_11target_archE942ELNS1_3gpuE9ELNS1_3repE0EEENS1_30default_config_static_selectorELNS0_4arch9wavefront6targetE0EEEvT1_
		.amdhsa_group_segment_fixed_size 0
		.amdhsa_private_segment_fixed_size 0
		.amdhsa_kernarg_size 120
		.amdhsa_user_sgpr_count 15
		.amdhsa_user_sgpr_dispatch_ptr 0
		.amdhsa_user_sgpr_queue_ptr 0
		.amdhsa_user_sgpr_kernarg_segment_ptr 1
		.amdhsa_user_sgpr_dispatch_id 0
		.amdhsa_user_sgpr_private_segment_size 0
		.amdhsa_wavefront_size32 1
		.amdhsa_uses_dynamic_stack 0
		.amdhsa_enable_private_segment 0
		.amdhsa_system_sgpr_workgroup_id_x 1
		.amdhsa_system_sgpr_workgroup_id_y 0
		.amdhsa_system_sgpr_workgroup_id_z 0
		.amdhsa_system_sgpr_workgroup_info 0
		.amdhsa_system_vgpr_workitem_id 0
		.amdhsa_next_free_vgpr 1
		.amdhsa_next_free_sgpr 1
		.amdhsa_reserve_vcc 0
		.amdhsa_float_round_mode_32 0
		.amdhsa_float_round_mode_16_64 0
		.amdhsa_float_denorm_mode_32 3
		.amdhsa_float_denorm_mode_16_64 3
		.amdhsa_dx10_clamp 1
		.amdhsa_ieee_mode 1
		.amdhsa_fp16_overflow 0
		.amdhsa_workgroup_processor_mode 1
		.amdhsa_memory_ordered 1
		.amdhsa_forward_progress 0
		.amdhsa_shared_vgpr_count 0
		.amdhsa_exception_fp_ieee_invalid_op 0
		.amdhsa_exception_fp_denorm_src 0
		.amdhsa_exception_fp_ieee_div_zero 0
		.amdhsa_exception_fp_ieee_overflow 0
		.amdhsa_exception_fp_ieee_underflow 0
		.amdhsa_exception_fp_ieee_inexact 0
		.amdhsa_exception_int_div_zero 0
	.end_amdhsa_kernel
	.section	.text._ZN7rocprim17ROCPRIM_400000_NS6detail17trampoline_kernelINS0_14default_configENS1_25partition_config_selectorILNS1_17partition_subalgoE5ElNS0_10empty_typeEbEEZZNS1_14partition_implILS5_5ELb0ES3_mN6hipcub16HIPCUB_304000_NS21CountingInputIteratorIllEEPS6_NSA_22TransformInputIteratorIb7NonZeroIdEPdlEENS0_5tupleIJPlS6_EEENSJ_IJSD_SD_EEES6_SK_JS6_EEE10hipError_tPvRmT3_T4_T5_T6_T7_T9_mT8_P12ihipStream_tbDpT10_ENKUlT_T0_E_clISt17integral_constantIbLb0EES16_EEDaS11_S12_EUlS11_E_NS1_11comp_targetILNS1_3genE5ELNS1_11target_archE942ELNS1_3gpuE9ELNS1_3repE0EEENS1_30default_config_static_selectorELNS0_4arch9wavefront6targetE0EEEvT1_,"axG",@progbits,_ZN7rocprim17ROCPRIM_400000_NS6detail17trampoline_kernelINS0_14default_configENS1_25partition_config_selectorILNS1_17partition_subalgoE5ElNS0_10empty_typeEbEEZZNS1_14partition_implILS5_5ELb0ES3_mN6hipcub16HIPCUB_304000_NS21CountingInputIteratorIllEEPS6_NSA_22TransformInputIteratorIb7NonZeroIdEPdlEENS0_5tupleIJPlS6_EEENSJ_IJSD_SD_EEES6_SK_JS6_EEE10hipError_tPvRmT3_T4_T5_T6_T7_T9_mT8_P12ihipStream_tbDpT10_ENKUlT_T0_E_clISt17integral_constantIbLb0EES16_EEDaS11_S12_EUlS11_E_NS1_11comp_targetILNS1_3genE5ELNS1_11target_archE942ELNS1_3gpuE9ELNS1_3repE0EEENS1_30default_config_static_selectorELNS0_4arch9wavefront6targetE0EEEvT1_,comdat
.Lfunc_end322:
	.size	_ZN7rocprim17ROCPRIM_400000_NS6detail17trampoline_kernelINS0_14default_configENS1_25partition_config_selectorILNS1_17partition_subalgoE5ElNS0_10empty_typeEbEEZZNS1_14partition_implILS5_5ELb0ES3_mN6hipcub16HIPCUB_304000_NS21CountingInputIteratorIllEEPS6_NSA_22TransformInputIteratorIb7NonZeroIdEPdlEENS0_5tupleIJPlS6_EEENSJ_IJSD_SD_EEES6_SK_JS6_EEE10hipError_tPvRmT3_T4_T5_T6_T7_T9_mT8_P12ihipStream_tbDpT10_ENKUlT_T0_E_clISt17integral_constantIbLb0EES16_EEDaS11_S12_EUlS11_E_NS1_11comp_targetILNS1_3genE5ELNS1_11target_archE942ELNS1_3gpuE9ELNS1_3repE0EEENS1_30default_config_static_selectorELNS0_4arch9wavefront6targetE0EEEvT1_, .Lfunc_end322-_ZN7rocprim17ROCPRIM_400000_NS6detail17trampoline_kernelINS0_14default_configENS1_25partition_config_selectorILNS1_17partition_subalgoE5ElNS0_10empty_typeEbEEZZNS1_14partition_implILS5_5ELb0ES3_mN6hipcub16HIPCUB_304000_NS21CountingInputIteratorIllEEPS6_NSA_22TransformInputIteratorIb7NonZeroIdEPdlEENS0_5tupleIJPlS6_EEENSJ_IJSD_SD_EEES6_SK_JS6_EEE10hipError_tPvRmT3_T4_T5_T6_T7_T9_mT8_P12ihipStream_tbDpT10_ENKUlT_T0_E_clISt17integral_constantIbLb0EES16_EEDaS11_S12_EUlS11_E_NS1_11comp_targetILNS1_3genE5ELNS1_11target_archE942ELNS1_3gpuE9ELNS1_3repE0EEENS1_30default_config_static_selectorELNS0_4arch9wavefront6targetE0EEEvT1_
                                        ; -- End function
	.section	.AMDGPU.csdata,"",@progbits
; Kernel info:
; codeLenInByte = 0
; NumSgprs: 0
; NumVgprs: 0
; ScratchSize: 0
; MemoryBound: 0
; FloatMode: 240
; IeeeMode: 1
; LDSByteSize: 0 bytes/workgroup (compile time only)
; SGPRBlocks: 0
; VGPRBlocks: 0
; NumSGPRsForWavesPerEU: 1
; NumVGPRsForWavesPerEU: 1
; Occupancy: 16
; WaveLimiterHint : 0
; COMPUTE_PGM_RSRC2:SCRATCH_EN: 0
; COMPUTE_PGM_RSRC2:USER_SGPR: 15
; COMPUTE_PGM_RSRC2:TRAP_HANDLER: 0
; COMPUTE_PGM_RSRC2:TGID_X_EN: 1
; COMPUTE_PGM_RSRC2:TGID_Y_EN: 0
; COMPUTE_PGM_RSRC2:TGID_Z_EN: 0
; COMPUTE_PGM_RSRC2:TIDIG_COMP_CNT: 0
	.section	.text._ZN7rocprim17ROCPRIM_400000_NS6detail17trampoline_kernelINS0_14default_configENS1_25partition_config_selectorILNS1_17partition_subalgoE5ElNS0_10empty_typeEbEEZZNS1_14partition_implILS5_5ELb0ES3_mN6hipcub16HIPCUB_304000_NS21CountingInputIteratorIllEEPS6_NSA_22TransformInputIteratorIb7NonZeroIdEPdlEENS0_5tupleIJPlS6_EEENSJ_IJSD_SD_EEES6_SK_JS6_EEE10hipError_tPvRmT3_T4_T5_T6_T7_T9_mT8_P12ihipStream_tbDpT10_ENKUlT_T0_E_clISt17integral_constantIbLb0EES16_EEDaS11_S12_EUlS11_E_NS1_11comp_targetILNS1_3genE4ELNS1_11target_archE910ELNS1_3gpuE8ELNS1_3repE0EEENS1_30default_config_static_selectorELNS0_4arch9wavefront6targetE0EEEvT1_,"axG",@progbits,_ZN7rocprim17ROCPRIM_400000_NS6detail17trampoline_kernelINS0_14default_configENS1_25partition_config_selectorILNS1_17partition_subalgoE5ElNS0_10empty_typeEbEEZZNS1_14partition_implILS5_5ELb0ES3_mN6hipcub16HIPCUB_304000_NS21CountingInputIteratorIllEEPS6_NSA_22TransformInputIteratorIb7NonZeroIdEPdlEENS0_5tupleIJPlS6_EEENSJ_IJSD_SD_EEES6_SK_JS6_EEE10hipError_tPvRmT3_T4_T5_T6_T7_T9_mT8_P12ihipStream_tbDpT10_ENKUlT_T0_E_clISt17integral_constantIbLb0EES16_EEDaS11_S12_EUlS11_E_NS1_11comp_targetILNS1_3genE4ELNS1_11target_archE910ELNS1_3gpuE8ELNS1_3repE0EEENS1_30default_config_static_selectorELNS0_4arch9wavefront6targetE0EEEvT1_,comdat
	.protected	_ZN7rocprim17ROCPRIM_400000_NS6detail17trampoline_kernelINS0_14default_configENS1_25partition_config_selectorILNS1_17partition_subalgoE5ElNS0_10empty_typeEbEEZZNS1_14partition_implILS5_5ELb0ES3_mN6hipcub16HIPCUB_304000_NS21CountingInputIteratorIllEEPS6_NSA_22TransformInputIteratorIb7NonZeroIdEPdlEENS0_5tupleIJPlS6_EEENSJ_IJSD_SD_EEES6_SK_JS6_EEE10hipError_tPvRmT3_T4_T5_T6_T7_T9_mT8_P12ihipStream_tbDpT10_ENKUlT_T0_E_clISt17integral_constantIbLb0EES16_EEDaS11_S12_EUlS11_E_NS1_11comp_targetILNS1_3genE4ELNS1_11target_archE910ELNS1_3gpuE8ELNS1_3repE0EEENS1_30default_config_static_selectorELNS0_4arch9wavefront6targetE0EEEvT1_ ; -- Begin function _ZN7rocprim17ROCPRIM_400000_NS6detail17trampoline_kernelINS0_14default_configENS1_25partition_config_selectorILNS1_17partition_subalgoE5ElNS0_10empty_typeEbEEZZNS1_14partition_implILS5_5ELb0ES3_mN6hipcub16HIPCUB_304000_NS21CountingInputIteratorIllEEPS6_NSA_22TransformInputIteratorIb7NonZeroIdEPdlEENS0_5tupleIJPlS6_EEENSJ_IJSD_SD_EEES6_SK_JS6_EEE10hipError_tPvRmT3_T4_T5_T6_T7_T9_mT8_P12ihipStream_tbDpT10_ENKUlT_T0_E_clISt17integral_constantIbLb0EES16_EEDaS11_S12_EUlS11_E_NS1_11comp_targetILNS1_3genE4ELNS1_11target_archE910ELNS1_3gpuE8ELNS1_3repE0EEENS1_30default_config_static_selectorELNS0_4arch9wavefront6targetE0EEEvT1_
	.globl	_ZN7rocprim17ROCPRIM_400000_NS6detail17trampoline_kernelINS0_14default_configENS1_25partition_config_selectorILNS1_17partition_subalgoE5ElNS0_10empty_typeEbEEZZNS1_14partition_implILS5_5ELb0ES3_mN6hipcub16HIPCUB_304000_NS21CountingInputIteratorIllEEPS6_NSA_22TransformInputIteratorIb7NonZeroIdEPdlEENS0_5tupleIJPlS6_EEENSJ_IJSD_SD_EEES6_SK_JS6_EEE10hipError_tPvRmT3_T4_T5_T6_T7_T9_mT8_P12ihipStream_tbDpT10_ENKUlT_T0_E_clISt17integral_constantIbLb0EES16_EEDaS11_S12_EUlS11_E_NS1_11comp_targetILNS1_3genE4ELNS1_11target_archE910ELNS1_3gpuE8ELNS1_3repE0EEENS1_30default_config_static_selectorELNS0_4arch9wavefront6targetE0EEEvT1_
	.p2align	8
	.type	_ZN7rocprim17ROCPRIM_400000_NS6detail17trampoline_kernelINS0_14default_configENS1_25partition_config_selectorILNS1_17partition_subalgoE5ElNS0_10empty_typeEbEEZZNS1_14partition_implILS5_5ELb0ES3_mN6hipcub16HIPCUB_304000_NS21CountingInputIteratorIllEEPS6_NSA_22TransformInputIteratorIb7NonZeroIdEPdlEENS0_5tupleIJPlS6_EEENSJ_IJSD_SD_EEES6_SK_JS6_EEE10hipError_tPvRmT3_T4_T5_T6_T7_T9_mT8_P12ihipStream_tbDpT10_ENKUlT_T0_E_clISt17integral_constantIbLb0EES16_EEDaS11_S12_EUlS11_E_NS1_11comp_targetILNS1_3genE4ELNS1_11target_archE910ELNS1_3gpuE8ELNS1_3repE0EEENS1_30default_config_static_selectorELNS0_4arch9wavefront6targetE0EEEvT1_,@function
_ZN7rocprim17ROCPRIM_400000_NS6detail17trampoline_kernelINS0_14default_configENS1_25partition_config_selectorILNS1_17partition_subalgoE5ElNS0_10empty_typeEbEEZZNS1_14partition_implILS5_5ELb0ES3_mN6hipcub16HIPCUB_304000_NS21CountingInputIteratorIllEEPS6_NSA_22TransformInputIteratorIb7NonZeroIdEPdlEENS0_5tupleIJPlS6_EEENSJ_IJSD_SD_EEES6_SK_JS6_EEE10hipError_tPvRmT3_T4_T5_T6_T7_T9_mT8_P12ihipStream_tbDpT10_ENKUlT_T0_E_clISt17integral_constantIbLb0EES16_EEDaS11_S12_EUlS11_E_NS1_11comp_targetILNS1_3genE4ELNS1_11target_archE910ELNS1_3gpuE8ELNS1_3repE0EEENS1_30default_config_static_selectorELNS0_4arch9wavefront6targetE0EEEvT1_: ; @_ZN7rocprim17ROCPRIM_400000_NS6detail17trampoline_kernelINS0_14default_configENS1_25partition_config_selectorILNS1_17partition_subalgoE5ElNS0_10empty_typeEbEEZZNS1_14partition_implILS5_5ELb0ES3_mN6hipcub16HIPCUB_304000_NS21CountingInputIteratorIllEEPS6_NSA_22TransformInputIteratorIb7NonZeroIdEPdlEENS0_5tupleIJPlS6_EEENSJ_IJSD_SD_EEES6_SK_JS6_EEE10hipError_tPvRmT3_T4_T5_T6_T7_T9_mT8_P12ihipStream_tbDpT10_ENKUlT_T0_E_clISt17integral_constantIbLb0EES16_EEDaS11_S12_EUlS11_E_NS1_11comp_targetILNS1_3genE4ELNS1_11target_archE910ELNS1_3gpuE8ELNS1_3repE0EEENS1_30default_config_static_selectorELNS0_4arch9wavefront6targetE0EEEvT1_
; %bb.0:
	.section	.rodata,"a",@progbits
	.p2align	6, 0x0
	.amdhsa_kernel _ZN7rocprim17ROCPRIM_400000_NS6detail17trampoline_kernelINS0_14default_configENS1_25partition_config_selectorILNS1_17partition_subalgoE5ElNS0_10empty_typeEbEEZZNS1_14partition_implILS5_5ELb0ES3_mN6hipcub16HIPCUB_304000_NS21CountingInputIteratorIllEEPS6_NSA_22TransformInputIteratorIb7NonZeroIdEPdlEENS0_5tupleIJPlS6_EEENSJ_IJSD_SD_EEES6_SK_JS6_EEE10hipError_tPvRmT3_T4_T5_T6_T7_T9_mT8_P12ihipStream_tbDpT10_ENKUlT_T0_E_clISt17integral_constantIbLb0EES16_EEDaS11_S12_EUlS11_E_NS1_11comp_targetILNS1_3genE4ELNS1_11target_archE910ELNS1_3gpuE8ELNS1_3repE0EEENS1_30default_config_static_selectorELNS0_4arch9wavefront6targetE0EEEvT1_
		.amdhsa_group_segment_fixed_size 0
		.amdhsa_private_segment_fixed_size 0
		.amdhsa_kernarg_size 120
		.amdhsa_user_sgpr_count 15
		.amdhsa_user_sgpr_dispatch_ptr 0
		.amdhsa_user_sgpr_queue_ptr 0
		.amdhsa_user_sgpr_kernarg_segment_ptr 1
		.amdhsa_user_sgpr_dispatch_id 0
		.amdhsa_user_sgpr_private_segment_size 0
		.amdhsa_wavefront_size32 1
		.amdhsa_uses_dynamic_stack 0
		.amdhsa_enable_private_segment 0
		.amdhsa_system_sgpr_workgroup_id_x 1
		.amdhsa_system_sgpr_workgroup_id_y 0
		.amdhsa_system_sgpr_workgroup_id_z 0
		.amdhsa_system_sgpr_workgroup_info 0
		.amdhsa_system_vgpr_workitem_id 0
		.amdhsa_next_free_vgpr 1
		.amdhsa_next_free_sgpr 1
		.amdhsa_reserve_vcc 0
		.amdhsa_float_round_mode_32 0
		.amdhsa_float_round_mode_16_64 0
		.amdhsa_float_denorm_mode_32 3
		.amdhsa_float_denorm_mode_16_64 3
		.amdhsa_dx10_clamp 1
		.amdhsa_ieee_mode 1
		.amdhsa_fp16_overflow 0
		.amdhsa_workgroup_processor_mode 1
		.amdhsa_memory_ordered 1
		.amdhsa_forward_progress 0
		.amdhsa_shared_vgpr_count 0
		.amdhsa_exception_fp_ieee_invalid_op 0
		.amdhsa_exception_fp_denorm_src 0
		.amdhsa_exception_fp_ieee_div_zero 0
		.amdhsa_exception_fp_ieee_overflow 0
		.amdhsa_exception_fp_ieee_underflow 0
		.amdhsa_exception_fp_ieee_inexact 0
		.amdhsa_exception_int_div_zero 0
	.end_amdhsa_kernel
	.section	.text._ZN7rocprim17ROCPRIM_400000_NS6detail17trampoline_kernelINS0_14default_configENS1_25partition_config_selectorILNS1_17partition_subalgoE5ElNS0_10empty_typeEbEEZZNS1_14partition_implILS5_5ELb0ES3_mN6hipcub16HIPCUB_304000_NS21CountingInputIteratorIllEEPS6_NSA_22TransformInputIteratorIb7NonZeroIdEPdlEENS0_5tupleIJPlS6_EEENSJ_IJSD_SD_EEES6_SK_JS6_EEE10hipError_tPvRmT3_T4_T5_T6_T7_T9_mT8_P12ihipStream_tbDpT10_ENKUlT_T0_E_clISt17integral_constantIbLb0EES16_EEDaS11_S12_EUlS11_E_NS1_11comp_targetILNS1_3genE4ELNS1_11target_archE910ELNS1_3gpuE8ELNS1_3repE0EEENS1_30default_config_static_selectorELNS0_4arch9wavefront6targetE0EEEvT1_,"axG",@progbits,_ZN7rocprim17ROCPRIM_400000_NS6detail17trampoline_kernelINS0_14default_configENS1_25partition_config_selectorILNS1_17partition_subalgoE5ElNS0_10empty_typeEbEEZZNS1_14partition_implILS5_5ELb0ES3_mN6hipcub16HIPCUB_304000_NS21CountingInputIteratorIllEEPS6_NSA_22TransformInputIteratorIb7NonZeroIdEPdlEENS0_5tupleIJPlS6_EEENSJ_IJSD_SD_EEES6_SK_JS6_EEE10hipError_tPvRmT3_T4_T5_T6_T7_T9_mT8_P12ihipStream_tbDpT10_ENKUlT_T0_E_clISt17integral_constantIbLb0EES16_EEDaS11_S12_EUlS11_E_NS1_11comp_targetILNS1_3genE4ELNS1_11target_archE910ELNS1_3gpuE8ELNS1_3repE0EEENS1_30default_config_static_selectorELNS0_4arch9wavefront6targetE0EEEvT1_,comdat
.Lfunc_end323:
	.size	_ZN7rocprim17ROCPRIM_400000_NS6detail17trampoline_kernelINS0_14default_configENS1_25partition_config_selectorILNS1_17partition_subalgoE5ElNS0_10empty_typeEbEEZZNS1_14partition_implILS5_5ELb0ES3_mN6hipcub16HIPCUB_304000_NS21CountingInputIteratorIllEEPS6_NSA_22TransformInputIteratorIb7NonZeroIdEPdlEENS0_5tupleIJPlS6_EEENSJ_IJSD_SD_EEES6_SK_JS6_EEE10hipError_tPvRmT3_T4_T5_T6_T7_T9_mT8_P12ihipStream_tbDpT10_ENKUlT_T0_E_clISt17integral_constantIbLb0EES16_EEDaS11_S12_EUlS11_E_NS1_11comp_targetILNS1_3genE4ELNS1_11target_archE910ELNS1_3gpuE8ELNS1_3repE0EEENS1_30default_config_static_selectorELNS0_4arch9wavefront6targetE0EEEvT1_, .Lfunc_end323-_ZN7rocprim17ROCPRIM_400000_NS6detail17trampoline_kernelINS0_14default_configENS1_25partition_config_selectorILNS1_17partition_subalgoE5ElNS0_10empty_typeEbEEZZNS1_14partition_implILS5_5ELb0ES3_mN6hipcub16HIPCUB_304000_NS21CountingInputIteratorIllEEPS6_NSA_22TransformInputIteratorIb7NonZeroIdEPdlEENS0_5tupleIJPlS6_EEENSJ_IJSD_SD_EEES6_SK_JS6_EEE10hipError_tPvRmT3_T4_T5_T6_T7_T9_mT8_P12ihipStream_tbDpT10_ENKUlT_T0_E_clISt17integral_constantIbLb0EES16_EEDaS11_S12_EUlS11_E_NS1_11comp_targetILNS1_3genE4ELNS1_11target_archE910ELNS1_3gpuE8ELNS1_3repE0EEENS1_30default_config_static_selectorELNS0_4arch9wavefront6targetE0EEEvT1_
                                        ; -- End function
	.section	.AMDGPU.csdata,"",@progbits
; Kernel info:
; codeLenInByte = 0
; NumSgprs: 0
; NumVgprs: 0
; ScratchSize: 0
; MemoryBound: 0
; FloatMode: 240
; IeeeMode: 1
; LDSByteSize: 0 bytes/workgroup (compile time only)
; SGPRBlocks: 0
; VGPRBlocks: 0
; NumSGPRsForWavesPerEU: 1
; NumVGPRsForWavesPerEU: 1
; Occupancy: 15
; WaveLimiterHint : 0
; COMPUTE_PGM_RSRC2:SCRATCH_EN: 0
; COMPUTE_PGM_RSRC2:USER_SGPR: 15
; COMPUTE_PGM_RSRC2:TRAP_HANDLER: 0
; COMPUTE_PGM_RSRC2:TGID_X_EN: 1
; COMPUTE_PGM_RSRC2:TGID_Y_EN: 0
; COMPUTE_PGM_RSRC2:TGID_Z_EN: 0
; COMPUTE_PGM_RSRC2:TIDIG_COMP_CNT: 0
	.section	.text._ZN7rocprim17ROCPRIM_400000_NS6detail17trampoline_kernelINS0_14default_configENS1_25partition_config_selectorILNS1_17partition_subalgoE5ElNS0_10empty_typeEbEEZZNS1_14partition_implILS5_5ELb0ES3_mN6hipcub16HIPCUB_304000_NS21CountingInputIteratorIllEEPS6_NSA_22TransformInputIteratorIb7NonZeroIdEPdlEENS0_5tupleIJPlS6_EEENSJ_IJSD_SD_EEES6_SK_JS6_EEE10hipError_tPvRmT3_T4_T5_T6_T7_T9_mT8_P12ihipStream_tbDpT10_ENKUlT_T0_E_clISt17integral_constantIbLb0EES16_EEDaS11_S12_EUlS11_E_NS1_11comp_targetILNS1_3genE3ELNS1_11target_archE908ELNS1_3gpuE7ELNS1_3repE0EEENS1_30default_config_static_selectorELNS0_4arch9wavefront6targetE0EEEvT1_,"axG",@progbits,_ZN7rocprim17ROCPRIM_400000_NS6detail17trampoline_kernelINS0_14default_configENS1_25partition_config_selectorILNS1_17partition_subalgoE5ElNS0_10empty_typeEbEEZZNS1_14partition_implILS5_5ELb0ES3_mN6hipcub16HIPCUB_304000_NS21CountingInputIteratorIllEEPS6_NSA_22TransformInputIteratorIb7NonZeroIdEPdlEENS0_5tupleIJPlS6_EEENSJ_IJSD_SD_EEES6_SK_JS6_EEE10hipError_tPvRmT3_T4_T5_T6_T7_T9_mT8_P12ihipStream_tbDpT10_ENKUlT_T0_E_clISt17integral_constantIbLb0EES16_EEDaS11_S12_EUlS11_E_NS1_11comp_targetILNS1_3genE3ELNS1_11target_archE908ELNS1_3gpuE7ELNS1_3repE0EEENS1_30default_config_static_selectorELNS0_4arch9wavefront6targetE0EEEvT1_,comdat
	.protected	_ZN7rocprim17ROCPRIM_400000_NS6detail17trampoline_kernelINS0_14default_configENS1_25partition_config_selectorILNS1_17partition_subalgoE5ElNS0_10empty_typeEbEEZZNS1_14partition_implILS5_5ELb0ES3_mN6hipcub16HIPCUB_304000_NS21CountingInputIteratorIllEEPS6_NSA_22TransformInputIteratorIb7NonZeroIdEPdlEENS0_5tupleIJPlS6_EEENSJ_IJSD_SD_EEES6_SK_JS6_EEE10hipError_tPvRmT3_T4_T5_T6_T7_T9_mT8_P12ihipStream_tbDpT10_ENKUlT_T0_E_clISt17integral_constantIbLb0EES16_EEDaS11_S12_EUlS11_E_NS1_11comp_targetILNS1_3genE3ELNS1_11target_archE908ELNS1_3gpuE7ELNS1_3repE0EEENS1_30default_config_static_selectorELNS0_4arch9wavefront6targetE0EEEvT1_ ; -- Begin function _ZN7rocprim17ROCPRIM_400000_NS6detail17trampoline_kernelINS0_14default_configENS1_25partition_config_selectorILNS1_17partition_subalgoE5ElNS0_10empty_typeEbEEZZNS1_14partition_implILS5_5ELb0ES3_mN6hipcub16HIPCUB_304000_NS21CountingInputIteratorIllEEPS6_NSA_22TransformInputIteratorIb7NonZeroIdEPdlEENS0_5tupleIJPlS6_EEENSJ_IJSD_SD_EEES6_SK_JS6_EEE10hipError_tPvRmT3_T4_T5_T6_T7_T9_mT8_P12ihipStream_tbDpT10_ENKUlT_T0_E_clISt17integral_constantIbLb0EES16_EEDaS11_S12_EUlS11_E_NS1_11comp_targetILNS1_3genE3ELNS1_11target_archE908ELNS1_3gpuE7ELNS1_3repE0EEENS1_30default_config_static_selectorELNS0_4arch9wavefront6targetE0EEEvT1_
	.globl	_ZN7rocprim17ROCPRIM_400000_NS6detail17trampoline_kernelINS0_14default_configENS1_25partition_config_selectorILNS1_17partition_subalgoE5ElNS0_10empty_typeEbEEZZNS1_14partition_implILS5_5ELb0ES3_mN6hipcub16HIPCUB_304000_NS21CountingInputIteratorIllEEPS6_NSA_22TransformInputIteratorIb7NonZeroIdEPdlEENS0_5tupleIJPlS6_EEENSJ_IJSD_SD_EEES6_SK_JS6_EEE10hipError_tPvRmT3_T4_T5_T6_T7_T9_mT8_P12ihipStream_tbDpT10_ENKUlT_T0_E_clISt17integral_constantIbLb0EES16_EEDaS11_S12_EUlS11_E_NS1_11comp_targetILNS1_3genE3ELNS1_11target_archE908ELNS1_3gpuE7ELNS1_3repE0EEENS1_30default_config_static_selectorELNS0_4arch9wavefront6targetE0EEEvT1_
	.p2align	8
	.type	_ZN7rocprim17ROCPRIM_400000_NS6detail17trampoline_kernelINS0_14default_configENS1_25partition_config_selectorILNS1_17partition_subalgoE5ElNS0_10empty_typeEbEEZZNS1_14partition_implILS5_5ELb0ES3_mN6hipcub16HIPCUB_304000_NS21CountingInputIteratorIllEEPS6_NSA_22TransformInputIteratorIb7NonZeroIdEPdlEENS0_5tupleIJPlS6_EEENSJ_IJSD_SD_EEES6_SK_JS6_EEE10hipError_tPvRmT3_T4_T5_T6_T7_T9_mT8_P12ihipStream_tbDpT10_ENKUlT_T0_E_clISt17integral_constantIbLb0EES16_EEDaS11_S12_EUlS11_E_NS1_11comp_targetILNS1_3genE3ELNS1_11target_archE908ELNS1_3gpuE7ELNS1_3repE0EEENS1_30default_config_static_selectorELNS0_4arch9wavefront6targetE0EEEvT1_,@function
_ZN7rocprim17ROCPRIM_400000_NS6detail17trampoline_kernelINS0_14default_configENS1_25partition_config_selectorILNS1_17partition_subalgoE5ElNS0_10empty_typeEbEEZZNS1_14partition_implILS5_5ELb0ES3_mN6hipcub16HIPCUB_304000_NS21CountingInputIteratorIllEEPS6_NSA_22TransformInputIteratorIb7NonZeroIdEPdlEENS0_5tupleIJPlS6_EEENSJ_IJSD_SD_EEES6_SK_JS6_EEE10hipError_tPvRmT3_T4_T5_T6_T7_T9_mT8_P12ihipStream_tbDpT10_ENKUlT_T0_E_clISt17integral_constantIbLb0EES16_EEDaS11_S12_EUlS11_E_NS1_11comp_targetILNS1_3genE3ELNS1_11target_archE908ELNS1_3gpuE7ELNS1_3repE0EEENS1_30default_config_static_selectorELNS0_4arch9wavefront6targetE0EEEvT1_: ; @_ZN7rocprim17ROCPRIM_400000_NS6detail17trampoline_kernelINS0_14default_configENS1_25partition_config_selectorILNS1_17partition_subalgoE5ElNS0_10empty_typeEbEEZZNS1_14partition_implILS5_5ELb0ES3_mN6hipcub16HIPCUB_304000_NS21CountingInputIteratorIllEEPS6_NSA_22TransformInputIteratorIb7NonZeroIdEPdlEENS0_5tupleIJPlS6_EEENSJ_IJSD_SD_EEES6_SK_JS6_EEE10hipError_tPvRmT3_T4_T5_T6_T7_T9_mT8_P12ihipStream_tbDpT10_ENKUlT_T0_E_clISt17integral_constantIbLb0EES16_EEDaS11_S12_EUlS11_E_NS1_11comp_targetILNS1_3genE3ELNS1_11target_archE908ELNS1_3gpuE7ELNS1_3repE0EEENS1_30default_config_static_selectorELNS0_4arch9wavefront6targetE0EEEvT1_
; %bb.0:
	.section	.rodata,"a",@progbits
	.p2align	6, 0x0
	.amdhsa_kernel _ZN7rocprim17ROCPRIM_400000_NS6detail17trampoline_kernelINS0_14default_configENS1_25partition_config_selectorILNS1_17partition_subalgoE5ElNS0_10empty_typeEbEEZZNS1_14partition_implILS5_5ELb0ES3_mN6hipcub16HIPCUB_304000_NS21CountingInputIteratorIllEEPS6_NSA_22TransformInputIteratorIb7NonZeroIdEPdlEENS0_5tupleIJPlS6_EEENSJ_IJSD_SD_EEES6_SK_JS6_EEE10hipError_tPvRmT3_T4_T5_T6_T7_T9_mT8_P12ihipStream_tbDpT10_ENKUlT_T0_E_clISt17integral_constantIbLb0EES16_EEDaS11_S12_EUlS11_E_NS1_11comp_targetILNS1_3genE3ELNS1_11target_archE908ELNS1_3gpuE7ELNS1_3repE0EEENS1_30default_config_static_selectorELNS0_4arch9wavefront6targetE0EEEvT1_
		.amdhsa_group_segment_fixed_size 0
		.amdhsa_private_segment_fixed_size 0
		.amdhsa_kernarg_size 120
		.amdhsa_user_sgpr_count 15
		.amdhsa_user_sgpr_dispatch_ptr 0
		.amdhsa_user_sgpr_queue_ptr 0
		.amdhsa_user_sgpr_kernarg_segment_ptr 1
		.amdhsa_user_sgpr_dispatch_id 0
		.amdhsa_user_sgpr_private_segment_size 0
		.amdhsa_wavefront_size32 1
		.amdhsa_uses_dynamic_stack 0
		.amdhsa_enable_private_segment 0
		.amdhsa_system_sgpr_workgroup_id_x 1
		.amdhsa_system_sgpr_workgroup_id_y 0
		.amdhsa_system_sgpr_workgroup_id_z 0
		.amdhsa_system_sgpr_workgroup_info 0
		.amdhsa_system_vgpr_workitem_id 0
		.amdhsa_next_free_vgpr 1
		.amdhsa_next_free_sgpr 1
		.amdhsa_reserve_vcc 0
		.amdhsa_float_round_mode_32 0
		.amdhsa_float_round_mode_16_64 0
		.amdhsa_float_denorm_mode_32 3
		.amdhsa_float_denorm_mode_16_64 3
		.amdhsa_dx10_clamp 1
		.amdhsa_ieee_mode 1
		.amdhsa_fp16_overflow 0
		.amdhsa_workgroup_processor_mode 1
		.amdhsa_memory_ordered 1
		.amdhsa_forward_progress 0
		.amdhsa_shared_vgpr_count 0
		.amdhsa_exception_fp_ieee_invalid_op 0
		.amdhsa_exception_fp_denorm_src 0
		.amdhsa_exception_fp_ieee_div_zero 0
		.amdhsa_exception_fp_ieee_overflow 0
		.amdhsa_exception_fp_ieee_underflow 0
		.amdhsa_exception_fp_ieee_inexact 0
		.amdhsa_exception_int_div_zero 0
	.end_amdhsa_kernel
	.section	.text._ZN7rocprim17ROCPRIM_400000_NS6detail17trampoline_kernelINS0_14default_configENS1_25partition_config_selectorILNS1_17partition_subalgoE5ElNS0_10empty_typeEbEEZZNS1_14partition_implILS5_5ELb0ES3_mN6hipcub16HIPCUB_304000_NS21CountingInputIteratorIllEEPS6_NSA_22TransformInputIteratorIb7NonZeroIdEPdlEENS0_5tupleIJPlS6_EEENSJ_IJSD_SD_EEES6_SK_JS6_EEE10hipError_tPvRmT3_T4_T5_T6_T7_T9_mT8_P12ihipStream_tbDpT10_ENKUlT_T0_E_clISt17integral_constantIbLb0EES16_EEDaS11_S12_EUlS11_E_NS1_11comp_targetILNS1_3genE3ELNS1_11target_archE908ELNS1_3gpuE7ELNS1_3repE0EEENS1_30default_config_static_selectorELNS0_4arch9wavefront6targetE0EEEvT1_,"axG",@progbits,_ZN7rocprim17ROCPRIM_400000_NS6detail17trampoline_kernelINS0_14default_configENS1_25partition_config_selectorILNS1_17partition_subalgoE5ElNS0_10empty_typeEbEEZZNS1_14partition_implILS5_5ELb0ES3_mN6hipcub16HIPCUB_304000_NS21CountingInputIteratorIllEEPS6_NSA_22TransformInputIteratorIb7NonZeroIdEPdlEENS0_5tupleIJPlS6_EEENSJ_IJSD_SD_EEES6_SK_JS6_EEE10hipError_tPvRmT3_T4_T5_T6_T7_T9_mT8_P12ihipStream_tbDpT10_ENKUlT_T0_E_clISt17integral_constantIbLb0EES16_EEDaS11_S12_EUlS11_E_NS1_11comp_targetILNS1_3genE3ELNS1_11target_archE908ELNS1_3gpuE7ELNS1_3repE0EEENS1_30default_config_static_selectorELNS0_4arch9wavefront6targetE0EEEvT1_,comdat
.Lfunc_end324:
	.size	_ZN7rocprim17ROCPRIM_400000_NS6detail17trampoline_kernelINS0_14default_configENS1_25partition_config_selectorILNS1_17partition_subalgoE5ElNS0_10empty_typeEbEEZZNS1_14partition_implILS5_5ELb0ES3_mN6hipcub16HIPCUB_304000_NS21CountingInputIteratorIllEEPS6_NSA_22TransformInputIteratorIb7NonZeroIdEPdlEENS0_5tupleIJPlS6_EEENSJ_IJSD_SD_EEES6_SK_JS6_EEE10hipError_tPvRmT3_T4_T5_T6_T7_T9_mT8_P12ihipStream_tbDpT10_ENKUlT_T0_E_clISt17integral_constantIbLb0EES16_EEDaS11_S12_EUlS11_E_NS1_11comp_targetILNS1_3genE3ELNS1_11target_archE908ELNS1_3gpuE7ELNS1_3repE0EEENS1_30default_config_static_selectorELNS0_4arch9wavefront6targetE0EEEvT1_, .Lfunc_end324-_ZN7rocprim17ROCPRIM_400000_NS6detail17trampoline_kernelINS0_14default_configENS1_25partition_config_selectorILNS1_17partition_subalgoE5ElNS0_10empty_typeEbEEZZNS1_14partition_implILS5_5ELb0ES3_mN6hipcub16HIPCUB_304000_NS21CountingInputIteratorIllEEPS6_NSA_22TransformInputIteratorIb7NonZeroIdEPdlEENS0_5tupleIJPlS6_EEENSJ_IJSD_SD_EEES6_SK_JS6_EEE10hipError_tPvRmT3_T4_T5_T6_T7_T9_mT8_P12ihipStream_tbDpT10_ENKUlT_T0_E_clISt17integral_constantIbLb0EES16_EEDaS11_S12_EUlS11_E_NS1_11comp_targetILNS1_3genE3ELNS1_11target_archE908ELNS1_3gpuE7ELNS1_3repE0EEENS1_30default_config_static_selectorELNS0_4arch9wavefront6targetE0EEEvT1_
                                        ; -- End function
	.section	.AMDGPU.csdata,"",@progbits
; Kernel info:
; codeLenInByte = 0
; NumSgprs: 0
; NumVgprs: 0
; ScratchSize: 0
; MemoryBound: 0
; FloatMode: 240
; IeeeMode: 1
; LDSByteSize: 0 bytes/workgroup (compile time only)
; SGPRBlocks: 0
; VGPRBlocks: 0
; NumSGPRsForWavesPerEU: 1
; NumVGPRsForWavesPerEU: 1
; Occupancy: 16
; WaveLimiterHint : 0
; COMPUTE_PGM_RSRC2:SCRATCH_EN: 0
; COMPUTE_PGM_RSRC2:USER_SGPR: 15
; COMPUTE_PGM_RSRC2:TRAP_HANDLER: 0
; COMPUTE_PGM_RSRC2:TGID_X_EN: 1
; COMPUTE_PGM_RSRC2:TGID_Y_EN: 0
; COMPUTE_PGM_RSRC2:TGID_Z_EN: 0
; COMPUTE_PGM_RSRC2:TIDIG_COMP_CNT: 0
	.section	.text._ZN7rocprim17ROCPRIM_400000_NS6detail17trampoline_kernelINS0_14default_configENS1_25partition_config_selectorILNS1_17partition_subalgoE5ElNS0_10empty_typeEbEEZZNS1_14partition_implILS5_5ELb0ES3_mN6hipcub16HIPCUB_304000_NS21CountingInputIteratorIllEEPS6_NSA_22TransformInputIteratorIb7NonZeroIdEPdlEENS0_5tupleIJPlS6_EEENSJ_IJSD_SD_EEES6_SK_JS6_EEE10hipError_tPvRmT3_T4_T5_T6_T7_T9_mT8_P12ihipStream_tbDpT10_ENKUlT_T0_E_clISt17integral_constantIbLb0EES16_EEDaS11_S12_EUlS11_E_NS1_11comp_targetILNS1_3genE2ELNS1_11target_archE906ELNS1_3gpuE6ELNS1_3repE0EEENS1_30default_config_static_selectorELNS0_4arch9wavefront6targetE0EEEvT1_,"axG",@progbits,_ZN7rocprim17ROCPRIM_400000_NS6detail17trampoline_kernelINS0_14default_configENS1_25partition_config_selectorILNS1_17partition_subalgoE5ElNS0_10empty_typeEbEEZZNS1_14partition_implILS5_5ELb0ES3_mN6hipcub16HIPCUB_304000_NS21CountingInputIteratorIllEEPS6_NSA_22TransformInputIteratorIb7NonZeroIdEPdlEENS0_5tupleIJPlS6_EEENSJ_IJSD_SD_EEES6_SK_JS6_EEE10hipError_tPvRmT3_T4_T5_T6_T7_T9_mT8_P12ihipStream_tbDpT10_ENKUlT_T0_E_clISt17integral_constantIbLb0EES16_EEDaS11_S12_EUlS11_E_NS1_11comp_targetILNS1_3genE2ELNS1_11target_archE906ELNS1_3gpuE6ELNS1_3repE0EEENS1_30default_config_static_selectorELNS0_4arch9wavefront6targetE0EEEvT1_,comdat
	.protected	_ZN7rocprim17ROCPRIM_400000_NS6detail17trampoline_kernelINS0_14default_configENS1_25partition_config_selectorILNS1_17partition_subalgoE5ElNS0_10empty_typeEbEEZZNS1_14partition_implILS5_5ELb0ES3_mN6hipcub16HIPCUB_304000_NS21CountingInputIteratorIllEEPS6_NSA_22TransformInputIteratorIb7NonZeroIdEPdlEENS0_5tupleIJPlS6_EEENSJ_IJSD_SD_EEES6_SK_JS6_EEE10hipError_tPvRmT3_T4_T5_T6_T7_T9_mT8_P12ihipStream_tbDpT10_ENKUlT_T0_E_clISt17integral_constantIbLb0EES16_EEDaS11_S12_EUlS11_E_NS1_11comp_targetILNS1_3genE2ELNS1_11target_archE906ELNS1_3gpuE6ELNS1_3repE0EEENS1_30default_config_static_selectorELNS0_4arch9wavefront6targetE0EEEvT1_ ; -- Begin function _ZN7rocprim17ROCPRIM_400000_NS6detail17trampoline_kernelINS0_14default_configENS1_25partition_config_selectorILNS1_17partition_subalgoE5ElNS0_10empty_typeEbEEZZNS1_14partition_implILS5_5ELb0ES3_mN6hipcub16HIPCUB_304000_NS21CountingInputIteratorIllEEPS6_NSA_22TransformInputIteratorIb7NonZeroIdEPdlEENS0_5tupleIJPlS6_EEENSJ_IJSD_SD_EEES6_SK_JS6_EEE10hipError_tPvRmT3_T4_T5_T6_T7_T9_mT8_P12ihipStream_tbDpT10_ENKUlT_T0_E_clISt17integral_constantIbLb0EES16_EEDaS11_S12_EUlS11_E_NS1_11comp_targetILNS1_3genE2ELNS1_11target_archE906ELNS1_3gpuE6ELNS1_3repE0EEENS1_30default_config_static_selectorELNS0_4arch9wavefront6targetE0EEEvT1_
	.globl	_ZN7rocprim17ROCPRIM_400000_NS6detail17trampoline_kernelINS0_14default_configENS1_25partition_config_selectorILNS1_17partition_subalgoE5ElNS0_10empty_typeEbEEZZNS1_14partition_implILS5_5ELb0ES3_mN6hipcub16HIPCUB_304000_NS21CountingInputIteratorIllEEPS6_NSA_22TransformInputIteratorIb7NonZeroIdEPdlEENS0_5tupleIJPlS6_EEENSJ_IJSD_SD_EEES6_SK_JS6_EEE10hipError_tPvRmT3_T4_T5_T6_T7_T9_mT8_P12ihipStream_tbDpT10_ENKUlT_T0_E_clISt17integral_constantIbLb0EES16_EEDaS11_S12_EUlS11_E_NS1_11comp_targetILNS1_3genE2ELNS1_11target_archE906ELNS1_3gpuE6ELNS1_3repE0EEENS1_30default_config_static_selectorELNS0_4arch9wavefront6targetE0EEEvT1_
	.p2align	8
	.type	_ZN7rocprim17ROCPRIM_400000_NS6detail17trampoline_kernelINS0_14default_configENS1_25partition_config_selectorILNS1_17partition_subalgoE5ElNS0_10empty_typeEbEEZZNS1_14partition_implILS5_5ELb0ES3_mN6hipcub16HIPCUB_304000_NS21CountingInputIteratorIllEEPS6_NSA_22TransformInputIteratorIb7NonZeroIdEPdlEENS0_5tupleIJPlS6_EEENSJ_IJSD_SD_EEES6_SK_JS6_EEE10hipError_tPvRmT3_T4_T5_T6_T7_T9_mT8_P12ihipStream_tbDpT10_ENKUlT_T0_E_clISt17integral_constantIbLb0EES16_EEDaS11_S12_EUlS11_E_NS1_11comp_targetILNS1_3genE2ELNS1_11target_archE906ELNS1_3gpuE6ELNS1_3repE0EEENS1_30default_config_static_selectorELNS0_4arch9wavefront6targetE0EEEvT1_,@function
_ZN7rocprim17ROCPRIM_400000_NS6detail17trampoline_kernelINS0_14default_configENS1_25partition_config_selectorILNS1_17partition_subalgoE5ElNS0_10empty_typeEbEEZZNS1_14partition_implILS5_5ELb0ES3_mN6hipcub16HIPCUB_304000_NS21CountingInputIteratorIllEEPS6_NSA_22TransformInputIteratorIb7NonZeroIdEPdlEENS0_5tupleIJPlS6_EEENSJ_IJSD_SD_EEES6_SK_JS6_EEE10hipError_tPvRmT3_T4_T5_T6_T7_T9_mT8_P12ihipStream_tbDpT10_ENKUlT_T0_E_clISt17integral_constantIbLb0EES16_EEDaS11_S12_EUlS11_E_NS1_11comp_targetILNS1_3genE2ELNS1_11target_archE906ELNS1_3gpuE6ELNS1_3repE0EEENS1_30default_config_static_selectorELNS0_4arch9wavefront6targetE0EEEvT1_: ; @_ZN7rocprim17ROCPRIM_400000_NS6detail17trampoline_kernelINS0_14default_configENS1_25partition_config_selectorILNS1_17partition_subalgoE5ElNS0_10empty_typeEbEEZZNS1_14partition_implILS5_5ELb0ES3_mN6hipcub16HIPCUB_304000_NS21CountingInputIteratorIllEEPS6_NSA_22TransformInputIteratorIb7NonZeroIdEPdlEENS0_5tupleIJPlS6_EEENSJ_IJSD_SD_EEES6_SK_JS6_EEE10hipError_tPvRmT3_T4_T5_T6_T7_T9_mT8_P12ihipStream_tbDpT10_ENKUlT_T0_E_clISt17integral_constantIbLb0EES16_EEDaS11_S12_EUlS11_E_NS1_11comp_targetILNS1_3genE2ELNS1_11target_archE906ELNS1_3gpuE6ELNS1_3repE0EEENS1_30default_config_static_selectorELNS0_4arch9wavefront6targetE0EEEvT1_
; %bb.0:
	.section	.rodata,"a",@progbits
	.p2align	6, 0x0
	.amdhsa_kernel _ZN7rocprim17ROCPRIM_400000_NS6detail17trampoline_kernelINS0_14default_configENS1_25partition_config_selectorILNS1_17partition_subalgoE5ElNS0_10empty_typeEbEEZZNS1_14partition_implILS5_5ELb0ES3_mN6hipcub16HIPCUB_304000_NS21CountingInputIteratorIllEEPS6_NSA_22TransformInputIteratorIb7NonZeroIdEPdlEENS0_5tupleIJPlS6_EEENSJ_IJSD_SD_EEES6_SK_JS6_EEE10hipError_tPvRmT3_T4_T5_T6_T7_T9_mT8_P12ihipStream_tbDpT10_ENKUlT_T0_E_clISt17integral_constantIbLb0EES16_EEDaS11_S12_EUlS11_E_NS1_11comp_targetILNS1_3genE2ELNS1_11target_archE906ELNS1_3gpuE6ELNS1_3repE0EEENS1_30default_config_static_selectorELNS0_4arch9wavefront6targetE0EEEvT1_
		.amdhsa_group_segment_fixed_size 0
		.amdhsa_private_segment_fixed_size 0
		.amdhsa_kernarg_size 120
		.amdhsa_user_sgpr_count 15
		.amdhsa_user_sgpr_dispatch_ptr 0
		.amdhsa_user_sgpr_queue_ptr 0
		.amdhsa_user_sgpr_kernarg_segment_ptr 1
		.amdhsa_user_sgpr_dispatch_id 0
		.amdhsa_user_sgpr_private_segment_size 0
		.amdhsa_wavefront_size32 1
		.amdhsa_uses_dynamic_stack 0
		.amdhsa_enable_private_segment 0
		.amdhsa_system_sgpr_workgroup_id_x 1
		.amdhsa_system_sgpr_workgroup_id_y 0
		.amdhsa_system_sgpr_workgroup_id_z 0
		.amdhsa_system_sgpr_workgroup_info 0
		.amdhsa_system_vgpr_workitem_id 0
		.amdhsa_next_free_vgpr 1
		.amdhsa_next_free_sgpr 1
		.amdhsa_reserve_vcc 0
		.amdhsa_float_round_mode_32 0
		.amdhsa_float_round_mode_16_64 0
		.amdhsa_float_denorm_mode_32 3
		.amdhsa_float_denorm_mode_16_64 3
		.amdhsa_dx10_clamp 1
		.amdhsa_ieee_mode 1
		.amdhsa_fp16_overflow 0
		.amdhsa_workgroup_processor_mode 1
		.amdhsa_memory_ordered 1
		.amdhsa_forward_progress 0
		.amdhsa_shared_vgpr_count 0
		.amdhsa_exception_fp_ieee_invalid_op 0
		.amdhsa_exception_fp_denorm_src 0
		.amdhsa_exception_fp_ieee_div_zero 0
		.amdhsa_exception_fp_ieee_overflow 0
		.amdhsa_exception_fp_ieee_underflow 0
		.amdhsa_exception_fp_ieee_inexact 0
		.amdhsa_exception_int_div_zero 0
	.end_amdhsa_kernel
	.section	.text._ZN7rocprim17ROCPRIM_400000_NS6detail17trampoline_kernelINS0_14default_configENS1_25partition_config_selectorILNS1_17partition_subalgoE5ElNS0_10empty_typeEbEEZZNS1_14partition_implILS5_5ELb0ES3_mN6hipcub16HIPCUB_304000_NS21CountingInputIteratorIllEEPS6_NSA_22TransformInputIteratorIb7NonZeroIdEPdlEENS0_5tupleIJPlS6_EEENSJ_IJSD_SD_EEES6_SK_JS6_EEE10hipError_tPvRmT3_T4_T5_T6_T7_T9_mT8_P12ihipStream_tbDpT10_ENKUlT_T0_E_clISt17integral_constantIbLb0EES16_EEDaS11_S12_EUlS11_E_NS1_11comp_targetILNS1_3genE2ELNS1_11target_archE906ELNS1_3gpuE6ELNS1_3repE0EEENS1_30default_config_static_selectorELNS0_4arch9wavefront6targetE0EEEvT1_,"axG",@progbits,_ZN7rocprim17ROCPRIM_400000_NS6detail17trampoline_kernelINS0_14default_configENS1_25partition_config_selectorILNS1_17partition_subalgoE5ElNS0_10empty_typeEbEEZZNS1_14partition_implILS5_5ELb0ES3_mN6hipcub16HIPCUB_304000_NS21CountingInputIteratorIllEEPS6_NSA_22TransformInputIteratorIb7NonZeroIdEPdlEENS0_5tupleIJPlS6_EEENSJ_IJSD_SD_EEES6_SK_JS6_EEE10hipError_tPvRmT3_T4_T5_T6_T7_T9_mT8_P12ihipStream_tbDpT10_ENKUlT_T0_E_clISt17integral_constantIbLb0EES16_EEDaS11_S12_EUlS11_E_NS1_11comp_targetILNS1_3genE2ELNS1_11target_archE906ELNS1_3gpuE6ELNS1_3repE0EEENS1_30default_config_static_selectorELNS0_4arch9wavefront6targetE0EEEvT1_,comdat
.Lfunc_end325:
	.size	_ZN7rocprim17ROCPRIM_400000_NS6detail17trampoline_kernelINS0_14default_configENS1_25partition_config_selectorILNS1_17partition_subalgoE5ElNS0_10empty_typeEbEEZZNS1_14partition_implILS5_5ELb0ES3_mN6hipcub16HIPCUB_304000_NS21CountingInputIteratorIllEEPS6_NSA_22TransformInputIteratorIb7NonZeroIdEPdlEENS0_5tupleIJPlS6_EEENSJ_IJSD_SD_EEES6_SK_JS6_EEE10hipError_tPvRmT3_T4_T5_T6_T7_T9_mT8_P12ihipStream_tbDpT10_ENKUlT_T0_E_clISt17integral_constantIbLb0EES16_EEDaS11_S12_EUlS11_E_NS1_11comp_targetILNS1_3genE2ELNS1_11target_archE906ELNS1_3gpuE6ELNS1_3repE0EEENS1_30default_config_static_selectorELNS0_4arch9wavefront6targetE0EEEvT1_, .Lfunc_end325-_ZN7rocprim17ROCPRIM_400000_NS6detail17trampoline_kernelINS0_14default_configENS1_25partition_config_selectorILNS1_17partition_subalgoE5ElNS0_10empty_typeEbEEZZNS1_14partition_implILS5_5ELb0ES3_mN6hipcub16HIPCUB_304000_NS21CountingInputIteratorIllEEPS6_NSA_22TransformInputIteratorIb7NonZeroIdEPdlEENS0_5tupleIJPlS6_EEENSJ_IJSD_SD_EEES6_SK_JS6_EEE10hipError_tPvRmT3_T4_T5_T6_T7_T9_mT8_P12ihipStream_tbDpT10_ENKUlT_T0_E_clISt17integral_constantIbLb0EES16_EEDaS11_S12_EUlS11_E_NS1_11comp_targetILNS1_3genE2ELNS1_11target_archE906ELNS1_3gpuE6ELNS1_3repE0EEENS1_30default_config_static_selectorELNS0_4arch9wavefront6targetE0EEEvT1_
                                        ; -- End function
	.section	.AMDGPU.csdata,"",@progbits
; Kernel info:
; codeLenInByte = 0
; NumSgprs: 0
; NumVgprs: 0
; ScratchSize: 0
; MemoryBound: 0
; FloatMode: 240
; IeeeMode: 1
; LDSByteSize: 0 bytes/workgroup (compile time only)
; SGPRBlocks: 0
; VGPRBlocks: 0
; NumSGPRsForWavesPerEU: 1
; NumVGPRsForWavesPerEU: 1
; Occupancy: 16
; WaveLimiterHint : 0
; COMPUTE_PGM_RSRC2:SCRATCH_EN: 0
; COMPUTE_PGM_RSRC2:USER_SGPR: 15
; COMPUTE_PGM_RSRC2:TRAP_HANDLER: 0
; COMPUTE_PGM_RSRC2:TGID_X_EN: 1
; COMPUTE_PGM_RSRC2:TGID_Y_EN: 0
; COMPUTE_PGM_RSRC2:TGID_Z_EN: 0
; COMPUTE_PGM_RSRC2:TIDIG_COMP_CNT: 0
	.section	.text._ZN7rocprim17ROCPRIM_400000_NS6detail17trampoline_kernelINS0_14default_configENS1_25partition_config_selectorILNS1_17partition_subalgoE5ElNS0_10empty_typeEbEEZZNS1_14partition_implILS5_5ELb0ES3_mN6hipcub16HIPCUB_304000_NS21CountingInputIteratorIllEEPS6_NSA_22TransformInputIteratorIb7NonZeroIdEPdlEENS0_5tupleIJPlS6_EEENSJ_IJSD_SD_EEES6_SK_JS6_EEE10hipError_tPvRmT3_T4_T5_T6_T7_T9_mT8_P12ihipStream_tbDpT10_ENKUlT_T0_E_clISt17integral_constantIbLb0EES16_EEDaS11_S12_EUlS11_E_NS1_11comp_targetILNS1_3genE10ELNS1_11target_archE1200ELNS1_3gpuE4ELNS1_3repE0EEENS1_30default_config_static_selectorELNS0_4arch9wavefront6targetE0EEEvT1_,"axG",@progbits,_ZN7rocprim17ROCPRIM_400000_NS6detail17trampoline_kernelINS0_14default_configENS1_25partition_config_selectorILNS1_17partition_subalgoE5ElNS0_10empty_typeEbEEZZNS1_14partition_implILS5_5ELb0ES3_mN6hipcub16HIPCUB_304000_NS21CountingInputIteratorIllEEPS6_NSA_22TransformInputIteratorIb7NonZeroIdEPdlEENS0_5tupleIJPlS6_EEENSJ_IJSD_SD_EEES6_SK_JS6_EEE10hipError_tPvRmT3_T4_T5_T6_T7_T9_mT8_P12ihipStream_tbDpT10_ENKUlT_T0_E_clISt17integral_constantIbLb0EES16_EEDaS11_S12_EUlS11_E_NS1_11comp_targetILNS1_3genE10ELNS1_11target_archE1200ELNS1_3gpuE4ELNS1_3repE0EEENS1_30default_config_static_selectorELNS0_4arch9wavefront6targetE0EEEvT1_,comdat
	.protected	_ZN7rocprim17ROCPRIM_400000_NS6detail17trampoline_kernelINS0_14default_configENS1_25partition_config_selectorILNS1_17partition_subalgoE5ElNS0_10empty_typeEbEEZZNS1_14partition_implILS5_5ELb0ES3_mN6hipcub16HIPCUB_304000_NS21CountingInputIteratorIllEEPS6_NSA_22TransformInputIteratorIb7NonZeroIdEPdlEENS0_5tupleIJPlS6_EEENSJ_IJSD_SD_EEES6_SK_JS6_EEE10hipError_tPvRmT3_T4_T5_T6_T7_T9_mT8_P12ihipStream_tbDpT10_ENKUlT_T0_E_clISt17integral_constantIbLb0EES16_EEDaS11_S12_EUlS11_E_NS1_11comp_targetILNS1_3genE10ELNS1_11target_archE1200ELNS1_3gpuE4ELNS1_3repE0EEENS1_30default_config_static_selectorELNS0_4arch9wavefront6targetE0EEEvT1_ ; -- Begin function _ZN7rocprim17ROCPRIM_400000_NS6detail17trampoline_kernelINS0_14default_configENS1_25partition_config_selectorILNS1_17partition_subalgoE5ElNS0_10empty_typeEbEEZZNS1_14partition_implILS5_5ELb0ES3_mN6hipcub16HIPCUB_304000_NS21CountingInputIteratorIllEEPS6_NSA_22TransformInputIteratorIb7NonZeroIdEPdlEENS0_5tupleIJPlS6_EEENSJ_IJSD_SD_EEES6_SK_JS6_EEE10hipError_tPvRmT3_T4_T5_T6_T7_T9_mT8_P12ihipStream_tbDpT10_ENKUlT_T0_E_clISt17integral_constantIbLb0EES16_EEDaS11_S12_EUlS11_E_NS1_11comp_targetILNS1_3genE10ELNS1_11target_archE1200ELNS1_3gpuE4ELNS1_3repE0EEENS1_30default_config_static_selectorELNS0_4arch9wavefront6targetE0EEEvT1_
	.globl	_ZN7rocprim17ROCPRIM_400000_NS6detail17trampoline_kernelINS0_14default_configENS1_25partition_config_selectorILNS1_17partition_subalgoE5ElNS0_10empty_typeEbEEZZNS1_14partition_implILS5_5ELb0ES3_mN6hipcub16HIPCUB_304000_NS21CountingInputIteratorIllEEPS6_NSA_22TransformInputIteratorIb7NonZeroIdEPdlEENS0_5tupleIJPlS6_EEENSJ_IJSD_SD_EEES6_SK_JS6_EEE10hipError_tPvRmT3_T4_T5_T6_T7_T9_mT8_P12ihipStream_tbDpT10_ENKUlT_T0_E_clISt17integral_constantIbLb0EES16_EEDaS11_S12_EUlS11_E_NS1_11comp_targetILNS1_3genE10ELNS1_11target_archE1200ELNS1_3gpuE4ELNS1_3repE0EEENS1_30default_config_static_selectorELNS0_4arch9wavefront6targetE0EEEvT1_
	.p2align	8
	.type	_ZN7rocprim17ROCPRIM_400000_NS6detail17trampoline_kernelINS0_14default_configENS1_25partition_config_selectorILNS1_17partition_subalgoE5ElNS0_10empty_typeEbEEZZNS1_14partition_implILS5_5ELb0ES3_mN6hipcub16HIPCUB_304000_NS21CountingInputIteratorIllEEPS6_NSA_22TransformInputIteratorIb7NonZeroIdEPdlEENS0_5tupleIJPlS6_EEENSJ_IJSD_SD_EEES6_SK_JS6_EEE10hipError_tPvRmT3_T4_T5_T6_T7_T9_mT8_P12ihipStream_tbDpT10_ENKUlT_T0_E_clISt17integral_constantIbLb0EES16_EEDaS11_S12_EUlS11_E_NS1_11comp_targetILNS1_3genE10ELNS1_11target_archE1200ELNS1_3gpuE4ELNS1_3repE0EEENS1_30default_config_static_selectorELNS0_4arch9wavefront6targetE0EEEvT1_,@function
_ZN7rocprim17ROCPRIM_400000_NS6detail17trampoline_kernelINS0_14default_configENS1_25partition_config_selectorILNS1_17partition_subalgoE5ElNS0_10empty_typeEbEEZZNS1_14partition_implILS5_5ELb0ES3_mN6hipcub16HIPCUB_304000_NS21CountingInputIteratorIllEEPS6_NSA_22TransformInputIteratorIb7NonZeroIdEPdlEENS0_5tupleIJPlS6_EEENSJ_IJSD_SD_EEES6_SK_JS6_EEE10hipError_tPvRmT3_T4_T5_T6_T7_T9_mT8_P12ihipStream_tbDpT10_ENKUlT_T0_E_clISt17integral_constantIbLb0EES16_EEDaS11_S12_EUlS11_E_NS1_11comp_targetILNS1_3genE10ELNS1_11target_archE1200ELNS1_3gpuE4ELNS1_3repE0EEENS1_30default_config_static_selectorELNS0_4arch9wavefront6targetE0EEEvT1_: ; @_ZN7rocprim17ROCPRIM_400000_NS6detail17trampoline_kernelINS0_14default_configENS1_25partition_config_selectorILNS1_17partition_subalgoE5ElNS0_10empty_typeEbEEZZNS1_14partition_implILS5_5ELb0ES3_mN6hipcub16HIPCUB_304000_NS21CountingInputIteratorIllEEPS6_NSA_22TransformInputIteratorIb7NonZeroIdEPdlEENS0_5tupleIJPlS6_EEENSJ_IJSD_SD_EEES6_SK_JS6_EEE10hipError_tPvRmT3_T4_T5_T6_T7_T9_mT8_P12ihipStream_tbDpT10_ENKUlT_T0_E_clISt17integral_constantIbLb0EES16_EEDaS11_S12_EUlS11_E_NS1_11comp_targetILNS1_3genE10ELNS1_11target_archE1200ELNS1_3gpuE4ELNS1_3repE0EEENS1_30default_config_static_selectorELNS0_4arch9wavefront6targetE0EEEvT1_
; %bb.0:
	.section	.rodata,"a",@progbits
	.p2align	6, 0x0
	.amdhsa_kernel _ZN7rocprim17ROCPRIM_400000_NS6detail17trampoline_kernelINS0_14default_configENS1_25partition_config_selectorILNS1_17partition_subalgoE5ElNS0_10empty_typeEbEEZZNS1_14partition_implILS5_5ELb0ES3_mN6hipcub16HIPCUB_304000_NS21CountingInputIteratorIllEEPS6_NSA_22TransformInputIteratorIb7NonZeroIdEPdlEENS0_5tupleIJPlS6_EEENSJ_IJSD_SD_EEES6_SK_JS6_EEE10hipError_tPvRmT3_T4_T5_T6_T7_T9_mT8_P12ihipStream_tbDpT10_ENKUlT_T0_E_clISt17integral_constantIbLb0EES16_EEDaS11_S12_EUlS11_E_NS1_11comp_targetILNS1_3genE10ELNS1_11target_archE1200ELNS1_3gpuE4ELNS1_3repE0EEENS1_30default_config_static_selectorELNS0_4arch9wavefront6targetE0EEEvT1_
		.amdhsa_group_segment_fixed_size 0
		.amdhsa_private_segment_fixed_size 0
		.amdhsa_kernarg_size 120
		.amdhsa_user_sgpr_count 15
		.amdhsa_user_sgpr_dispatch_ptr 0
		.amdhsa_user_sgpr_queue_ptr 0
		.amdhsa_user_sgpr_kernarg_segment_ptr 1
		.amdhsa_user_sgpr_dispatch_id 0
		.amdhsa_user_sgpr_private_segment_size 0
		.amdhsa_wavefront_size32 1
		.amdhsa_uses_dynamic_stack 0
		.amdhsa_enable_private_segment 0
		.amdhsa_system_sgpr_workgroup_id_x 1
		.amdhsa_system_sgpr_workgroup_id_y 0
		.amdhsa_system_sgpr_workgroup_id_z 0
		.amdhsa_system_sgpr_workgroup_info 0
		.amdhsa_system_vgpr_workitem_id 0
		.amdhsa_next_free_vgpr 1
		.amdhsa_next_free_sgpr 1
		.amdhsa_reserve_vcc 0
		.amdhsa_float_round_mode_32 0
		.amdhsa_float_round_mode_16_64 0
		.amdhsa_float_denorm_mode_32 3
		.amdhsa_float_denorm_mode_16_64 3
		.amdhsa_dx10_clamp 1
		.amdhsa_ieee_mode 1
		.amdhsa_fp16_overflow 0
		.amdhsa_workgroup_processor_mode 1
		.amdhsa_memory_ordered 1
		.amdhsa_forward_progress 0
		.amdhsa_shared_vgpr_count 0
		.amdhsa_exception_fp_ieee_invalid_op 0
		.amdhsa_exception_fp_denorm_src 0
		.amdhsa_exception_fp_ieee_div_zero 0
		.amdhsa_exception_fp_ieee_overflow 0
		.amdhsa_exception_fp_ieee_underflow 0
		.amdhsa_exception_fp_ieee_inexact 0
		.amdhsa_exception_int_div_zero 0
	.end_amdhsa_kernel
	.section	.text._ZN7rocprim17ROCPRIM_400000_NS6detail17trampoline_kernelINS0_14default_configENS1_25partition_config_selectorILNS1_17partition_subalgoE5ElNS0_10empty_typeEbEEZZNS1_14partition_implILS5_5ELb0ES3_mN6hipcub16HIPCUB_304000_NS21CountingInputIteratorIllEEPS6_NSA_22TransformInputIteratorIb7NonZeroIdEPdlEENS0_5tupleIJPlS6_EEENSJ_IJSD_SD_EEES6_SK_JS6_EEE10hipError_tPvRmT3_T4_T5_T6_T7_T9_mT8_P12ihipStream_tbDpT10_ENKUlT_T0_E_clISt17integral_constantIbLb0EES16_EEDaS11_S12_EUlS11_E_NS1_11comp_targetILNS1_3genE10ELNS1_11target_archE1200ELNS1_3gpuE4ELNS1_3repE0EEENS1_30default_config_static_selectorELNS0_4arch9wavefront6targetE0EEEvT1_,"axG",@progbits,_ZN7rocprim17ROCPRIM_400000_NS6detail17trampoline_kernelINS0_14default_configENS1_25partition_config_selectorILNS1_17partition_subalgoE5ElNS0_10empty_typeEbEEZZNS1_14partition_implILS5_5ELb0ES3_mN6hipcub16HIPCUB_304000_NS21CountingInputIteratorIllEEPS6_NSA_22TransformInputIteratorIb7NonZeroIdEPdlEENS0_5tupleIJPlS6_EEENSJ_IJSD_SD_EEES6_SK_JS6_EEE10hipError_tPvRmT3_T4_T5_T6_T7_T9_mT8_P12ihipStream_tbDpT10_ENKUlT_T0_E_clISt17integral_constantIbLb0EES16_EEDaS11_S12_EUlS11_E_NS1_11comp_targetILNS1_3genE10ELNS1_11target_archE1200ELNS1_3gpuE4ELNS1_3repE0EEENS1_30default_config_static_selectorELNS0_4arch9wavefront6targetE0EEEvT1_,comdat
.Lfunc_end326:
	.size	_ZN7rocprim17ROCPRIM_400000_NS6detail17trampoline_kernelINS0_14default_configENS1_25partition_config_selectorILNS1_17partition_subalgoE5ElNS0_10empty_typeEbEEZZNS1_14partition_implILS5_5ELb0ES3_mN6hipcub16HIPCUB_304000_NS21CountingInputIteratorIllEEPS6_NSA_22TransformInputIteratorIb7NonZeroIdEPdlEENS0_5tupleIJPlS6_EEENSJ_IJSD_SD_EEES6_SK_JS6_EEE10hipError_tPvRmT3_T4_T5_T6_T7_T9_mT8_P12ihipStream_tbDpT10_ENKUlT_T0_E_clISt17integral_constantIbLb0EES16_EEDaS11_S12_EUlS11_E_NS1_11comp_targetILNS1_3genE10ELNS1_11target_archE1200ELNS1_3gpuE4ELNS1_3repE0EEENS1_30default_config_static_selectorELNS0_4arch9wavefront6targetE0EEEvT1_, .Lfunc_end326-_ZN7rocprim17ROCPRIM_400000_NS6detail17trampoline_kernelINS0_14default_configENS1_25partition_config_selectorILNS1_17partition_subalgoE5ElNS0_10empty_typeEbEEZZNS1_14partition_implILS5_5ELb0ES3_mN6hipcub16HIPCUB_304000_NS21CountingInputIteratorIllEEPS6_NSA_22TransformInputIteratorIb7NonZeroIdEPdlEENS0_5tupleIJPlS6_EEENSJ_IJSD_SD_EEES6_SK_JS6_EEE10hipError_tPvRmT3_T4_T5_T6_T7_T9_mT8_P12ihipStream_tbDpT10_ENKUlT_T0_E_clISt17integral_constantIbLb0EES16_EEDaS11_S12_EUlS11_E_NS1_11comp_targetILNS1_3genE10ELNS1_11target_archE1200ELNS1_3gpuE4ELNS1_3repE0EEENS1_30default_config_static_selectorELNS0_4arch9wavefront6targetE0EEEvT1_
                                        ; -- End function
	.section	.AMDGPU.csdata,"",@progbits
; Kernel info:
; codeLenInByte = 0
; NumSgprs: 0
; NumVgprs: 0
; ScratchSize: 0
; MemoryBound: 0
; FloatMode: 240
; IeeeMode: 1
; LDSByteSize: 0 bytes/workgroup (compile time only)
; SGPRBlocks: 0
; VGPRBlocks: 0
; NumSGPRsForWavesPerEU: 1
; NumVGPRsForWavesPerEU: 1
; Occupancy: 16
; WaveLimiterHint : 0
; COMPUTE_PGM_RSRC2:SCRATCH_EN: 0
; COMPUTE_PGM_RSRC2:USER_SGPR: 15
; COMPUTE_PGM_RSRC2:TRAP_HANDLER: 0
; COMPUTE_PGM_RSRC2:TGID_X_EN: 1
; COMPUTE_PGM_RSRC2:TGID_Y_EN: 0
; COMPUTE_PGM_RSRC2:TGID_Z_EN: 0
; COMPUTE_PGM_RSRC2:TIDIG_COMP_CNT: 0
	.section	.text._ZN7rocprim17ROCPRIM_400000_NS6detail17trampoline_kernelINS0_14default_configENS1_25partition_config_selectorILNS1_17partition_subalgoE5ElNS0_10empty_typeEbEEZZNS1_14partition_implILS5_5ELb0ES3_mN6hipcub16HIPCUB_304000_NS21CountingInputIteratorIllEEPS6_NSA_22TransformInputIteratorIb7NonZeroIdEPdlEENS0_5tupleIJPlS6_EEENSJ_IJSD_SD_EEES6_SK_JS6_EEE10hipError_tPvRmT3_T4_T5_T6_T7_T9_mT8_P12ihipStream_tbDpT10_ENKUlT_T0_E_clISt17integral_constantIbLb0EES16_EEDaS11_S12_EUlS11_E_NS1_11comp_targetILNS1_3genE9ELNS1_11target_archE1100ELNS1_3gpuE3ELNS1_3repE0EEENS1_30default_config_static_selectorELNS0_4arch9wavefront6targetE0EEEvT1_,"axG",@progbits,_ZN7rocprim17ROCPRIM_400000_NS6detail17trampoline_kernelINS0_14default_configENS1_25partition_config_selectorILNS1_17partition_subalgoE5ElNS0_10empty_typeEbEEZZNS1_14partition_implILS5_5ELb0ES3_mN6hipcub16HIPCUB_304000_NS21CountingInputIteratorIllEEPS6_NSA_22TransformInputIteratorIb7NonZeroIdEPdlEENS0_5tupleIJPlS6_EEENSJ_IJSD_SD_EEES6_SK_JS6_EEE10hipError_tPvRmT3_T4_T5_T6_T7_T9_mT8_P12ihipStream_tbDpT10_ENKUlT_T0_E_clISt17integral_constantIbLb0EES16_EEDaS11_S12_EUlS11_E_NS1_11comp_targetILNS1_3genE9ELNS1_11target_archE1100ELNS1_3gpuE3ELNS1_3repE0EEENS1_30default_config_static_selectorELNS0_4arch9wavefront6targetE0EEEvT1_,comdat
	.protected	_ZN7rocprim17ROCPRIM_400000_NS6detail17trampoline_kernelINS0_14default_configENS1_25partition_config_selectorILNS1_17partition_subalgoE5ElNS0_10empty_typeEbEEZZNS1_14partition_implILS5_5ELb0ES3_mN6hipcub16HIPCUB_304000_NS21CountingInputIteratorIllEEPS6_NSA_22TransformInputIteratorIb7NonZeroIdEPdlEENS0_5tupleIJPlS6_EEENSJ_IJSD_SD_EEES6_SK_JS6_EEE10hipError_tPvRmT3_T4_T5_T6_T7_T9_mT8_P12ihipStream_tbDpT10_ENKUlT_T0_E_clISt17integral_constantIbLb0EES16_EEDaS11_S12_EUlS11_E_NS1_11comp_targetILNS1_3genE9ELNS1_11target_archE1100ELNS1_3gpuE3ELNS1_3repE0EEENS1_30default_config_static_selectorELNS0_4arch9wavefront6targetE0EEEvT1_ ; -- Begin function _ZN7rocprim17ROCPRIM_400000_NS6detail17trampoline_kernelINS0_14default_configENS1_25partition_config_selectorILNS1_17partition_subalgoE5ElNS0_10empty_typeEbEEZZNS1_14partition_implILS5_5ELb0ES3_mN6hipcub16HIPCUB_304000_NS21CountingInputIteratorIllEEPS6_NSA_22TransformInputIteratorIb7NonZeroIdEPdlEENS0_5tupleIJPlS6_EEENSJ_IJSD_SD_EEES6_SK_JS6_EEE10hipError_tPvRmT3_T4_T5_T6_T7_T9_mT8_P12ihipStream_tbDpT10_ENKUlT_T0_E_clISt17integral_constantIbLb0EES16_EEDaS11_S12_EUlS11_E_NS1_11comp_targetILNS1_3genE9ELNS1_11target_archE1100ELNS1_3gpuE3ELNS1_3repE0EEENS1_30default_config_static_selectorELNS0_4arch9wavefront6targetE0EEEvT1_
	.globl	_ZN7rocprim17ROCPRIM_400000_NS6detail17trampoline_kernelINS0_14default_configENS1_25partition_config_selectorILNS1_17partition_subalgoE5ElNS0_10empty_typeEbEEZZNS1_14partition_implILS5_5ELb0ES3_mN6hipcub16HIPCUB_304000_NS21CountingInputIteratorIllEEPS6_NSA_22TransformInputIteratorIb7NonZeroIdEPdlEENS0_5tupleIJPlS6_EEENSJ_IJSD_SD_EEES6_SK_JS6_EEE10hipError_tPvRmT3_T4_T5_T6_T7_T9_mT8_P12ihipStream_tbDpT10_ENKUlT_T0_E_clISt17integral_constantIbLb0EES16_EEDaS11_S12_EUlS11_E_NS1_11comp_targetILNS1_3genE9ELNS1_11target_archE1100ELNS1_3gpuE3ELNS1_3repE0EEENS1_30default_config_static_selectorELNS0_4arch9wavefront6targetE0EEEvT1_
	.p2align	8
	.type	_ZN7rocprim17ROCPRIM_400000_NS6detail17trampoline_kernelINS0_14default_configENS1_25partition_config_selectorILNS1_17partition_subalgoE5ElNS0_10empty_typeEbEEZZNS1_14partition_implILS5_5ELb0ES3_mN6hipcub16HIPCUB_304000_NS21CountingInputIteratorIllEEPS6_NSA_22TransformInputIteratorIb7NonZeroIdEPdlEENS0_5tupleIJPlS6_EEENSJ_IJSD_SD_EEES6_SK_JS6_EEE10hipError_tPvRmT3_T4_T5_T6_T7_T9_mT8_P12ihipStream_tbDpT10_ENKUlT_T0_E_clISt17integral_constantIbLb0EES16_EEDaS11_S12_EUlS11_E_NS1_11comp_targetILNS1_3genE9ELNS1_11target_archE1100ELNS1_3gpuE3ELNS1_3repE0EEENS1_30default_config_static_selectorELNS0_4arch9wavefront6targetE0EEEvT1_,@function
_ZN7rocprim17ROCPRIM_400000_NS6detail17trampoline_kernelINS0_14default_configENS1_25partition_config_selectorILNS1_17partition_subalgoE5ElNS0_10empty_typeEbEEZZNS1_14partition_implILS5_5ELb0ES3_mN6hipcub16HIPCUB_304000_NS21CountingInputIteratorIllEEPS6_NSA_22TransformInputIteratorIb7NonZeroIdEPdlEENS0_5tupleIJPlS6_EEENSJ_IJSD_SD_EEES6_SK_JS6_EEE10hipError_tPvRmT3_T4_T5_T6_T7_T9_mT8_P12ihipStream_tbDpT10_ENKUlT_T0_E_clISt17integral_constantIbLb0EES16_EEDaS11_S12_EUlS11_E_NS1_11comp_targetILNS1_3genE9ELNS1_11target_archE1100ELNS1_3gpuE3ELNS1_3repE0EEENS1_30default_config_static_selectorELNS0_4arch9wavefront6targetE0EEEvT1_: ; @_ZN7rocprim17ROCPRIM_400000_NS6detail17trampoline_kernelINS0_14default_configENS1_25partition_config_selectorILNS1_17partition_subalgoE5ElNS0_10empty_typeEbEEZZNS1_14partition_implILS5_5ELb0ES3_mN6hipcub16HIPCUB_304000_NS21CountingInputIteratorIllEEPS6_NSA_22TransformInputIteratorIb7NonZeroIdEPdlEENS0_5tupleIJPlS6_EEENSJ_IJSD_SD_EEES6_SK_JS6_EEE10hipError_tPvRmT3_T4_T5_T6_T7_T9_mT8_P12ihipStream_tbDpT10_ENKUlT_T0_E_clISt17integral_constantIbLb0EES16_EEDaS11_S12_EUlS11_E_NS1_11comp_targetILNS1_3genE9ELNS1_11target_archE1100ELNS1_3gpuE3ELNS1_3repE0EEENS1_30default_config_static_selectorELNS0_4arch9wavefront6targetE0EEEvT1_
; %bb.0:
	s_clause 0x4
	s_load_b128 s[8:11], s[0:1], 0x8
	s_load_b128 s[4:7], s[0:1], 0x48
	s_load_b32 s14, s[0:1], 0x70
	s_load_b64 s[2:3], s[0:1], 0x58
	s_load_b64 s[12:13], s[0:1], 0x20
	s_waitcnt lgkmcnt(0)
	s_add_u32 s18, s10, s8
	s_load_b64 s[6:7], s[6:7], 0x0
	s_mul_i32 s17, s14, 0x300
	s_addc_u32 s19, s11, s9
	s_add_i32 s14, s14, -1
	s_add_u32 s8, s10, s17
	s_addc_u32 s9, s11, 0
	s_cmp_eq_u32 s15, s14
	v_cmp_ge_u64_e64 s3, s[8:9], s[2:3]
	s_cselect_b32 s14, -1, 0
	s_mul_i32 s8, s15, 0x300
	s_mov_b32 s9, 0
	s_delay_alu instid0(VALU_DEP_1) | instskip(NEXT) | instid1(SALU_CYCLE_1)
	s_and_b32 s3, s14, s3
	s_xor_b32 s16, s3, -1
	s_mov_b32 s3, -1
	s_and_b32 vcc_lo, exec_lo, s16
	s_cbranch_vccz .LBB327_2
; %bb.1:
	s_add_u32 s3, s18, s8
	s_addc_u32 s20, s19, 0
	v_add_co_u32 v1, s3, s3, v0
	s_delay_alu instid0(VALU_DEP_1) | instskip(SKIP_1) | instid1(VALU_DEP_3)
	v_add_co_ci_u32_e64 v2, null, s20, 0, s3
	v_lshlrev_b32_e32 v13, 3, v0
	v_add_co_u32 v3, vcc_lo, 0x80, v1
	s_delay_alu instid0(VALU_DEP_3)
	v_add_co_ci_u32_e32 v4, vcc_lo, 0, v2, vcc_lo
	v_add_co_u32 v5, vcc_lo, 0x100, v1
	v_add_co_ci_u32_e32 v6, vcc_lo, 0, v2, vcc_lo
	v_add_co_u32 v7, vcc_lo, 0x180, v1
	;; [unrolled: 2-line block ×4, first 2 shown]
	v_add_co_ci_u32_e32 v12, vcc_lo, 0, v2, vcc_lo
	ds_store_2addr_stride64_b64 v13, v[1:2], v[3:4] offset1:2
	ds_store_2addr_stride64_b64 v13, v[5:6], v[7:8] offset0:4 offset1:6
	ds_store_2addr_stride64_b64 v13, v[9:10], v[11:12] offset0:8 offset1:10
	s_waitcnt lgkmcnt(0)
	s_mov_b32 s3, s9
	s_barrier
.LBB327_2:
	v_or_b32_e32 v17, 0x100, v0
	v_or_b32_e32 v16, 0x180, v0
	;; [unrolled: 1-line block ×4, first 2 shown]
	s_and_not1_b32 vcc_lo, exec_lo, s3
	s_cbranch_vccnz .LBB327_4
; %bb.3:
	v_or_b32_e32 v3, 0x80, v0
	s_add_u32 s3, s18, s8
	s_addc_u32 s18, s19, 0
	v_add_co_u32 v1, s19, s3, v0
	s_delay_alu instid0(VALU_DEP_1) | instskip(SKIP_1) | instid1(VALU_DEP_1)
	v_add_co_ci_u32_e64 v2, null, s18, 0, s19
	v_add_co_u32 v3, s19, s3, v3
	v_add_co_ci_u32_e64 v4, null, s18, 0, s19
	v_add_co_u32 v5, s19, s3, v17
	s_delay_alu instid0(VALU_DEP_1) | instskip(SKIP_1) | instid1(VALU_DEP_1)
	v_add_co_ci_u32_e64 v6, null, s18, 0, s19
	v_add_co_u32 v7, s19, s3, v16
	v_add_co_ci_u32_e64 v8, null, s18, 0, s19
	v_add_co_u32 v9, s19, s3, v14
	v_lshlrev_b32_e32 v15, 3, v0
	v_add_co_u32 v11, s3, s3, v13
	v_add_co_ci_u32_e64 v10, null, s18, 0, s19
	v_add_co_ci_u32_e64 v12, null, s18, 0, s3
	ds_store_2addr_stride64_b64 v15, v[1:2], v[3:4] offset1:2
	ds_store_2addr_stride64_b64 v15, v[5:6], v[7:8] offset0:4 offset1:6
	ds_store_2addr_stride64_b64 v15, v[9:10], v[11:12] offset0:8 offset1:10
	s_waitcnt lgkmcnt(0)
	s_barrier
.LBB327_4:
	v_mul_u32_u24_e32 v1, 6, v0
	s_waitcnt lgkmcnt(0)
	buffer_gl0_inv
	s_lshl_b64 s[18:19], s[10:11], 3
	s_delay_alu instid0(SALU_CYCLE_1)
	s_add_u32 s3, s12, s18
	v_lshlrev_b32_e32 v15, 3, v1
	s_addc_u32 s11, s13, s19
	s_lshl_b64 s[8:9], s[8:9], 3
	ds_load_b128 v[9:12], v15
	ds_load_b128 v[5:8], v15 offset:16
	ds_load_b128 v[1:4], v15 offset:32
	s_add_u32 s12, s3, s8
	s_addc_u32 s13, s11, s9
	s_and_b32 vcc_lo, exec_lo, s16
	s_mov_b32 s3, -1
	s_waitcnt lgkmcnt(0)
	s_barrier
	buffer_gl0_inv
	s_cbranch_vccz .LBB327_6
; %bb.5:
	v_lshlrev_b32_e32 v26, 3, v0
	s_clause 0x1
	global_load_b64 v[18:19], v26, s[12:13]
	global_load_b64 v[20:21], v26, s[12:13] offset:1024
	v_add_co_u32 v22, s3, s12, v26
	s_delay_alu instid0(VALU_DEP_1) | instskip(SKIP_1) | instid1(VALU_DEP_2)
	v_add_co_ci_u32_e64 v23, null, s13, 0, s3
	s_mov_b32 s3, 0
	v_add_co_u32 v22, vcc_lo, 0x1000, v22
	s_delay_alu instid0(VALU_DEP_2)
	v_add_co_ci_u32_e32 v23, vcc_lo, 0, v23, vcc_lo
	s_clause 0x3
	global_load_b64 v[24:25], v26, s[12:13] offset:2048
	global_load_b64 v[26:27], v26, s[12:13] offset:3072
	global_load_b64 v[28:29], v[22:23], off
	global_load_b64 v[22:23], v[22:23], off offset:1024
	s_waitcnt vmcnt(5)
	v_cmp_neq_f64_e32 vcc_lo, 0, v[18:19]
	v_cndmask_b32_e64 v18, 0, 1, vcc_lo
	s_waitcnt vmcnt(4)
	v_cmp_neq_f64_e32 vcc_lo, 0, v[20:21]
	v_cndmask_b32_e64 v19, 0, 1, vcc_lo
	;; [unrolled: 3-line block ×6, first 2 shown]
	ds_store_b8 v0, v18
	ds_store_b8 v0, v19 offset:128
	ds_store_b8 v0, v20 offset:256
	;; [unrolled: 1-line block ×5, first 2 shown]
	s_waitcnt lgkmcnt(0)
	s_barrier
.LBB327_6:
	s_load_b64 s[8:9], s[0:1], 0x68
	s_and_not1_b32 vcc_lo, exec_lo, s3
	s_cbranch_vccnz .LBB327_20
; %bb.7:
	s_add_i32 s17, s17, s10
	v_dual_mov_b32 v18, 0 :: v_dual_mov_b32 v19, 0
	s_sub_i32 s2, s2, s17
	s_mov_b32 s3, exec_lo
	s_addk_i32 s2, 0x300
	s_delay_alu instid0(SALU_CYCLE_1)
	v_cmpx_gt_u32_e64 s2, v0
	s_cbranch_execz .LBB327_9
; %bb.8:
	v_lshlrev_b32_e32 v19, 3, v0
	global_load_b64 v[19:20], v19, s[12:13]
	s_waitcnt vmcnt(0)
	v_cmp_neq_f64_e32 vcc_lo, 0, v[19:20]
	v_cndmask_b32_e64 v19, 0, 1, vcc_lo
.LBB327_9:
	s_or_b32 exec_lo, exec_lo, s3
	v_or_b32_e32 v20, 0x80, v0
	s_mov_b32 s3, exec_lo
	s_delay_alu instid0(VALU_DEP_1)
	v_cmpx_gt_u32_e64 s2, v20
	s_cbranch_execz .LBB327_11
; %bb.10:
	v_lshlrev_b32_e32 v18, 3, v0
	global_load_b64 v[20:21], v18, s[12:13] offset:1024
	s_waitcnt vmcnt(0)
	v_cmp_neq_f64_e32 vcc_lo, 0, v[20:21]
	v_cndmask_b32_e64 v18, 0, 1, vcc_lo
.LBB327_11:
	s_or_b32 exec_lo, exec_lo, s3
	v_cmp_gt_u32_e32 vcc_lo, s2, v17
	v_dual_mov_b32 v17, 0 :: v_dual_mov_b32 v20, 0
	s_and_saveexec_b32 s3, vcc_lo
	s_cbranch_execz .LBB327_13
; %bb.12:
	v_lshlrev_b32_e32 v20, 3, v0
	global_load_b64 v[20:21], v20, s[12:13] offset:2048
	s_waitcnt vmcnt(0)
	v_cmp_neq_f64_e32 vcc_lo, 0, v[20:21]
	v_cndmask_b32_e64 v20, 0, 1, vcc_lo
.LBB327_13:
	s_or_b32 exec_lo, exec_lo, s3
	s_delay_alu instid0(SALU_CYCLE_1)
	s_mov_b32 s3, exec_lo
	v_cmpx_gt_u32_e64 s2, v16
	s_cbranch_execz .LBB327_15
; %bb.14:
	v_lshlrev_b32_e32 v16, 3, v0
	global_load_b64 v[16:17], v16, s[12:13] offset:3072
	s_waitcnt vmcnt(0)
	v_cmp_neq_f64_e32 vcc_lo, 0, v[16:17]
	v_cndmask_b32_e64 v17, 0, 1, vcc_lo
.LBB327_15:
	s_or_b32 exec_lo, exec_lo, s3
	v_dual_mov_b32 v16, 0 :: v_dual_mov_b32 v21, 0
	s_mov_b32 s3, exec_lo
	v_cmpx_gt_u32_e64 s2, v14
	s_cbranch_execz .LBB327_17
; %bb.16:
	v_lshlrev_b32_e32 v14, 3, v14
	global_load_b64 v[21:22], v14, s[12:13]
	s_waitcnt vmcnt(0)
	v_cmp_neq_f64_e32 vcc_lo, 0, v[21:22]
	v_cndmask_b32_e64 v21, 0, 1, vcc_lo
.LBB327_17:
	s_or_b32 exec_lo, exec_lo, s3
	v_cmp_gt_u32_e32 vcc_lo, s2, v13
	s_and_saveexec_b32 s2, vcc_lo
	s_cbranch_execz .LBB327_19
; %bb.18:
	v_lshlrev_b32_e32 v13, 3, v13
	global_load_b64 v[13:14], v13, s[12:13]
	s_waitcnt vmcnt(0)
	v_cmp_neq_f64_e32 vcc_lo, 0, v[13:14]
	v_cndmask_b32_e64 v16, 0, 1, vcc_lo
.LBB327_19:
	s_or_b32 exec_lo, exec_lo, s2
	ds_store_b8 v0, v19
	ds_store_b8 v0, v18 offset:128
	ds_store_b8 v0, v20 offset:256
	;; [unrolled: 1-line block ×5, first 2 shown]
	s_waitcnt lgkmcnt(0)
	s_barrier
.LBB327_20:
	v_mad_i32_i24 v43, 0xffffffd6, v0, v15
	s_waitcnt lgkmcnt(0)
	buffer_gl0_inv
	v_mbcnt_lo_u32_b32 v42, -1, 0
	s_cmp_lg_u32 s15, 0
	s_mov_b32 s3, -1
	ds_load_u16 v36, v43
	ds_load_u16 v33, v43 offset:2
	ds_load_u16 v31, v43 offset:4
	v_mov_b32_e32 v14, 0
	v_and_b32_e32 v44, 15, v42
	s_waitcnt lgkmcnt(0)
	s_barrier
	buffer_gl0_inv
	v_and_b32_e32 v41, 0xff, v36
	v_lshrrev_b16 v34, 8, v36
	v_lshrrev_b16 v35, 8, v33
	v_and_b32_e32 v39, 0xff, v33
	v_lshrrev_b16 v32, 8, v31
	v_and_b32_e32 v37, 0xff, v31
	v_and_b32_e32 v40, 0xffff, v34
	;; [unrolled: 1-line block ×3, first 2 shown]
	s_delay_alu instid0(VALU_DEP_4) | instskip(NEXT) | instid1(VALU_DEP_3)
	v_and_b32_e32 v16, 0xffff, v32
	v_add_co_u32 v13, s2, v40, v41
	s_delay_alu instid0(VALU_DEP_1) | instskip(SKIP_1) | instid1(VALU_DEP_3)
	v_add_co_ci_u32_e64 v15, null, 0, 0, s2
	v_cmp_ne_u32_e64 s2, 0, v44
	v_add_co_u32 v13, vcc_lo, v13, v39
	s_delay_alu instid0(VALU_DEP_3) | instskip(NEXT) | instid1(VALU_DEP_2)
	v_add_co_ci_u32_e32 v15, vcc_lo, 0, v15, vcc_lo
	v_add_co_u32 v13, vcc_lo, v13, v38
	s_delay_alu instid0(VALU_DEP_2) | instskip(NEXT) | instid1(VALU_DEP_2)
	v_add_co_ci_u32_e32 v15, vcc_lo, 0, v15, vcc_lo
	v_add_co_u32 v13, vcc_lo, v13, v37
	s_delay_alu instid0(VALU_DEP_2) | instskip(NEXT) | instid1(VALU_DEP_2)
	v_add_co_ci_u32_e32 v15, vcc_lo, 0, v15, vcc_lo
	v_add_co_u32 v21, vcc_lo, v13, v16
	s_delay_alu instid0(VALU_DEP_2)
	v_add_co_ci_u32_e32 v22, vcc_lo, 0, v15, vcc_lo
	s_cbranch_scc0 .LBB327_84
; %bb.21:
	s_delay_alu instid0(VALU_DEP_2)
	v_mov_b32_e32 v15, v21
	v_mov_b32_dpp v13, v21 row_shr:1 row_mask:0xf bank_mask:0xf
	v_mov_b32_dpp v18, v14 row_shr:1 row_mask:0xf bank_mask:0xf
	v_dual_mov_b32 v17, v21 :: v_dual_mov_b32 v16, v22
	s_and_saveexec_b32 s3, s2
; %bb.22:
	s_delay_alu instid0(VALU_DEP_3) | instskip(SKIP_1) | instid1(VALU_DEP_2)
	v_add_co_u32 v17, vcc_lo, v21, v13
	v_add_co_ci_u32_e32 v14, vcc_lo, 0, v22, vcc_lo
	v_add_co_u32 v13, vcc_lo, 0, v17
	s_delay_alu instid0(VALU_DEP_2) | instskip(NEXT) | instid1(VALU_DEP_1)
	v_add_co_ci_u32_e32 v14, vcc_lo, v18, v14, vcc_lo
	v_dual_mov_b32 v16, v14 :: v_dual_mov_b32 v15, v13
; %bb.23:
	s_or_b32 exec_lo, exec_lo, s3
	v_mov_b32_dpp v13, v17 row_shr:2 row_mask:0xf bank_mask:0xf
	v_mov_b32_dpp v18, v14 row_shr:2 row_mask:0xf bank_mask:0xf
	s_mov_b32 s3, exec_lo
	v_cmpx_lt_u32_e32 1, v44
; %bb.24:
	s_delay_alu instid0(VALU_DEP_3) | instskip(SKIP_1) | instid1(VALU_DEP_2)
	v_add_co_u32 v17, vcc_lo, v15, v13
	v_add_co_ci_u32_e32 v14, vcc_lo, 0, v16, vcc_lo
	v_add_co_u32 v13, vcc_lo, 0, v17
	s_delay_alu instid0(VALU_DEP_2) | instskip(NEXT) | instid1(VALU_DEP_1)
	v_add_co_ci_u32_e32 v14, vcc_lo, v18, v14, vcc_lo
	v_dual_mov_b32 v16, v14 :: v_dual_mov_b32 v15, v13
; %bb.25:
	s_or_b32 exec_lo, exec_lo, s3
	v_mov_b32_dpp v13, v17 row_shr:4 row_mask:0xf bank_mask:0xf
	v_mov_b32_dpp v18, v14 row_shr:4 row_mask:0xf bank_mask:0xf
	s_mov_b32 s3, exec_lo
	v_cmpx_lt_u32_e32 3, v44
	;; [unrolled: 14-line block ×3, first 2 shown]
; %bb.28:
	s_delay_alu instid0(VALU_DEP_3) | instskip(SKIP_1) | instid1(VALU_DEP_2)
	v_add_co_u32 v17, vcc_lo, v15, v18
	v_add_co_ci_u32_e32 v14, vcc_lo, 0, v16, vcc_lo
	v_add_co_u32 v15, vcc_lo, 0, v17
	s_delay_alu instid0(VALU_DEP_2) | instskip(NEXT) | instid1(VALU_DEP_1)
	v_add_co_ci_u32_e32 v16, vcc_lo, v13, v14, vcc_lo
	v_mov_b32_e32 v14, v16
; %bb.29:
	s_or_b32 exec_lo, exec_lo, s3
	ds_swizzle_b32 v13, v17 offset:swizzle(BROADCAST,32,15)
	ds_swizzle_b32 v18, v14 offset:swizzle(BROADCAST,32,15)
	v_and_b32_e32 v19, 16, v42
	s_mov_b32 s3, exec_lo
	s_delay_alu instid0(VALU_DEP_1)
	v_cmpx_ne_u32_e32 0, v19
	s_cbranch_execz .LBB327_31
; %bb.30:
	s_waitcnt lgkmcnt(1)
	v_add_co_u32 v17, vcc_lo, v15, v13
	v_add_co_ci_u32_e32 v14, vcc_lo, 0, v16, vcc_lo
	s_delay_alu instid0(VALU_DEP_2) | instskip(SKIP_1) | instid1(VALU_DEP_2)
	v_add_co_u32 v13, vcc_lo, 0, v17
	s_waitcnt lgkmcnt(0)
	v_add_co_ci_u32_e32 v14, vcc_lo, v18, v14, vcc_lo
	s_delay_alu instid0(VALU_DEP_1)
	v_dual_mov_b32 v16, v14 :: v_dual_mov_b32 v15, v13
.LBB327_31:
	s_or_b32 exec_lo, exec_lo, s3
	s_waitcnt lgkmcnt(0)
	v_or_b32_e32 v18, 31, v0
	v_lshrrev_b32_e32 v13, 5, v0
	s_mov_b32 s3, exec_lo
	s_delay_alu instid0(VALU_DEP_2)
	v_cmpx_eq_u32_e64 v18, v0
	s_cbranch_execz .LBB327_33
; %bb.32:
	s_delay_alu instid0(VALU_DEP_2)
	v_lshlrev_b32_e32 v18, 3, v13
	ds_store_b64 v18, v[15:16]
.LBB327_33:
	s_or_b32 exec_lo, exec_lo, s3
	s_delay_alu instid0(SALU_CYCLE_1)
	s_mov_b32 s3, exec_lo
	s_waitcnt lgkmcnt(0)
	s_barrier
	buffer_gl0_inv
	v_cmpx_gt_u32_e32 4, v0
	s_cbranch_execz .LBB327_39
; %bb.34:
	v_lshlrev_b32_e32 v18, 3, v0
	s_mov_b32 s10, exec_lo
	ds_load_b64 v[15:16], v18
	s_waitcnt lgkmcnt(0)
	v_dual_mov_b32 v20, v15 :: v_dual_and_b32 v19, 3, v42
	v_mov_b32_dpp v24, v15 row_shr:1 row_mask:0xf bank_mask:0xf
	v_mov_b32_dpp v23, v16 row_shr:1 row_mask:0xf bank_mask:0xf
	s_delay_alu instid0(VALU_DEP_3)
	v_cmpx_ne_u32_e32 0, v19
; %bb.35:
	s_delay_alu instid0(VALU_DEP_3) | instskip(SKIP_1) | instid1(VALU_DEP_2)
	v_add_co_u32 v20, vcc_lo, v15, v24
	v_add_co_ci_u32_e32 v16, vcc_lo, 0, v16, vcc_lo
	v_add_co_u32 v15, vcc_lo, 0, v20
	s_delay_alu instid0(VALU_DEP_2)
	v_add_co_ci_u32_e32 v16, vcc_lo, v23, v16, vcc_lo
; %bb.36:
	s_or_b32 exec_lo, exec_lo, s10
	v_mov_b32_dpp v23, v20 row_shr:2 row_mask:0xf bank_mask:0xf
	s_delay_alu instid0(VALU_DEP_2)
	v_mov_b32_dpp v20, v16 row_shr:2 row_mask:0xf bank_mask:0xf
	s_mov_b32 s10, exec_lo
	v_cmpx_lt_u32_e32 1, v19
; %bb.37:
	s_delay_alu instid0(VALU_DEP_3) | instskip(SKIP_1) | instid1(VALU_DEP_2)
	v_add_co_u32 v15, vcc_lo, v15, v23
	v_add_co_ci_u32_e32 v16, vcc_lo, 0, v16, vcc_lo
	v_add_co_u32 v15, vcc_lo, v15, 0
	s_delay_alu instid0(VALU_DEP_2)
	v_add_co_ci_u32_e32 v16, vcc_lo, v16, v20, vcc_lo
; %bb.38:
	s_or_b32 exec_lo, exec_lo, s10
	ds_store_b64 v18, v[15:16]
.LBB327_39:
	s_or_b32 exec_lo, exec_lo, s3
	v_cmp_gt_u32_e32 vcc_lo, 32, v0
	s_mov_b32 s10, exec_lo
	s_waitcnt lgkmcnt(0)
	s_barrier
	buffer_gl0_inv
                                        ; implicit-def: $vgpr23_vgpr24
	v_cmpx_lt_u32_e32 31, v0
	s_cbranch_execz .LBB327_41
; %bb.40:
	v_lshl_add_u32 v13, v13, 3, -8
	ds_load_b64 v[23:24], v13
	s_waitcnt lgkmcnt(0)
	v_add_co_u32 v17, s3, v17, v23
	s_delay_alu instid0(VALU_DEP_1)
	v_add_co_ci_u32_e64 v14, s3, v14, v24, s3
.LBB327_41:
	s_or_b32 exec_lo, exec_lo, s10
	v_add_nc_u32_e32 v13, -1, v42
	s_delay_alu instid0(VALU_DEP_1) | instskip(NEXT) | instid1(VALU_DEP_1)
	v_cmp_gt_i32_e64 s3, 0, v13
	v_cndmask_b32_e64 v13, v13, v42, s3
	v_cmp_eq_u32_e64 s3, 0, v42
	s_delay_alu instid0(VALU_DEP_2)
	v_lshlrev_b32_e32 v13, 2, v13
	ds_bpermute_b32 v29, v13, v17
	ds_bpermute_b32 v30, v13, v14
	s_and_saveexec_b32 s10, vcc_lo
	s_cbranch_execz .LBB327_79
; %bb.42:
	v_mov_b32_e32 v16, 0
	ds_load_b64 v[13:14], v16 offset:24
	s_and_saveexec_b32 s11, s3
	s_cbranch_execz .LBB327_44
; %bb.43:
	s_add_i32 s12, s15, 32
	s_mov_b32 s13, 0
	s_delay_alu instid0(SALU_CYCLE_1) | instskip(NEXT) | instid1(SALU_CYCLE_1)
	s_lshl_b64 s[12:13], s[12:13], 4
	s_add_u32 s12, s8, s12
	s_addc_u32 s13, s9, s13
	s_delay_alu instid0(SALU_CYCLE_1)
	v_dual_mov_b32 v15, 1 :: v_dual_mov_b32 v18, s13
	v_mov_b32_e32 v17, s12
	s_waitcnt lgkmcnt(0)
	;;#ASMSTART
	global_store_dwordx4 v[17:18], v[13:16] off	
s_waitcnt vmcnt(0)
	;;#ASMEND
.LBB327_44:
	s_or_b32 exec_lo, exec_lo, s11
	v_xad_u32 v25, v42, -1, s15
	s_mov_b32 s12, 0
	s_mov_b32 s11, exec_lo
	s_delay_alu instid0(VALU_DEP_1) | instskip(NEXT) | instid1(VALU_DEP_1)
	v_add_nc_u32_e32 v15, 32, v25
	v_lshlrev_b64 v[15:16], 4, v[15:16]
	s_delay_alu instid0(VALU_DEP_1) | instskip(NEXT) | instid1(VALU_DEP_2)
	v_add_co_u32 v15, vcc_lo, s8, v15
	v_add_co_ci_u32_e32 v16, vcc_lo, s9, v16, vcc_lo
	;;#ASMSTART
	global_load_dwordx4 v[17:20], v[15:16] off glc	
s_waitcnt vmcnt(0)
	;;#ASMEND
	v_and_b32_e32 v20, 0xff, v18
	v_and_b32_e32 v26, 0xff00, v18
	;; [unrolled: 1-line block ×3, first 2 shown]
	v_or3_b32 v17, v17, 0, 0
	v_and_b32_e32 v18, 0xff000000, v18
	s_delay_alu instid0(VALU_DEP_4) | instskip(SKIP_1) | instid1(VALU_DEP_4)
	v_or3_b32 v20, 0, v20, v26
	v_and_b32_e32 v26, 0xff, v19
	v_or3_b32 v17, v17, 0, 0
	s_delay_alu instid0(VALU_DEP_3) | instskip(NEXT) | instid1(VALU_DEP_3)
	v_or3_b32 v18, v20, v27, v18
	v_cmpx_eq_u16_e32 0, v26
	s_cbranch_execz .LBB327_47
.LBB327_45:                             ; =>This Inner Loop Header: Depth=1
	;;#ASMSTART
	global_load_dwordx4 v[17:20], v[15:16] off glc	
s_waitcnt vmcnt(0)
	;;#ASMEND
	v_and_b32_e32 v20, 0xff, v19
	s_delay_alu instid0(VALU_DEP_1) | instskip(SKIP_1) | instid1(SALU_CYCLE_1)
	v_cmp_ne_u16_e32 vcc_lo, 0, v20
	s_or_b32 s12, vcc_lo, s12
	s_and_not1_b32 exec_lo, exec_lo, s12
	s_cbranch_execnz .LBB327_45
; %bb.46:
	s_or_b32 exec_lo, exec_lo, s12
.LBB327_47:
	s_delay_alu instid0(SALU_CYCLE_1)
	s_or_b32 exec_lo, exec_lo, s11
	v_cmp_ne_u32_e32 vcc_lo, 31, v42
	v_and_b32_e32 v16, 0xff, v19
	v_lshlrev_b32_e64 v46, v42, -1
	s_mov_b32 s11, exec_lo
	v_add_co_ci_u32_e32 v15, vcc_lo, 0, v42, vcc_lo
	s_delay_alu instid0(VALU_DEP_3) | instskip(NEXT) | instid1(VALU_DEP_2)
	v_cmp_eq_u16_e32 vcc_lo, 2, v16
	v_dual_mov_b32 v16, v17 :: v_dual_lshlrev_b32 v45, 2, v15
	v_and_or_b32 v15, vcc_lo, v46, 0x80000000
	ds_bpermute_b32 v26, v45, v17
	ds_bpermute_b32 v20, v45, v18
	v_ctz_i32_b32_e32 v15, v15
	s_delay_alu instid0(VALU_DEP_1)
	v_cmpx_lt_u32_e64 v42, v15
	s_cbranch_execz .LBB327_49
; %bb.48:
	s_waitcnt lgkmcnt(1)
	v_add_co_u32 v16, vcc_lo, v17, v26
	v_add_co_ci_u32_e32 v18, vcc_lo, 0, v18, vcc_lo
	s_delay_alu instid0(VALU_DEP_2) | instskip(SKIP_1) | instid1(VALU_DEP_2)
	v_add_co_u32 v17, vcc_lo, 0, v16
	s_waitcnt lgkmcnt(0)
	v_add_co_ci_u32_e32 v18, vcc_lo, v20, v18, vcc_lo
.LBB327_49:
	s_or_b32 exec_lo, exec_lo, s11
	v_cmp_gt_u32_e32 vcc_lo, 30, v42
	v_add_nc_u32_e32 v48, 2, v42
	s_mov_b32 s11, exec_lo
	s_waitcnt lgkmcnt(0)
	v_cndmask_b32_e64 v20, 0, 1, vcc_lo
	s_delay_alu instid0(VALU_DEP_1) | instskip(NEXT) | instid1(VALU_DEP_1)
	v_lshlrev_b32_e32 v20, 1, v20
	v_add_lshl_u32 v47, v20, v42, 2
	ds_bpermute_b32 v26, v47, v16
	ds_bpermute_b32 v20, v47, v18
	v_cmpx_le_u32_e64 v48, v15
	s_cbranch_execz .LBB327_51
; %bb.50:
	s_waitcnt lgkmcnt(1)
	v_add_co_u32 v16, vcc_lo, v17, v26
	v_add_co_ci_u32_e32 v18, vcc_lo, 0, v18, vcc_lo
	s_delay_alu instid0(VALU_DEP_2) | instskip(SKIP_1) | instid1(VALU_DEP_2)
	v_add_co_u32 v17, vcc_lo, 0, v16
	s_waitcnt lgkmcnt(0)
	v_add_co_ci_u32_e32 v18, vcc_lo, v20, v18, vcc_lo
.LBB327_51:
	s_or_b32 exec_lo, exec_lo, s11
	v_cmp_gt_u32_e32 vcc_lo, 28, v42
	v_add_nc_u32_e32 v50, 4, v42
	s_mov_b32 s11, exec_lo
	s_waitcnt lgkmcnt(0)
	v_cndmask_b32_e64 v20, 0, 1, vcc_lo
	s_delay_alu instid0(VALU_DEP_1) | instskip(NEXT) | instid1(VALU_DEP_1)
	v_lshlrev_b32_e32 v20, 2, v20
	v_add_lshl_u32 v49, v20, v42, 2
	ds_bpermute_b32 v26, v49, v16
	ds_bpermute_b32 v20, v49, v18
	v_cmpx_le_u32_e64 v50, v15
	;; [unrolled: 22-line block ×4, first 2 shown]
	s_cbranch_execz .LBB327_57
; %bb.56:
	s_waitcnt lgkmcnt(1)
	v_add_co_u32 v15, vcc_lo, v17, v20
	v_add_co_ci_u32_e32 v18, vcc_lo, 0, v18, vcc_lo
	s_delay_alu instid0(VALU_DEP_2) | instskip(SKIP_1) | instid1(VALU_DEP_2)
	v_add_co_u32 v17, vcc_lo, v15, 0
	s_waitcnt lgkmcnt(0)
	v_add_co_ci_u32_e32 v18, vcc_lo, v18, v16, vcc_lo
.LBB327_57:
	s_or_b32 exec_lo, exec_lo, s11
	v_mov_b32_e32 v26, 0
	s_branch .LBB327_59
.LBB327_58:                             ;   in Loop: Header=BB327_59 Depth=1
	s_or_b32 exec_lo, exec_lo, s11
	v_add_co_u32 v17, vcc_lo, v17, v15
	v_subrev_nc_u32_e32 v25, 32, v25
	v_add_co_ci_u32_e32 v18, vcc_lo, v18, v16, vcc_lo
.LBB327_59:                             ; =>This Loop Header: Depth=1
                                        ;     Child Loop BB327_62 Depth 2
	v_and_b32_e32 v15, 0xff, v19
	s_delay_alu instid0(VALU_DEP_1) | instskip(SKIP_2) | instid1(VALU_DEP_1)
	v_cmp_ne_u16_e32 vcc_lo, 2, v15
	v_cndmask_b32_e64 v15, 0, 1, vcc_lo
	;;#ASMSTART
	;;#ASMEND
	v_cmp_ne_u32_e32 vcc_lo, 0, v15
	s_waitcnt lgkmcnt(0)
	v_dual_mov_b32 v15, v17 :: v_dual_mov_b32 v16, v18
	s_cmp_lg_u32 vcc_lo, exec_lo
	s_cbranch_scc1 .LBB327_74
; %bb.60:                               ;   in Loop: Header=BB327_59 Depth=1
	v_lshlrev_b64 v[17:18], 4, v[25:26]
	s_mov_b32 s11, exec_lo
	s_delay_alu instid0(VALU_DEP_1) | instskip(NEXT) | instid1(VALU_DEP_2)
	v_add_co_u32 v27, vcc_lo, s8, v17
	v_add_co_ci_u32_e32 v28, vcc_lo, s9, v18, vcc_lo
	;;#ASMSTART
	global_load_dwordx4 v[17:20], v[27:28] off glc	
s_waitcnt vmcnt(0)
	;;#ASMEND
	v_and_b32_e32 v20, 0xff, v18
	v_and_b32_e32 v55, 0xff00, v18
	;; [unrolled: 1-line block ×3, first 2 shown]
	v_or3_b32 v17, v17, 0, 0
	v_and_b32_e32 v18, 0xff000000, v18
	s_delay_alu instid0(VALU_DEP_4) | instskip(SKIP_1) | instid1(VALU_DEP_4)
	v_or3_b32 v20, 0, v20, v55
	v_and_b32_e32 v55, 0xff, v19
	v_or3_b32 v17, v17, 0, 0
	s_delay_alu instid0(VALU_DEP_3) | instskip(NEXT) | instid1(VALU_DEP_3)
	v_or3_b32 v18, v20, v56, v18
	v_cmpx_eq_u16_e32 0, v55
	s_cbranch_execz .LBB327_64
; %bb.61:                               ;   in Loop: Header=BB327_59 Depth=1
	s_mov_b32 s12, 0
.LBB327_62:                             ;   Parent Loop BB327_59 Depth=1
                                        ; =>  This Inner Loop Header: Depth=2
	;;#ASMSTART
	global_load_dwordx4 v[17:20], v[27:28] off glc	
s_waitcnt vmcnt(0)
	;;#ASMEND
	v_and_b32_e32 v20, 0xff, v19
	s_delay_alu instid0(VALU_DEP_1) | instskip(SKIP_1) | instid1(SALU_CYCLE_1)
	v_cmp_ne_u16_e32 vcc_lo, 0, v20
	s_or_b32 s12, vcc_lo, s12
	s_and_not1_b32 exec_lo, exec_lo, s12
	s_cbranch_execnz .LBB327_62
; %bb.63:                               ;   in Loop: Header=BB327_59 Depth=1
	s_or_b32 exec_lo, exec_lo, s12
.LBB327_64:                             ;   in Loop: Header=BB327_59 Depth=1
	s_delay_alu instid0(SALU_CYCLE_1)
	s_or_b32 exec_lo, exec_lo, s11
	v_dual_mov_b32 v27, v17 :: v_dual_and_b32 v20, 0xff, v19
	ds_bpermute_b32 v55, v45, v17
	ds_bpermute_b32 v28, v45, v18
	s_mov_b32 s11, exec_lo
	v_cmp_eq_u16_e32 vcc_lo, 2, v20
	v_and_or_b32 v20, vcc_lo, v46, 0x80000000
	s_delay_alu instid0(VALU_DEP_1) | instskip(NEXT) | instid1(VALU_DEP_1)
	v_ctz_i32_b32_e32 v20, v20
	v_cmpx_lt_u32_e64 v42, v20
	s_cbranch_execz .LBB327_66
; %bb.65:                               ;   in Loop: Header=BB327_59 Depth=1
	s_waitcnt lgkmcnt(1)
	v_add_co_u32 v27, vcc_lo, v17, v55
	v_add_co_ci_u32_e32 v18, vcc_lo, 0, v18, vcc_lo
	s_delay_alu instid0(VALU_DEP_2) | instskip(SKIP_1) | instid1(VALU_DEP_2)
	v_add_co_u32 v17, vcc_lo, 0, v27
	s_waitcnt lgkmcnt(0)
	v_add_co_ci_u32_e32 v18, vcc_lo, v28, v18, vcc_lo
.LBB327_66:                             ;   in Loop: Header=BB327_59 Depth=1
	s_or_b32 exec_lo, exec_lo, s11
	s_waitcnt lgkmcnt(1)
	ds_bpermute_b32 v55, v47, v27
	s_waitcnt lgkmcnt(1)
	ds_bpermute_b32 v28, v47, v18
	s_mov_b32 s11, exec_lo
	v_cmpx_le_u32_e64 v48, v20
	s_cbranch_execz .LBB327_68
; %bb.67:                               ;   in Loop: Header=BB327_59 Depth=1
	s_waitcnt lgkmcnt(1)
	v_add_co_u32 v27, vcc_lo, v17, v55
	v_add_co_ci_u32_e32 v18, vcc_lo, 0, v18, vcc_lo
	s_delay_alu instid0(VALU_DEP_2) | instskip(SKIP_1) | instid1(VALU_DEP_2)
	v_add_co_u32 v17, vcc_lo, 0, v27
	s_waitcnt lgkmcnt(0)
	v_add_co_ci_u32_e32 v18, vcc_lo, v28, v18, vcc_lo
.LBB327_68:                             ;   in Loop: Header=BB327_59 Depth=1
	s_or_b32 exec_lo, exec_lo, s11
	s_waitcnt lgkmcnt(1)
	ds_bpermute_b32 v55, v49, v27
	s_waitcnt lgkmcnt(1)
	ds_bpermute_b32 v28, v49, v18
	s_mov_b32 s11, exec_lo
	v_cmpx_le_u32_e64 v50, v20
	;; [unrolled: 17-line block ×3, first 2 shown]
	s_cbranch_execz .LBB327_72
; %bb.71:                               ;   in Loop: Header=BB327_59 Depth=1
	s_waitcnt lgkmcnt(1)
	v_add_co_u32 v27, vcc_lo, v17, v55
	v_add_co_ci_u32_e32 v18, vcc_lo, 0, v18, vcc_lo
	s_delay_alu instid0(VALU_DEP_2) | instskip(SKIP_1) | instid1(VALU_DEP_2)
	v_add_co_u32 v17, vcc_lo, 0, v27
	s_waitcnt lgkmcnt(0)
	v_add_co_ci_u32_e32 v18, vcc_lo, v28, v18, vcc_lo
.LBB327_72:                             ;   in Loop: Header=BB327_59 Depth=1
	s_or_b32 exec_lo, exec_lo, s11
	s_waitcnt lgkmcnt(0)
	ds_bpermute_b32 v28, v53, v27
	ds_bpermute_b32 v27, v53, v18
	s_mov_b32 s11, exec_lo
	v_cmpx_le_u32_e64 v54, v20
	s_cbranch_execz .LBB327_58
; %bb.73:                               ;   in Loop: Header=BB327_59 Depth=1
	s_waitcnt lgkmcnt(1)
	v_add_co_u32 v17, vcc_lo, v17, v28
	v_add_co_ci_u32_e32 v18, vcc_lo, 0, v18, vcc_lo
	s_delay_alu instid0(VALU_DEP_2) | instskip(SKIP_1) | instid1(VALU_DEP_2)
	v_add_co_u32 v17, vcc_lo, v17, 0
	s_waitcnt lgkmcnt(0)
	v_add_co_ci_u32_e32 v18, vcc_lo, v18, v27, vcc_lo
	s_branch .LBB327_58
.LBB327_74:                             ;   in Loop: Header=BB327_59 Depth=1
                                        ; implicit-def: $vgpr17_vgpr18
	s_cbranch_execz .LBB327_59
; %bb.75:
	s_and_saveexec_b32 s11, s3
	s_cbranch_execz .LBB327_77
; %bb.76:
	s_add_i32 s12, s15, 32
	s_mov_b32 s13, 0
	v_add_co_u32 v17, vcc_lo, v15, v13
	s_lshl_b64 s[12:13], s[12:13], 4
	v_dual_mov_b32 v19, 2 :: v_dual_mov_b32 v20, 0
	s_add_u32 s12, s8, s12
	s_addc_u32 s13, s9, s13
	v_add_co_ci_u32_e32 v18, vcc_lo, v16, v14, vcc_lo
	v_dual_mov_b32 v26, s13 :: v_dual_mov_b32 v25, s12
	;;#ASMSTART
	global_store_dwordx4 v[25:26], v[17:20] off	
s_waitcnt vmcnt(0)
	;;#ASMEND
	ds_store_b128 v20, v[13:16] offset:6144
.LBB327_77:
	s_or_b32 exec_lo, exec_lo, s11
	v_cmp_eq_u32_e32 vcc_lo, 0, v0
	s_and_b32 exec_lo, exec_lo, vcc_lo
	s_cbranch_execz .LBB327_79
; %bb.78:
	v_mov_b32_e32 v13, 0
	ds_store_b64 v13, v[15:16] offset:24
.LBB327_79:
	s_or_b32 exec_lo, exec_lo, s10
	s_waitcnt lgkmcnt(1)
	v_cndmask_b32_e64 v16, v29, v23, s3
	v_cmp_ne_u32_e32 vcc_lo, 0, v0
	v_mov_b32_e32 v15, 0
	s_waitcnt lgkmcnt(0)
	s_barrier
	buffer_gl0_inv
	v_cndmask_b32_e32 v16, 0, v16, vcc_lo
	ds_load_b64 v[13:14], v15 offset:24
	v_cndmask_b32_e64 v17, v30, v24, s3
	s_waitcnt lgkmcnt(0)
	s_barrier
	buffer_gl0_inv
	v_cndmask_b32_e32 v17, 0, v17, vcc_lo
	v_add_co_u32 v29, vcc_lo, v13, v16
	s_delay_alu instid0(VALU_DEP_2) | instskip(SKIP_3) | instid1(VALU_DEP_2)
	v_add_co_ci_u32_e32 v30, vcc_lo, v14, v17, vcc_lo
	ds_load_b128 v[13:16], v15 offset:6144
	v_add_co_u32 v27, vcc_lo, v29, v41
	v_add_co_ci_u32_e32 v28, vcc_lo, 0, v30, vcc_lo
	v_add_co_u32 v25, vcc_lo, v27, v40
	s_delay_alu instid0(VALU_DEP_2) | instskip(NEXT) | instid1(VALU_DEP_2)
	v_add_co_ci_u32_e32 v26, vcc_lo, 0, v28, vcc_lo
	v_add_co_u32 v23, vcc_lo, v25, v39
	s_delay_alu instid0(VALU_DEP_2) | instskip(NEXT) | instid1(VALU_DEP_2)
	;; [unrolled: 3-line block ×3, first 2 shown]
	v_add_co_ci_u32_e32 v20, vcc_lo, 0, v24, vcc_lo
	v_add_co_u32 v17, vcc_lo, v19, v37
	s_delay_alu instid0(VALU_DEP_2)
	v_add_co_ci_u32_e32 v18, vcc_lo, 0, v20, vcc_lo
	s_load_b64 s[10:11], s[0:1], 0x30
.LBB327_80:
	s_waitcnt lgkmcnt(0)
	v_cmp_gt_u64_e32 vcc_lo, 0x81, v[13:14]
	s_mov_b32 s0, -1
	s_cbranch_vccnz .LBB327_108
.LBB327_81:
	s_and_b32 vcc_lo, exec_lo, s0
	s_cbranch_vccnz .LBB327_127
.LBB327_82:
	v_cmp_eq_u32_e32 vcc_lo, 0, v0
	s_and_b32 s0, vcc_lo, s14
	s_delay_alu instid0(SALU_CYCLE_1)
	s_and_saveexec_b32 s1, s0
	s_cbranch_execnz .LBB327_143
.LBB327_83:
	s_nop 0
	s_sendmsg sendmsg(MSG_DEALLOC_VGPRS)
	s_endpgm
.LBB327_84:
                                        ; kill: def $vgpr13_vgpr14 killed $sgpr0_sgpr1 killed $exec
                                        ; implicit-def: $vgpr17_vgpr18
                                        ; implicit-def: $vgpr19_vgpr20
                                        ; implicit-def: $vgpr23_vgpr24
                                        ; implicit-def: $vgpr25_vgpr26
                                        ; implicit-def: $vgpr27_vgpr28
                                        ; implicit-def: $vgpr29_vgpr30
                                        ; implicit-def: $vgpr15_vgpr16
	s_load_b64 s[10:11], s[0:1], 0x30
	s_and_b32 vcc_lo, exec_lo, s3
	s_cbranch_vccz .LBB327_80
; %bb.85:
	s_waitcnt lgkmcnt(0)
	v_dual_mov_b32 v14, 0 :: v_dual_mov_b32 v15, v21
	v_mov_b32_dpp v16, v21 row_shr:1 row_mask:0xf bank_mask:0xf
	s_delay_alu instid0(VALU_DEP_2)
	v_mov_b32_dpp v13, v14 row_shr:1 row_mask:0xf bank_mask:0xf
	s_and_saveexec_b32 s0, s2
; %bb.86:
	s_delay_alu instid0(VALU_DEP_2) | instskip(SKIP_1) | instid1(VALU_DEP_2)
	v_add_co_u32 v15, vcc_lo, v21, v16
	v_add_co_ci_u32_e32 v14, vcc_lo, 0, v22, vcc_lo
	v_add_co_u32 v21, vcc_lo, 0, v15
	s_delay_alu instid0(VALU_DEP_2) | instskip(NEXT) | instid1(VALU_DEP_1)
	v_add_co_ci_u32_e32 v22, vcc_lo, v13, v14, vcc_lo
	v_mov_b32_e32 v14, v22
; %bb.87:
	s_or_b32 exec_lo, exec_lo, s0
	v_mov_b32_dpp v13, v15 row_shr:2 row_mask:0xf bank_mask:0xf
	s_delay_alu instid0(VALU_DEP_2)
	v_mov_b32_dpp v16, v14 row_shr:2 row_mask:0xf bank_mask:0xf
	s_mov_b32 s0, exec_lo
	v_cmpx_lt_u32_e32 1, v44
; %bb.88:
	s_delay_alu instid0(VALU_DEP_3) | instskip(SKIP_1) | instid1(VALU_DEP_2)
	v_add_co_u32 v15, vcc_lo, v21, v13
	v_add_co_ci_u32_e32 v14, vcc_lo, 0, v22, vcc_lo
	v_add_co_u32 v13, vcc_lo, 0, v15
	s_delay_alu instid0(VALU_DEP_2) | instskip(NEXT) | instid1(VALU_DEP_1)
	v_add_co_ci_u32_e32 v14, vcc_lo, v16, v14, vcc_lo
	v_dual_mov_b32 v22, v14 :: v_dual_mov_b32 v21, v13
; %bb.89:
	s_or_b32 exec_lo, exec_lo, s0
	v_mov_b32_dpp v13, v15 row_shr:4 row_mask:0xf bank_mask:0xf
	v_mov_b32_dpp v16, v14 row_shr:4 row_mask:0xf bank_mask:0xf
	s_mov_b32 s0, exec_lo
	v_cmpx_lt_u32_e32 3, v44
; %bb.90:
	s_delay_alu instid0(VALU_DEP_3) | instskip(SKIP_1) | instid1(VALU_DEP_2)
	v_add_co_u32 v15, vcc_lo, v21, v13
	v_add_co_ci_u32_e32 v14, vcc_lo, 0, v22, vcc_lo
	v_add_co_u32 v13, vcc_lo, 0, v15
	s_delay_alu instid0(VALU_DEP_2) | instskip(NEXT) | instid1(VALU_DEP_1)
	v_add_co_ci_u32_e32 v14, vcc_lo, v16, v14, vcc_lo
	v_dual_mov_b32 v22, v14 :: v_dual_mov_b32 v21, v13
; %bb.91:
	s_or_b32 exec_lo, exec_lo, s0
	v_mov_b32_dpp v16, v15 row_shr:8 row_mask:0xf bank_mask:0xf
	v_mov_b32_dpp v13, v14 row_shr:8 row_mask:0xf bank_mask:0xf
	s_mov_b32 s0, exec_lo
	v_cmpx_lt_u32_e32 7, v44
; %bb.92:
	s_delay_alu instid0(VALU_DEP_3) | instskip(SKIP_1) | instid1(VALU_DEP_2)
	v_add_co_u32 v15, vcc_lo, v21, v16
	v_add_co_ci_u32_e32 v14, vcc_lo, 0, v22, vcc_lo
	v_add_co_u32 v21, vcc_lo, 0, v15
	s_delay_alu instid0(VALU_DEP_2) | instskip(NEXT) | instid1(VALU_DEP_1)
	v_add_co_ci_u32_e32 v22, vcc_lo, v13, v14, vcc_lo
	v_mov_b32_e32 v14, v22
; %bb.93:
	s_or_b32 exec_lo, exec_lo, s0
	ds_swizzle_b32 v15, v15 offset:swizzle(BROADCAST,32,15)
	ds_swizzle_b32 v13, v14 offset:swizzle(BROADCAST,32,15)
	v_and_b32_e32 v14, 16, v42
	s_mov_b32 s0, exec_lo
	s_delay_alu instid0(VALU_DEP_1)
	v_cmpx_ne_u32_e32 0, v14
	s_cbranch_execz .LBB327_95
; %bb.94:
	s_waitcnt lgkmcnt(1)
	v_add_co_u32 v14, vcc_lo, v21, v15
	v_add_co_ci_u32_e32 v15, vcc_lo, 0, v22, vcc_lo
	s_delay_alu instid0(VALU_DEP_2) | instskip(SKIP_1) | instid1(VALU_DEP_2)
	v_add_co_u32 v21, vcc_lo, v14, 0
	s_waitcnt lgkmcnt(0)
	v_add_co_ci_u32_e32 v22, vcc_lo, v15, v13, vcc_lo
.LBB327_95:
	s_or_b32 exec_lo, exec_lo, s0
	s_waitcnt lgkmcnt(0)
	v_or_b32_e32 v13, 31, v0
	v_lshrrev_b32_e32 v15, 5, v0
	s_mov_b32 s0, exec_lo
	s_delay_alu instid0(VALU_DEP_2)
	v_cmpx_eq_u32_e64 v13, v0
	s_cbranch_execz .LBB327_97
; %bb.96:
	s_delay_alu instid0(VALU_DEP_2)
	v_lshlrev_b32_e32 v13, 3, v15
	ds_store_b64 v13, v[21:22]
.LBB327_97:
	s_or_b32 exec_lo, exec_lo, s0
	s_delay_alu instid0(SALU_CYCLE_1)
	s_mov_b32 s0, exec_lo
	s_waitcnt lgkmcnt(0)
	s_barrier
	buffer_gl0_inv
	v_cmpx_gt_u32_e32 4, v0
	s_cbranch_execz .LBB327_103
; %bb.98:
	v_lshlrev_b32_e32 v13, 1, v0
	s_mov_b32 s1, exec_lo
	s_delay_alu instid0(VALU_DEP_1)
	v_add_nc_u32_e32 v16, v43, v13
	ds_load_b64 v[13:14], v16
	s_waitcnt lgkmcnt(0)
	v_dual_mov_b32 v18, v13 :: v_dual_and_b32 v17, 3, v42
	v_mov_b32_dpp v20, v13 row_shr:1 row_mask:0xf bank_mask:0xf
	v_mov_b32_dpp v19, v14 row_shr:1 row_mask:0xf bank_mask:0xf
	s_delay_alu instid0(VALU_DEP_3)
	v_cmpx_ne_u32_e32 0, v17
; %bb.99:
	s_delay_alu instid0(VALU_DEP_3) | instskip(SKIP_1) | instid1(VALU_DEP_2)
	v_add_co_u32 v18, vcc_lo, v13, v20
	v_add_co_ci_u32_e32 v14, vcc_lo, 0, v14, vcc_lo
	v_add_co_u32 v13, vcc_lo, 0, v18
	s_delay_alu instid0(VALU_DEP_2)
	v_add_co_ci_u32_e32 v14, vcc_lo, v19, v14, vcc_lo
; %bb.100:
	s_or_b32 exec_lo, exec_lo, s1
	v_mov_b32_dpp v19, v18 row_shr:2 row_mask:0xf bank_mask:0xf
	s_delay_alu instid0(VALU_DEP_2)
	v_mov_b32_dpp v18, v14 row_shr:2 row_mask:0xf bank_mask:0xf
	s_mov_b32 s1, exec_lo
	v_cmpx_lt_u32_e32 1, v17
; %bb.101:
	s_delay_alu instid0(VALU_DEP_3) | instskip(SKIP_1) | instid1(VALU_DEP_2)
	v_add_co_u32 v13, vcc_lo, v13, v19
	v_add_co_ci_u32_e32 v14, vcc_lo, 0, v14, vcc_lo
	v_add_co_u32 v13, vcc_lo, v13, 0
	s_delay_alu instid0(VALU_DEP_2)
	v_add_co_ci_u32_e32 v14, vcc_lo, v14, v18, vcc_lo
; %bb.102:
	s_or_b32 exec_lo, exec_lo, s1
	ds_store_b64 v16, v[13:14]
.LBB327_103:
	s_or_b32 exec_lo, exec_lo, s0
	v_mov_b32_e32 v17, 0
	v_mov_b32_e32 v18, 0
	s_mov_b32 s0, exec_lo
	s_waitcnt lgkmcnt(0)
	s_barrier
	buffer_gl0_inv
	v_cmpx_lt_u32_e32 31, v0
	s_cbranch_execz .LBB327_105
; %bb.104:
	v_lshl_add_u32 v13, v15, 3, -8
	ds_load_b64 v[17:18], v13
.LBB327_105:
	s_or_b32 exec_lo, exec_lo, s0
	v_dual_mov_b32 v16, 0 :: v_dual_add_nc_u32 v13, -1, v42
	s_delay_alu instid0(VALU_DEP_1) | instskip(SKIP_4) | instid1(VALU_DEP_3)
	v_cmp_gt_i32_e32 vcc_lo, 0, v13
	v_cndmask_b32_e32 v13, v13, v42, vcc_lo
	s_waitcnt lgkmcnt(0)
	v_add_co_u32 v14, vcc_lo, v17, v21
	v_add_co_ci_u32_e32 v15, vcc_lo, v18, v22, vcc_lo
	v_lshlrev_b32_e32 v13, 2, v13
	v_cmp_eq_u32_e32 vcc_lo, 0, v0
	ds_bpermute_b32 v19, v13, v14
	ds_bpermute_b32 v20, v13, v15
	ds_load_b64 v[13:14], v16 offset:24
	s_and_saveexec_b32 s0, vcc_lo
	s_cbranch_execz .LBB327_107
; %bb.106:
	s_add_u32 s2, s8, 0x200
	s_addc_u32 s3, s9, 0
	s_delay_alu instid0(SALU_CYCLE_1)
	v_dual_mov_b32 v15, 2 :: v_dual_mov_b32 v22, s3
	v_mov_b32_e32 v21, s2
	s_waitcnt lgkmcnt(0)
	;;#ASMSTART
	global_store_dwordx4 v[21:22], v[13:16] off	
s_waitcnt vmcnt(0)
	;;#ASMEND
.LBB327_107:
	s_or_b32 exec_lo, exec_lo, s0
	v_cmp_eq_u32_e64 s0, 0, v42
	s_waitcnt lgkmcnt(0)
	s_barrier
	buffer_gl0_inv
	v_cndmask_b32_e64 v15, v19, v17, s0
	v_cndmask_b32_e64 v16, v20, v18, s0
	s_delay_alu instid0(VALU_DEP_2) | instskip(NEXT) | instid1(VALU_DEP_2)
	v_cndmask_b32_e64 v29, v15, 0, vcc_lo
	v_cndmask_b32_e64 v30, v16, 0, vcc_lo
	v_mov_b32_e32 v15, 0
	v_mov_b32_e32 v16, 0
	s_delay_alu instid0(VALU_DEP_4) | instskip(NEXT) | instid1(VALU_DEP_4)
	v_add_co_u32 v27, vcc_lo, v29, v41
	v_add_co_ci_u32_e32 v28, vcc_lo, 0, v30, vcc_lo
	s_delay_alu instid0(VALU_DEP_2) | instskip(NEXT) | instid1(VALU_DEP_2)
	v_add_co_u32 v25, vcc_lo, v27, v40
	v_add_co_ci_u32_e32 v26, vcc_lo, 0, v28, vcc_lo
	s_delay_alu instid0(VALU_DEP_2) | instskip(NEXT) | instid1(VALU_DEP_2)
	v_add_co_u32 v23, vcc_lo, v25, v39
	v_add_co_ci_u32_e32 v24, vcc_lo, 0, v26, vcc_lo
	s_delay_alu instid0(VALU_DEP_2) | instskip(NEXT) | instid1(VALU_DEP_2)
	v_add_co_u32 v19, vcc_lo, v23, v38
	v_add_co_ci_u32_e32 v20, vcc_lo, 0, v24, vcc_lo
	s_delay_alu instid0(VALU_DEP_2) | instskip(NEXT) | instid1(VALU_DEP_2)
	v_add_co_u32 v17, vcc_lo, v19, v37
	v_add_co_ci_u32_e32 v18, vcc_lo, 0, v20, vcc_lo
	v_cmp_gt_u64_e32 vcc_lo, 0x81, v[13:14]
	s_mov_b32 s0, -1
	s_cbranch_vccz .LBB327_81
.LBB327_108:
	v_add_co_u32 v21, vcc_lo, v15, v13
	v_add_co_ci_u32_e32 v22, vcc_lo, v16, v14, vcc_lo
	s_delay_alu instid0(VALU_DEP_1) | instskip(SKIP_1) | instid1(SALU_CYCLE_1)
	v_cmp_lt_u64_e32 vcc_lo, v[29:30], v[21:22]
	s_or_b32 s1, s16, vcc_lo
	s_and_saveexec_b32 s0, s1
	s_cbranch_execz .LBB327_111
; %bb.109:
	v_and_b32_e32 v37, 1, v36
	s_delay_alu instid0(VALU_DEP_1)
	v_cmp_eq_u32_e32 vcc_lo, 1, v37
	s_and_b32 exec_lo, exec_lo, vcc_lo
	s_cbranch_execz .LBB327_111
; %bb.110:
	v_lshlrev_b64 v[37:38], 3, v[29:30]
	s_lshl_b64 s[2:3], s[6:7], 3
	s_delay_alu instid0(SALU_CYCLE_1) | instskip(SKIP_1) | instid1(VALU_DEP_1)
	s_add_u32 s1, s10, s2
	s_addc_u32 s2, s11, s3
	v_add_co_u32 v37, vcc_lo, s1, v37
	s_delay_alu instid0(VALU_DEP_2)
	v_add_co_ci_u32_e32 v38, vcc_lo, s2, v38, vcc_lo
	global_store_b64 v[37:38], v[9:10], off
.LBB327_111:
	s_or_b32 exec_lo, exec_lo, s0
	v_cmp_lt_u64_e32 vcc_lo, v[27:28], v[21:22]
	s_or_b32 s1, s16, vcc_lo
	s_delay_alu instid0(SALU_CYCLE_1)
	s_and_saveexec_b32 s0, s1
	s_cbranch_execz .LBB327_114
; %bb.112:
	v_and_b32_e32 v30, 1, v34
	s_delay_alu instid0(VALU_DEP_1)
	v_cmp_eq_u32_e32 vcc_lo, 1, v30
	s_and_b32 exec_lo, exec_lo, vcc_lo
	s_cbranch_execz .LBB327_114
; %bb.113:
	v_lshlrev_b64 v[37:38], 3, v[27:28]
	s_lshl_b64 s[2:3], s[6:7], 3
	s_delay_alu instid0(SALU_CYCLE_1) | instskip(SKIP_1) | instid1(VALU_DEP_1)
	s_add_u32 s1, s10, s2
	s_addc_u32 s2, s11, s3
	v_add_co_u32 v37, vcc_lo, s1, v37
	s_delay_alu instid0(VALU_DEP_2)
	v_add_co_ci_u32_e32 v38, vcc_lo, s2, v38, vcc_lo
	global_store_b64 v[37:38], v[11:12], off
.LBB327_114:
	s_or_b32 exec_lo, exec_lo, s0
	v_cmp_lt_u64_e32 vcc_lo, v[25:26], v[21:22]
	s_or_b32 s1, s16, vcc_lo
	s_delay_alu instid0(SALU_CYCLE_1)
	;; [unrolled: 23-line block ×5, first 2 shown]
	s_and_saveexec_b32 s0, s1
	s_cbranch_execz .LBB327_126
; %bb.124:
	v_and_b32_e32 v20, 1, v32
	s_delay_alu instid0(VALU_DEP_1)
	v_cmp_eq_u32_e32 vcc_lo, 1, v20
	s_and_b32 exec_lo, exec_lo, vcc_lo
	s_cbranch_execz .LBB327_126
; %bb.125:
	v_lshlrev_b64 v[20:21], 3, v[17:18]
	s_lshl_b64 s[2:3], s[6:7], 3
	s_delay_alu instid0(SALU_CYCLE_1) | instskip(SKIP_1) | instid1(VALU_DEP_1)
	s_add_u32 s1, s10, s2
	s_addc_u32 s2, s11, s3
	v_add_co_u32 v20, vcc_lo, s1, v20
	s_delay_alu instid0(VALU_DEP_2)
	v_add_co_ci_u32_e32 v21, vcc_lo, s2, v21, vcc_lo
	global_store_b64 v[20:21], v[3:4], off
.LBB327_126:
	s_or_b32 exec_lo, exec_lo, s0
	s_branch .LBB327_82
.LBB327_127:
	v_and_b32_e32 v18, 1, v36
	s_mov_b32 s0, exec_lo
	s_delay_alu instid0(VALU_DEP_1)
	v_cmpx_eq_u32_e32 1, v18
	s_cbranch_execz .LBB327_129
; %bb.128:
	v_sub_nc_u32_e32 v18, v29, v15
	s_delay_alu instid0(VALU_DEP_1)
	v_lshlrev_b32_e32 v18, 3, v18
	ds_store_b64 v18, v[9:10]
.LBB327_129:
	s_or_b32 exec_lo, exec_lo, s0
	v_and_b32_e32 v9, 1, v34
	s_mov_b32 s0, exec_lo
	s_delay_alu instid0(VALU_DEP_1)
	v_cmpx_eq_u32_e32 1, v9
	s_cbranch_execz .LBB327_131
; %bb.130:
	v_sub_nc_u32_e32 v9, v27, v15
	s_delay_alu instid0(VALU_DEP_1)
	v_lshlrev_b32_e32 v9, 3, v9
	ds_store_b64 v9, v[11:12]
.LBB327_131:
	s_or_b32 exec_lo, exec_lo, s0
	;; [unrolled: 12-line block ×6, first 2 shown]
	v_mov_b32_e32 v3, 0
	s_mov_b32 s1, exec_lo
	s_waitcnt lgkmcnt(0)
	s_waitcnt_vscnt null, 0x0
	s_barrier
	buffer_gl0_inv
	v_mov_b32_e32 v1, v3
	s_delay_alu instid0(VALU_DEP_1)
	v_cmpx_gt_u64_e64 v[13:14], v[0:1]
	s_cbranch_execz .LBB327_142
; %bb.140:
	v_lshlrev_b64 v[4:5], 3, v[15:16]
	s_lshl_b64 s[2:3], s[6:7], 3
	v_or_b32_e32 v2, 0x80, v0
	s_delay_alu instid0(VALU_DEP_2) | instskip(NEXT) | instid1(VALU_DEP_3)
	v_add_co_u32 v4, vcc_lo, s10, v4
	v_add_co_ci_u32_e32 v5, vcc_lo, s11, v5, vcc_lo
	s_delay_alu instid0(VALU_DEP_2) | instskip(NEXT) | instid1(VALU_DEP_2)
	v_add_co_u32 v6, vcc_lo, v4, s2
	v_add_co_ci_u32_e32 v7, vcc_lo, s3, v5, vcc_lo
	v_dual_mov_b32 v5, v1 :: v_dual_mov_b32 v4, v0
	s_mov_b32 s2, 0
	.p2align	6
.LBB327_141:                            ; =>This Inner Loop Header: Depth=1
	s_delay_alu instid0(VALU_DEP_1) | instskip(NEXT) | instid1(VALU_DEP_2)
	v_lshlrev_b32_e32 v1, 3, v4
	v_lshlrev_b64 v[10:11], 3, v[4:5]
	v_dual_mov_b32 v5, v3 :: v_dual_mov_b32 v4, v2
	v_cmp_le_u64_e32 vcc_lo, v[13:14], v[2:3]
	v_add_nc_u32_e32 v2, 0x80, v2
	ds_load_b64 v[8:9], v1
	v_add_co_u32 v10, s0, v6, v10
	s_delay_alu instid0(VALU_DEP_1)
	v_add_co_ci_u32_e64 v11, s0, v7, v11, s0
	s_or_b32 s2, vcc_lo, s2
	s_waitcnt lgkmcnt(0)
	global_store_b64 v[10:11], v[8:9], off
	s_and_not1_b32 exec_lo, exec_lo, s2
	s_cbranch_execnz .LBB327_141
.LBB327_142:
	s_or_b32 exec_lo, exec_lo, s1
	v_cmp_eq_u32_e32 vcc_lo, 0, v0
	s_and_b32 s0, vcc_lo, s14
	s_delay_alu instid0(SALU_CYCLE_1)
	s_and_saveexec_b32 s1, s0
	s_cbranch_execz .LBB327_83
.LBB327_143:
	v_add_co_u32 v0, vcc_lo, v15, v13
	v_add_co_ci_u32_e32 v1, vcc_lo, v16, v14, vcc_lo
	v_mov_b32_e32 v2, 0
	s_delay_alu instid0(VALU_DEP_3) | instskip(NEXT) | instid1(VALU_DEP_3)
	v_add_co_u32 v0, vcc_lo, v0, s6
	v_add_co_ci_u32_e32 v1, vcc_lo, s7, v1, vcc_lo
	global_store_b64 v2, v[0:1], s[4:5]
	s_nop 0
	s_sendmsg sendmsg(MSG_DEALLOC_VGPRS)
	s_endpgm
	.section	.rodata,"a",@progbits
	.p2align	6, 0x0
	.amdhsa_kernel _ZN7rocprim17ROCPRIM_400000_NS6detail17trampoline_kernelINS0_14default_configENS1_25partition_config_selectorILNS1_17partition_subalgoE5ElNS0_10empty_typeEbEEZZNS1_14partition_implILS5_5ELb0ES3_mN6hipcub16HIPCUB_304000_NS21CountingInputIteratorIllEEPS6_NSA_22TransformInputIteratorIb7NonZeroIdEPdlEENS0_5tupleIJPlS6_EEENSJ_IJSD_SD_EEES6_SK_JS6_EEE10hipError_tPvRmT3_T4_T5_T6_T7_T9_mT8_P12ihipStream_tbDpT10_ENKUlT_T0_E_clISt17integral_constantIbLb0EES16_EEDaS11_S12_EUlS11_E_NS1_11comp_targetILNS1_3genE9ELNS1_11target_archE1100ELNS1_3gpuE3ELNS1_3repE0EEENS1_30default_config_static_selectorELNS0_4arch9wavefront6targetE0EEEvT1_
		.amdhsa_group_segment_fixed_size 6160
		.amdhsa_private_segment_fixed_size 0
		.amdhsa_kernarg_size 120
		.amdhsa_user_sgpr_count 15
		.amdhsa_user_sgpr_dispatch_ptr 0
		.amdhsa_user_sgpr_queue_ptr 0
		.amdhsa_user_sgpr_kernarg_segment_ptr 1
		.amdhsa_user_sgpr_dispatch_id 0
		.amdhsa_user_sgpr_private_segment_size 0
		.amdhsa_wavefront_size32 1
		.amdhsa_uses_dynamic_stack 0
		.amdhsa_enable_private_segment 0
		.amdhsa_system_sgpr_workgroup_id_x 1
		.amdhsa_system_sgpr_workgroup_id_y 0
		.amdhsa_system_sgpr_workgroup_id_z 0
		.amdhsa_system_sgpr_workgroup_info 0
		.amdhsa_system_vgpr_workitem_id 0
		.amdhsa_next_free_vgpr 57
		.amdhsa_next_free_sgpr 21
		.amdhsa_reserve_vcc 1
		.amdhsa_float_round_mode_32 0
		.amdhsa_float_round_mode_16_64 0
		.amdhsa_float_denorm_mode_32 3
		.amdhsa_float_denorm_mode_16_64 3
		.amdhsa_dx10_clamp 1
		.amdhsa_ieee_mode 1
		.amdhsa_fp16_overflow 0
		.amdhsa_workgroup_processor_mode 1
		.amdhsa_memory_ordered 1
		.amdhsa_forward_progress 0
		.amdhsa_shared_vgpr_count 0
		.amdhsa_exception_fp_ieee_invalid_op 0
		.amdhsa_exception_fp_denorm_src 0
		.amdhsa_exception_fp_ieee_div_zero 0
		.amdhsa_exception_fp_ieee_overflow 0
		.amdhsa_exception_fp_ieee_underflow 0
		.amdhsa_exception_fp_ieee_inexact 0
		.amdhsa_exception_int_div_zero 0
	.end_amdhsa_kernel
	.section	.text._ZN7rocprim17ROCPRIM_400000_NS6detail17trampoline_kernelINS0_14default_configENS1_25partition_config_selectorILNS1_17partition_subalgoE5ElNS0_10empty_typeEbEEZZNS1_14partition_implILS5_5ELb0ES3_mN6hipcub16HIPCUB_304000_NS21CountingInputIteratorIllEEPS6_NSA_22TransformInputIteratorIb7NonZeroIdEPdlEENS0_5tupleIJPlS6_EEENSJ_IJSD_SD_EEES6_SK_JS6_EEE10hipError_tPvRmT3_T4_T5_T6_T7_T9_mT8_P12ihipStream_tbDpT10_ENKUlT_T0_E_clISt17integral_constantIbLb0EES16_EEDaS11_S12_EUlS11_E_NS1_11comp_targetILNS1_3genE9ELNS1_11target_archE1100ELNS1_3gpuE3ELNS1_3repE0EEENS1_30default_config_static_selectorELNS0_4arch9wavefront6targetE0EEEvT1_,"axG",@progbits,_ZN7rocprim17ROCPRIM_400000_NS6detail17trampoline_kernelINS0_14default_configENS1_25partition_config_selectorILNS1_17partition_subalgoE5ElNS0_10empty_typeEbEEZZNS1_14partition_implILS5_5ELb0ES3_mN6hipcub16HIPCUB_304000_NS21CountingInputIteratorIllEEPS6_NSA_22TransformInputIteratorIb7NonZeroIdEPdlEENS0_5tupleIJPlS6_EEENSJ_IJSD_SD_EEES6_SK_JS6_EEE10hipError_tPvRmT3_T4_T5_T6_T7_T9_mT8_P12ihipStream_tbDpT10_ENKUlT_T0_E_clISt17integral_constantIbLb0EES16_EEDaS11_S12_EUlS11_E_NS1_11comp_targetILNS1_3genE9ELNS1_11target_archE1100ELNS1_3gpuE3ELNS1_3repE0EEENS1_30default_config_static_selectorELNS0_4arch9wavefront6targetE0EEEvT1_,comdat
.Lfunc_end327:
	.size	_ZN7rocprim17ROCPRIM_400000_NS6detail17trampoline_kernelINS0_14default_configENS1_25partition_config_selectorILNS1_17partition_subalgoE5ElNS0_10empty_typeEbEEZZNS1_14partition_implILS5_5ELb0ES3_mN6hipcub16HIPCUB_304000_NS21CountingInputIteratorIllEEPS6_NSA_22TransformInputIteratorIb7NonZeroIdEPdlEENS0_5tupleIJPlS6_EEENSJ_IJSD_SD_EEES6_SK_JS6_EEE10hipError_tPvRmT3_T4_T5_T6_T7_T9_mT8_P12ihipStream_tbDpT10_ENKUlT_T0_E_clISt17integral_constantIbLb0EES16_EEDaS11_S12_EUlS11_E_NS1_11comp_targetILNS1_3genE9ELNS1_11target_archE1100ELNS1_3gpuE3ELNS1_3repE0EEENS1_30default_config_static_selectorELNS0_4arch9wavefront6targetE0EEEvT1_, .Lfunc_end327-_ZN7rocprim17ROCPRIM_400000_NS6detail17trampoline_kernelINS0_14default_configENS1_25partition_config_selectorILNS1_17partition_subalgoE5ElNS0_10empty_typeEbEEZZNS1_14partition_implILS5_5ELb0ES3_mN6hipcub16HIPCUB_304000_NS21CountingInputIteratorIllEEPS6_NSA_22TransformInputIteratorIb7NonZeroIdEPdlEENS0_5tupleIJPlS6_EEENSJ_IJSD_SD_EEES6_SK_JS6_EEE10hipError_tPvRmT3_T4_T5_T6_T7_T9_mT8_P12ihipStream_tbDpT10_ENKUlT_T0_E_clISt17integral_constantIbLb0EES16_EEDaS11_S12_EUlS11_E_NS1_11comp_targetILNS1_3genE9ELNS1_11target_archE1100ELNS1_3gpuE3ELNS1_3repE0EEENS1_30default_config_static_selectorELNS0_4arch9wavefront6targetE0EEEvT1_
                                        ; -- End function
	.section	.AMDGPU.csdata,"",@progbits
; Kernel info:
; codeLenInByte = 6424
; NumSgprs: 23
; NumVgprs: 57
; ScratchSize: 0
; MemoryBound: 0
; FloatMode: 240
; IeeeMode: 1
; LDSByteSize: 6160 bytes/workgroup (compile time only)
; SGPRBlocks: 2
; VGPRBlocks: 7
; NumSGPRsForWavesPerEU: 23
; NumVGPRsForWavesPerEU: 57
; Occupancy: 16
; WaveLimiterHint : 1
; COMPUTE_PGM_RSRC2:SCRATCH_EN: 0
; COMPUTE_PGM_RSRC2:USER_SGPR: 15
; COMPUTE_PGM_RSRC2:TRAP_HANDLER: 0
; COMPUTE_PGM_RSRC2:TGID_X_EN: 1
; COMPUTE_PGM_RSRC2:TGID_Y_EN: 0
; COMPUTE_PGM_RSRC2:TGID_Z_EN: 0
; COMPUTE_PGM_RSRC2:TIDIG_COMP_CNT: 0
	.section	.text._ZN7rocprim17ROCPRIM_400000_NS6detail17trampoline_kernelINS0_14default_configENS1_25partition_config_selectorILNS1_17partition_subalgoE5ElNS0_10empty_typeEbEEZZNS1_14partition_implILS5_5ELb0ES3_mN6hipcub16HIPCUB_304000_NS21CountingInputIteratorIllEEPS6_NSA_22TransformInputIteratorIb7NonZeroIdEPdlEENS0_5tupleIJPlS6_EEENSJ_IJSD_SD_EEES6_SK_JS6_EEE10hipError_tPvRmT3_T4_T5_T6_T7_T9_mT8_P12ihipStream_tbDpT10_ENKUlT_T0_E_clISt17integral_constantIbLb0EES16_EEDaS11_S12_EUlS11_E_NS1_11comp_targetILNS1_3genE8ELNS1_11target_archE1030ELNS1_3gpuE2ELNS1_3repE0EEENS1_30default_config_static_selectorELNS0_4arch9wavefront6targetE0EEEvT1_,"axG",@progbits,_ZN7rocprim17ROCPRIM_400000_NS6detail17trampoline_kernelINS0_14default_configENS1_25partition_config_selectorILNS1_17partition_subalgoE5ElNS0_10empty_typeEbEEZZNS1_14partition_implILS5_5ELb0ES3_mN6hipcub16HIPCUB_304000_NS21CountingInputIteratorIllEEPS6_NSA_22TransformInputIteratorIb7NonZeroIdEPdlEENS0_5tupleIJPlS6_EEENSJ_IJSD_SD_EEES6_SK_JS6_EEE10hipError_tPvRmT3_T4_T5_T6_T7_T9_mT8_P12ihipStream_tbDpT10_ENKUlT_T0_E_clISt17integral_constantIbLb0EES16_EEDaS11_S12_EUlS11_E_NS1_11comp_targetILNS1_3genE8ELNS1_11target_archE1030ELNS1_3gpuE2ELNS1_3repE0EEENS1_30default_config_static_selectorELNS0_4arch9wavefront6targetE0EEEvT1_,comdat
	.protected	_ZN7rocprim17ROCPRIM_400000_NS6detail17trampoline_kernelINS0_14default_configENS1_25partition_config_selectorILNS1_17partition_subalgoE5ElNS0_10empty_typeEbEEZZNS1_14partition_implILS5_5ELb0ES3_mN6hipcub16HIPCUB_304000_NS21CountingInputIteratorIllEEPS6_NSA_22TransformInputIteratorIb7NonZeroIdEPdlEENS0_5tupleIJPlS6_EEENSJ_IJSD_SD_EEES6_SK_JS6_EEE10hipError_tPvRmT3_T4_T5_T6_T7_T9_mT8_P12ihipStream_tbDpT10_ENKUlT_T0_E_clISt17integral_constantIbLb0EES16_EEDaS11_S12_EUlS11_E_NS1_11comp_targetILNS1_3genE8ELNS1_11target_archE1030ELNS1_3gpuE2ELNS1_3repE0EEENS1_30default_config_static_selectorELNS0_4arch9wavefront6targetE0EEEvT1_ ; -- Begin function _ZN7rocprim17ROCPRIM_400000_NS6detail17trampoline_kernelINS0_14default_configENS1_25partition_config_selectorILNS1_17partition_subalgoE5ElNS0_10empty_typeEbEEZZNS1_14partition_implILS5_5ELb0ES3_mN6hipcub16HIPCUB_304000_NS21CountingInputIteratorIllEEPS6_NSA_22TransformInputIteratorIb7NonZeroIdEPdlEENS0_5tupleIJPlS6_EEENSJ_IJSD_SD_EEES6_SK_JS6_EEE10hipError_tPvRmT3_T4_T5_T6_T7_T9_mT8_P12ihipStream_tbDpT10_ENKUlT_T0_E_clISt17integral_constantIbLb0EES16_EEDaS11_S12_EUlS11_E_NS1_11comp_targetILNS1_3genE8ELNS1_11target_archE1030ELNS1_3gpuE2ELNS1_3repE0EEENS1_30default_config_static_selectorELNS0_4arch9wavefront6targetE0EEEvT1_
	.globl	_ZN7rocprim17ROCPRIM_400000_NS6detail17trampoline_kernelINS0_14default_configENS1_25partition_config_selectorILNS1_17partition_subalgoE5ElNS0_10empty_typeEbEEZZNS1_14partition_implILS5_5ELb0ES3_mN6hipcub16HIPCUB_304000_NS21CountingInputIteratorIllEEPS6_NSA_22TransformInputIteratorIb7NonZeroIdEPdlEENS0_5tupleIJPlS6_EEENSJ_IJSD_SD_EEES6_SK_JS6_EEE10hipError_tPvRmT3_T4_T5_T6_T7_T9_mT8_P12ihipStream_tbDpT10_ENKUlT_T0_E_clISt17integral_constantIbLb0EES16_EEDaS11_S12_EUlS11_E_NS1_11comp_targetILNS1_3genE8ELNS1_11target_archE1030ELNS1_3gpuE2ELNS1_3repE0EEENS1_30default_config_static_selectorELNS0_4arch9wavefront6targetE0EEEvT1_
	.p2align	8
	.type	_ZN7rocprim17ROCPRIM_400000_NS6detail17trampoline_kernelINS0_14default_configENS1_25partition_config_selectorILNS1_17partition_subalgoE5ElNS0_10empty_typeEbEEZZNS1_14partition_implILS5_5ELb0ES3_mN6hipcub16HIPCUB_304000_NS21CountingInputIteratorIllEEPS6_NSA_22TransformInputIteratorIb7NonZeroIdEPdlEENS0_5tupleIJPlS6_EEENSJ_IJSD_SD_EEES6_SK_JS6_EEE10hipError_tPvRmT3_T4_T5_T6_T7_T9_mT8_P12ihipStream_tbDpT10_ENKUlT_T0_E_clISt17integral_constantIbLb0EES16_EEDaS11_S12_EUlS11_E_NS1_11comp_targetILNS1_3genE8ELNS1_11target_archE1030ELNS1_3gpuE2ELNS1_3repE0EEENS1_30default_config_static_selectorELNS0_4arch9wavefront6targetE0EEEvT1_,@function
_ZN7rocprim17ROCPRIM_400000_NS6detail17trampoline_kernelINS0_14default_configENS1_25partition_config_selectorILNS1_17partition_subalgoE5ElNS0_10empty_typeEbEEZZNS1_14partition_implILS5_5ELb0ES3_mN6hipcub16HIPCUB_304000_NS21CountingInputIteratorIllEEPS6_NSA_22TransformInputIteratorIb7NonZeroIdEPdlEENS0_5tupleIJPlS6_EEENSJ_IJSD_SD_EEES6_SK_JS6_EEE10hipError_tPvRmT3_T4_T5_T6_T7_T9_mT8_P12ihipStream_tbDpT10_ENKUlT_T0_E_clISt17integral_constantIbLb0EES16_EEDaS11_S12_EUlS11_E_NS1_11comp_targetILNS1_3genE8ELNS1_11target_archE1030ELNS1_3gpuE2ELNS1_3repE0EEENS1_30default_config_static_selectorELNS0_4arch9wavefront6targetE0EEEvT1_: ; @_ZN7rocprim17ROCPRIM_400000_NS6detail17trampoline_kernelINS0_14default_configENS1_25partition_config_selectorILNS1_17partition_subalgoE5ElNS0_10empty_typeEbEEZZNS1_14partition_implILS5_5ELb0ES3_mN6hipcub16HIPCUB_304000_NS21CountingInputIteratorIllEEPS6_NSA_22TransformInputIteratorIb7NonZeroIdEPdlEENS0_5tupleIJPlS6_EEENSJ_IJSD_SD_EEES6_SK_JS6_EEE10hipError_tPvRmT3_T4_T5_T6_T7_T9_mT8_P12ihipStream_tbDpT10_ENKUlT_T0_E_clISt17integral_constantIbLb0EES16_EEDaS11_S12_EUlS11_E_NS1_11comp_targetILNS1_3genE8ELNS1_11target_archE1030ELNS1_3gpuE2ELNS1_3repE0EEENS1_30default_config_static_selectorELNS0_4arch9wavefront6targetE0EEEvT1_
; %bb.0:
	.section	.rodata,"a",@progbits
	.p2align	6, 0x0
	.amdhsa_kernel _ZN7rocprim17ROCPRIM_400000_NS6detail17trampoline_kernelINS0_14default_configENS1_25partition_config_selectorILNS1_17partition_subalgoE5ElNS0_10empty_typeEbEEZZNS1_14partition_implILS5_5ELb0ES3_mN6hipcub16HIPCUB_304000_NS21CountingInputIteratorIllEEPS6_NSA_22TransformInputIteratorIb7NonZeroIdEPdlEENS0_5tupleIJPlS6_EEENSJ_IJSD_SD_EEES6_SK_JS6_EEE10hipError_tPvRmT3_T4_T5_T6_T7_T9_mT8_P12ihipStream_tbDpT10_ENKUlT_T0_E_clISt17integral_constantIbLb0EES16_EEDaS11_S12_EUlS11_E_NS1_11comp_targetILNS1_3genE8ELNS1_11target_archE1030ELNS1_3gpuE2ELNS1_3repE0EEENS1_30default_config_static_selectorELNS0_4arch9wavefront6targetE0EEEvT1_
		.amdhsa_group_segment_fixed_size 0
		.amdhsa_private_segment_fixed_size 0
		.amdhsa_kernarg_size 120
		.amdhsa_user_sgpr_count 15
		.amdhsa_user_sgpr_dispatch_ptr 0
		.amdhsa_user_sgpr_queue_ptr 0
		.amdhsa_user_sgpr_kernarg_segment_ptr 1
		.amdhsa_user_sgpr_dispatch_id 0
		.amdhsa_user_sgpr_private_segment_size 0
		.amdhsa_wavefront_size32 1
		.amdhsa_uses_dynamic_stack 0
		.amdhsa_enable_private_segment 0
		.amdhsa_system_sgpr_workgroup_id_x 1
		.amdhsa_system_sgpr_workgroup_id_y 0
		.amdhsa_system_sgpr_workgroup_id_z 0
		.amdhsa_system_sgpr_workgroup_info 0
		.amdhsa_system_vgpr_workitem_id 0
		.amdhsa_next_free_vgpr 1
		.amdhsa_next_free_sgpr 1
		.amdhsa_reserve_vcc 0
		.amdhsa_float_round_mode_32 0
		.amdhsa_float_round_mode_16_64 0
		.amdhsa_float_denorm_mode_32 3
		.amdhsa_float_denorm_mode_16_64 3
		.amdhsa_dx10_clamp 1
		.amdhsa_ieee_mode 1
		.amdhsa_fp16_overflow 0
		.amdhsa_workgroup_processor_mode 1
		.amdhsa_memory_ordered 1
		.amdhsa_forward_progress 0
		.amdhsa_shared_vgpr_count 0
		.amdhsa_exception_fp_ieee_invalid_op 0
		.amdhsa_exception_fp_denorm_src 0
		.amdhsa_exception_fp_ieee_div_zero 0
		.amdhsa_exception_fp_ieee_overflow 0
		.amdhsa_exception_fp_ieee_underflow 0
		.amdhsa_exception_fp_ieee_inexact 0
		.amdhsa_exception_int_div_zero 0
	.end_amdhsa_kernel
	.section	.text._ZN7rocprim17ROCPRIM_400000_NS6detail17trampoline_kernelINS0_14default_configENS1_25partition_config_selectorILNS1_17partition_subalgoE5ElNS0_10empty_typeEbEEZZNS1_14partition_implILS5_5ELb0ES3_mN6hipcub16HIPCUB_304000_NS21CountingInputIteratorIllEEPS6_NSA_22TransformInputIteratorIb7NonZeroIdEPdlEENS0_5tupleIJPlS6_EEENSJ_IJSD_SD_EEES6_SK_JS6_EEE10hipError_tPvRmT3_T4_T5_T6_T7_T9_mT8_P12ihipStream_tbDpT10_ENKUlT_T0_E_clISt17integral_constantIbLb0EES16_EEDaS11_S12_EUlS11_E_NS1_11comp_targetILNS1_3genE8ELNS1_11target_archE1030ELNS1_3gpuE2ELNS1_3repE0EEENS1_30default_config_static_selectorELNS0_4arch9wavefront6targetE0EEEvT1_,"axG",@progbits,_ZN7rocprim17ROCPRIM_400000_NS6detail17trampoline_kernelINS0_14default_configENS1_25partition_config_selectorILNS1_17partition_subalgoE5ElNS0_10empty_typeEbEEZZNS1_14partition_implILS5_5ELb0ES3_mN6hipcub16HIPCUB_304000_NS21CountingInputIteratorIllEEPS6_NSA_22TransformInputIteratorIb7NonZeroIdEPdlEENS0_5tupleIJPlS6_EEENSJ_IJSD_SD_EEES6_SK_JS6_EEE10hipError_tPvRmT3_T4_T5_T6_T7_T9_mT8_P12ihipStream_tbDpT10_ENKUlT_T0_E_clISt17integral_constantIbLb0EES16_EEDaS11_S12_EUlS11_E_NS1_11comp_targetILNS1_3genE8ELNS1_11target_archE1030ELNS1_3gpuE2ELNS1_3repE0EEENS1_30default_config_static_selectorELNS0_4arch9wavefront6targetE0EEEvT1_,comdat
.Lfunc_end328:
	.size	_ZN7rocprim17ROCPRIM_400000_NS6detail17trampoline_kernelINS0_14default_configENS1_25partition_config_selectorILNS1_17partition_subalgoE5ElNS0_10empty_typeEbEEZZNS1_14partition_implILS5_5ELb0ES3_mN6hipcub16HIPCUB_304000_NS21CountingInputIteratorIllEEPS6_NSA_22TransformInputIteratorIb7NonZeroIdEPdlEENS0_5tupleIJPlS6_EEENSJ_IJSD_SD_EEES6_SK_JS6_EEE10hipError_tPvRmT3_T4_T5_T6_T7_T9_mT8_P12ihipStream_tbDpT10_ENKUlT_T0_E_clISt17integral_constantIbLb0EES16_EEDaS11_S12_EUlS11_E_NS1_11comp_targetILNS1_3genE8ELNS1_11target_archE1030ELNS1_3gpuE2ELNS1_3repE0EEENS1_30default_config_static_selectorELNS0_4arch9wavefront6targetE0EEEvT1_, .Lfunc_end328-_ZN7rocprim17ROCPRIM_400000_NS6detail17trampoline_kernelINS0_14default_configENS1_25partition_config_selectorILNS1_17partition_subalgoE5ElNS0_10empty_typeEbEEZZNS1_14partition_implILS5_5ELb0ES3_mN6hipcub16HIPCUB_304000_NS21CountingInputIteratorIllEEPS6_NSA_22TransformInputIteratorIb7NonZeroIdEPdlEENS0_5tupleIJPlS6_EEENSJ_IJSD_SD_EEES6_SK_JS6_EEE10hipError_tPvRmT3_T4_T5_T6_T7_T9_mT8_P12ihipStream_tbDpT10_ENKUlT_T0_E_clISt17integral_constantIbLb0EES16_EEDaS11_S12_EUlS11_E_NS1_11comp_targetILNS1_3genE8ELNS1_11target_archE1030ELNS1_3gpuE2ELNS1_3repE0EEENS1_30default_config_static_selectorELNS0_4arch9wavefront6targetE0EEEvT1_
                                        ; -- End function
	.section	.AMDGPU.csdata,"",@progbits
; Kernel info:
; codeLenInByte = 0
; NumSgprs: 0
; NumVgprs: 0
; ScratchSize: 0
; MemoryBound: 0
; FloatMode: 240
; IeeeMode: 1
; LDSByteSize: 0 bytes/workgroup (compile time only)
; SGPRBlocks: 0
; VGPRBlocks: 0
; NumSGPRsForWavesPerEU: 1
; NumVGPRsForWavesPerEU: 1
; Occupancy: 16
; WaveLimiterHint : 0
; COMPUTE_PGM_RSRC2:SCRATCH_EN: 0
; COMPUTE_PGM_RSRC2:USER_SGPR: 15
; COMPUTE_PGM_RSRC2:TRAP_HANDLER: 0
; COMPUTE_PGM_RSRC2:TGID_X_EN: 1
; COMPUTE_PGM_RSRC2:TGID_Y_EN: 0
; COMPUTE_PGM_RSRC2:TGID_Z_EN: 0
; COMPUTE_PGM_RSRC2:TIDIG_COMP_CNT: 0
	.section	.text._ZN7rocprim17ROCPRIM_400000_NS6detail17trampoline_kernelINS0_14default_configENS1_25partition_config_selectorILNS1_17partition_subalgoE5ElNS0_10empty_typeEbEEZZNS1_14partition_implILS5_5ELb0ES3_mN6hipcub16HIPCUB_304000_NS21CountingInputIteratorIllEEPS6_NSA_22TransformInputIteratorIb7NonZeroIdEPdlEENS0_5tupleIJPlS6_EEENSJ_IJSD_SD_EEES6_SK_JS6_EEE10hipError_tPvRmT3_T4_T5_T6_T7_T9_mT8_P12ihipStream_tbDpT10_ENKUlT_T0_E_clISt17integral_constantIbLb1EES16_EEDaS11_S12_EUlS11_E_NS1_11comp_targetILNS1_3genE0ELNS1_11target_archE4294967295ELNS1_3gpuE0ELNS1_3repE0EEENS1_30default_config_static_selectorELNS0_4arch9wavefront6targetE0EEEvT1_,"axG",@progbits,_ZN7rocprim17ROCPRIM_400000_NS6detail17trampoline_kernelINS0_14default_configENS1_25partition_config_selectorILNS1_17partition_subalgoE5ElNS0_10empty_typeEbEEZZNS1_14partition_implILS5_5ELb0ES3_mN6hipcub16HIPCUB_304000_NS21CountingInputIteratorIllEEPS6_NSA_22TransformInputIteratorIb7NonZeroIdEPdlEENS0_5tupleIJPlS6_EEENSJ_IJSD_SD_EEES6_SK_JS6_EEE10hipError_tPvRmT3_T4_T5_T6_T7_T9_mT8_P12ihipStream_tbDpT10_ENKUlT_T0_E_clISt17integral_constantIbLb1EES16_EEDaS11_S12_EUlS11_E_NS1_11comp_targetILNS1_3genE0ELNS1_11target_archE4294967295ELNS1_3gpuE0ELNS1_3repE0EEENS1_30default_config_static_selectorELNS0_4arch9wavefront6targetE0EEEvT1_,comdat
	.protected	_ZN7rocprim17ROCPRIM_400000_NS6detail17trampoline_kernelINS0_14default_configENS1_25partition_config_selectorILNS1_17partition_subalgoE5ElNS0_10empty_typeEbEEZZNS1_14partition_implILS5_5ELb0ES3_mN6hipcub16HIPCUB_304000_NS21CountingInputIteratorIllEEPS6_NSA_22TransformInputIteratorIb7NonZeroIdEPdlEENS0_5tupleIJPlS6_EEENSJ_IJSD_SD_EEES6_SK_JS6_EEE10hipError_tPvRmT3_T4_T5_T6_T7_T9_mT8_P12ihipStream_tbDpT10_ENKUlT_T0_E_clISt17integral_constantIbLb1EES16_EEDaS11_S12_EUlS11_E_NS1_11comp_targetILNS1_3genE0ELNS1_11target_archE4294967295ELNS1_3gpuE0ELNS1_3repE0EEENS1_30default_config_static_selectorELNS0_4arch9wavefront6targetE0EEEvT1_ ; -- Begin function _ZN7rocprim17ROCPRIM_400000_NS6detail17trampoline_kernelINS0_14default_configENS1_25partition_config_selectorILNS1_17partition_subalgoE5ElNS0_10empty_typeEbEEZZNS1_14partition_implILS5_5ELb0ES3_mN6hipcub16HIPCUB_304000_NS21CountingInputIteratorIllEEPS6_NSA_22TransformInputIteratorIb7NonZeroIdEPdlEENS0_5tupleIJPlS6_EEENSJ_IJSD_SD_EEES6_SK_JS6_EEE10hipError_tPvRmT3_T4_T5_T6_T7_T9_mT8_P12ihipStream_tbDpT10_ENKUlT_T0_E_clISt17integral_constantIbLb1EES16_EEDaS11_S12_EUlS11_E_NS1_11comp_targetILNS1_3genE0ELNS1_11target_archE4294967295ELNS1_3gpuE0ELNS1_3repE0EEENS1_30default_config_static_selectorELNS0_4arch9wavefront6targetE0EEEvT1_
	.globl	_ZN7rocprim17ROCPRIM_400000_NS6detail17trampoline_kernelINS0_14default_configENS1_25partition_config_selectorILNS1_17partition_subalgoE5ElNS0_10empty_typeEbEEZZNS1_14partition_implILS5_5ELb0ES3_mN6hipcub16HIPCUB_304000_NS21CountingInputIteratorIllEEPS6_NSA_22TransformInputIteratorIb7NonZeroIdEPdlEENS0_5tupleIJPlS6_EEENSJ_IJSD_SD_EEES6_SK_JS6_EEE10hipError_tPvRmT3_T4_T5_T6_T7_T9_mT8_P12ihipStream_tbDpT10_ENKUlT_T0_E_clISt17integral_constantIbLb1EES16_EEDaS11_S12_EUlS11_E_NS1_11comp_targetILNS1_3genE0ELNS1_11target_archE4294967295ELNS1_3gpuE0ELNS1_3repE0EEENS1_30default_config_static_selectorELNS0_4arch9wavefront6targetE0EEEvT1_
	.p2align	8
	.type	_ZN7rocprim17ROCPRIM_400000_NS6detail17trampoline_kernelINS0_14default_configENS1_25partition_config_selectorILNS1_17partition_subalgoE5ElNS0_10empty_typeEbEEZZNS1_14partition_implILS5_5ELb0ES3_mN6hipcub16HIPCUB_304000_NS21CountingInputIteratorIllEEPS6_NSA_22TransformInputIteratorIb7NonZeroIdEPdlEENS0_5tupleIJPlS6_EEENSJ_IJSD_SD_EEES6_SK_JS6_EEE10hipError_tPvRmT3_T4_T5_T6_T7_T9_mT8_P12ihipStream_tbDpT10_ENKUlT_T0_E_clISt17integral_constantIbLb1EES16_EEDaS11_S12_EUlS11_E_NS1_11comp_targetILNS1_3genE0ELNS1_11target_archE4294967295ELNS1_3gpuE0ELNS1_3repE0EEENS1_30default_config_static_selectorELNS0_4arch9wavefront6targetE0EEEvT1_,@function
_ZN7rocprim17ROCPRIM_400000_NS6detail17trampoline_kernelINS0_14default_configENS1_25partition_config_selectorILNS1_17partition_subalgoE5ElNS0_10empty_typeEbEEZZNS1_14partition_implILS5_5ELb0ES3_mN6hipcub16HIPCUB_304000_NS21CountingInputIteratorIllEEPS6_NSA_22TransformInputIteratorIb7NonZeroIdEPdlEENS0_5tupleIJPlS6_EEENSJ_IJSD_SD_EEES6_SK_JS6_EEE10hipError_tPvRmT3_T4_T5_T6_T7_T9_mT8_P12ihipStream_tbDpT10_ENKUlT_T0_E_clISt17integral_constantIbLb1EES16_EEDaS11_S12_EUlS11_E_NS1_11comp_targetILNS1_3genE0ELNS1_11target_archE4294967295ELNS1_3gpuE0ELNS1_3repE0EEENS1_30default_config_static_selectorELNS0_4arch9wavefront6targetE0EEEvT1_: ; @_ZN7rocprim17ROCPRIM_400000_NS6detail17trampoline_kernelINS0_14default_configENS1_25partition_config_selectorILNS1_17partition_subalgoE5ElNS0_10empty_typeEbEEZZNS1_14partition_implILS5_5ELb0ES3_mN6hipcub16HIPCUB_304000_NS21CountingInputIteratorIllEEPS6_NSA_22TransformInputIteratorIb7NonZeroIdEPdlEENS0_5tupleIJPlS6_EEENSJ_IJSD_SD_EEES6_SK_JS6_EEE10hipError_tPvRmT3_T4_T5_T6_T7_T9_mT8_P12ihipStream_tbDpT10_ENKUlT_T0_E_clISt17integral_constantIbLb1EES16_EEDaS11_S12_EUlS11_E_NS1_11comp_targetILNS1_3genE0ELNS1_11target_archE4294967295ELNS1_3gpuE0ELNS1_3repE0EEENS1_30default_config_static_selectorELNS0_4arch9wavefront6targetE0EEEvT1_
; %bb.0:
	.section	.rodata,"a",@progbits
	.p2align	6, 0x0
	.amdhsa_kernel _ZN7rocprim17ROCPRIM_400000_NS6detail17trampoline_kernelINS0_14default_configENS1_25partition_config_selectorILNS1_17partition_subalgoE5ElNS0_10empty_typeEbEEZZNS1_14partition_implILS5_5ELb0ES3_mN6hipcub16HIPCUB_304000_NS21CountingInputIteratorIllEEPS6_NSA_22TransformInputIteratorIb7NonZeroIdEPdlEENS0_5tupleIJPlS6_EEENSJ_IJSD_SD_EEES6_SK_JS6_EEE10hipError_tPvRmT3_T4_T5_T6_T7_T9_mT8_P12ihipStream_tbDpT10_ENKUlT_T0_E_clISt17integral_constantIbLb1EES16_EEDaS11_S12_EUlS11_E_NS1_11comp_targetILNS1_3genE0ELNS1_11target_archE4294967295ELNS1_3gpuE0ELNS1_3repE0EEENS1_30default_config_static_selectorELNS0_4arch9wavefront6targetE0EEEvT1_
		.amdhsa_group_segment_fixed_size 0
		.amdhsa_private_segment_fixed_size 0
		.amdhsa_kernarg_size 136
		.amdhsa_user_sgpr_count 15
		.amdhsa_user_sgpr_dispatch_ptr 0
		.amdhsa_user_sgpr_queue_ptr 0
		.amdhsa_user_sgpr_kernarg_segment_ptr 1
		.amdhsa_user_sgpr_dispatch_id 0
		.amdhsa_user_sgpr_private_segment_size 0
		.amdhsa_wavefront_size32 1
		.amdhsa_uses_dynamic_stack 0
		.amdhsa_enable_private_segment 0
		.amdhsa_system_sgpr_workgroup_id_x 1
		.amdhsa_system_sgpr_workgroup_id_y 0
		.amdhsa_system_sgpr_workgroup_id_z 0
		.amdhsa_system_sgpr_workgroup_info 0
		.amdhsa_system_vgpr_workitem_id 0
		.amdhsa_next_free_vgpr 1
		.amdhsa_next_free_sgpr 1
		.amdhsa_reserve_vcc 0
		.amdhsa_float_round_mode_32 0
		.amdhsa_float_round_mode_16_64 0
		.amdhsa_float_denorm_mode_32 3
		.amdhsa_float_denorm_mode_16_64 3
		.amdhsa_dx10_clamp 1
		.amdhsa_ieee_mode 1
		.amdhsa_fp16_overflow 0
		.amdhsa_workgroup_processor_mode 1
		.amdhsa_memory_ordered 1
		.amdhsa_forward_progress 0
		.amdhsa_shared_vgpr_count 0
		.amdhsa_exception_fp_ieee_invalid_op 0
		.amdhsa_exception_fp_denorm_src 0
		.amdhsa_exception_fp_ieee_div_zero 0
		.amdhsa_exception_fp_ieee_overflow 0
		.amdhsa_exception_fp_ieee_underflow 0
		.amdhsa_exception_fp_ieee_inexact 0
		.amdhsa_exception_int_div_zero 0
	.end_amdhsa_kernel
	.section	.text._ZN7rocprim17ROCPRIM_400000_NS6detail17trampoline_kernelINS0_14default_configENS1_25partition_config_selectorILNS1_17partition_subalgoE5ElNS0_10empty_typeEbEEZZNS1_14partition_implILS5_5ELb0ES3_mN6hipcub16HIPCUB_304000_NS21CountingInputIteratorIllEEPS6_NSA_22TransformInputIteratorIb7NonZeroIdEPdlEENS0_5tupleIJPlS6_EEENSJ_IJSD_SD_EEES6_SK_JS6_EEE10hipError_tPvRmT3_T4_T5_T6_T7_T9_mT8_P12ihipStream_tbDpT10_ENKUlT_T0_E_clISt17integral_constantIbLb1EES16_EEDaS11_S12_EUlS11_E_NS1_11comp_targetILNS1_3genE0ELNS1_11target_archE4294967295ELNS1_3gpuE0ELNS1_3repE0EEENS1_30default_config_static_selectorELNS0_4arch9wavefront6targetE0EEEvT1_,"axG",@progbits,_ZN7rocprim17ROCPRIM_400000_NS6detail17trampoline_kernelINS0_14default_configENS1_25partition_config_selectorILNS1_17partition_subalgoE5ElNS0_10empty_typeEbEEZZNS1_14partition_implILS5_5ELb0ES3_mN6hipcub16HIPCUB_304000_NS21CountingInputIteratorIllEEPS6_NSA_22TransformInputIteratorIb7NonZeroIdEPdlEENS0_5tupleIJPlS6_EEENSJ_IJSD_SD_EEES6_SK_JS6_EEE10hipError_tPvRmT3_T4_T5_T6_T7_T9_mT8_P12ihipStream_tbDpT10_ENKUlT_T0_E_clISt17integral_constantIbLb1EES16_EEDaS11_S12_EUlS11_E_NS1_11comp_targetILNS1_3genE0ELNS1_11target_archE4294967295ELNS1_3gpuE0ELNS1_3repE0EEENS1_30default_config_static_selectorELNS0_4arch9wavefront6targetE0EEEvT1_,comdat
.Lfunc_end329:
	.size	_ZN7rocprim17ROCPRIM_400000_NS6detail17trampoline_kernelINS0_14default_configENS1_25partition_config_selectorILNS1_17partition_subalgoE5ElNS0_10empty_typeEbEEZZNS1_14partition_implILS5_5ELb0ES3_mN6hipcub16HIPCUB_304000_NS21CountingInputIteratorIllEEPS6_NSA_22TransformInputIteratorIb7NonZeroIdEPdlEENS0_5tupleIJPlS6_EEENSJ_IJSD_SD_EEES6_SK_JS6_EEE10hipError_tPvRmT3_T4_T5_T6_T7_T9_mT8_P12ihipStream_tbDpT10_ENKUlT_T0_E_clISt17integral_constantIbLb1EES16_EEDaS11_S12_EUlS11_E_NS1_11comp_targetILNS1_3genE0ELNS1_11target_archE4294967295ELNS1_3gpuE0ELNS1_3repE0EEENS1_30default_config_static_selectorELNS0_4arch9wavefront6targetE0EEEvT1_, .Lfunc_end329-_ZN7rocprim17ROCPRIM_400000_NS6detail17trampoline_kernelINS0_14default_configENS1_25partition_config_selectorILNS1_17partition_subalgoE5ElNS0_10empty_typeEbEEZZNS1_14partition_implILS5_5ELb0ES3_mN6hipcub16HIPCUB_304000_NS21CountingInputIteratorIllEEPS6_NSA_22TransformInputIteratorIb7NonZeroIdEPdlEENS0_5tupleIJPlS6_EEENSJ_IJSD_SD_EEES6_SK_JS6_EEE10hipError_tPvRmT3_T4_T5_T6_T7_T9_mT8_P12ihipStream_tbDpT10_ENKUlT_T0_E_clISt17integral_constantIbLb1EES16_EEDaS11_S12_EUlS11_E_NS1_11comp_targetILNS1_3genE0ELNS1_11target_archE4294967295ELNS1_3gpuE0ELNS1_3repE0EEENS1_30default_config_static_selectorELNS0_4arch9wavefront6targetE0EEEvT1_
                                        ; -- End function
	.section	.AMDGPU.csdata,"",@progbits
; Kernel info:
; codeLenInByte = 0
; NumSgprs: 0
; NumVgprs: 0
; ScratchSize: 0
; MemoryBound: 0
; FloatMode: 240
; IeeeMode: 1
; LDSByteSize: 0 bytes/workgroup (compile time only)
; SGPRBlocks: 0
; VGPRBlocks: 0
; NumSGPRsForWavesPerEU: 1
; NumVGPRsForWavesPerEU: 1
; Occupancy: 16
; WaveLimiterHint : 0
; COMPUTE_PGM_RSRC2:SCRATCH_EN: 0
; COMPUTE_PGM_RSRC2:USER_SGPR: 15
; COMPUTE_PGM_RSRC2:TRAP_HANDLER: 0
; COMPUTE_PGM_RSRC2:TGID_X_EN: 1
; COMPUTE_PGM_RSRC2:TGID_Y_EN: 0
; COMPUTE_PGM_RSRC2:TGID_Z_EN: 0
; COMPUTE_PGM_RSRC2:TIDIG_COMP_CNT: 0
	.section	.text._ZN7rocprim17ROCPRIM_400000_NS6detail17trampoline_kernelINS0_14default_configENS1_25partition_config_selectorILNS1_17partition_subalgoE5ElNS0_10empty_typeEbEEZZNS1_14partition_implILS5_5ELb0ES3_mN6hipcub16HIPCUB_304000_NS21CountingInputIteratorIllEEPS6_NSA_22TransformInputIteratorIb7NonZeroIdEPdlEENS0_5tupleIJPlS6_EEENSJ_IJSD_SD_EEES6_SK_JS6_EEE10hipError_tPvRmT3_T4_T5_T6_T7_T9_mT8_P12ihipStream_tbDpT10_ENKUlT_T0_E_clISt17integral_constantIbLb1EES16_EEDaS11_S12_EUlS11_E_NS1_11comp_targetILNS1_3genE5ELNS1_11target_archE942ELNS1_3gpuE9ELNS1_3repE0EEENS1_30default_config_static_selectorELNS0_4arch9wavefront6targetE0EEEvT1_,"axG",@progbits,_ZN7rocprim17ROCPRIM_400000_NS6detail17trampoline_kernelINS0_14default_configENS1_25partition_config_selectorILNS1_17partition_subalgoE5ElNS0_10empty_typeEbEEZZNS1_14partition_implILS5_5ELb0ES3_mN6hipcub16HIPCUB_304000_NS21CountingInputIteratorIllEEPS6_NSA_22TransformInputIteratorIb7NonZeroIdEPdlEENS0_5tupleIJPlS6_EEENSJ_IJSD_SD_EEES6_SK_JS6_EEE10hipError_tPvRmT3_T4_T5_T6_T7_T9_mT8_P12ihipStream_tbDpT10_ENKUlT_T0_E_clISt17integral_constantIbLb1EES16_EEDaS11_S12_EUlS11_E_NS1_11comp_targetILNS1_3genE5ELNS1_11target_archE942ELNS1_3gpuE9ELNS1_3repE0EEENS1_30default_config_static_selectorELNS0_4arch9wavefront6targetE0EEEvT1_,comdat
	.protected	_ZN7rocprim17ROCPRIM_400000_NS6detail17trampoline_kernelINS0_14default_configENS1_25partition_config_selectorILNS1_17partition_subalgoE5ElNS0_10empty_typeEbEEZZNS1_14partition_implILS5_5ELb0ES3_mN6hipcub16HIPCUB_304000_NS21CountingInputIteratorIllEEPS6_NSA_22TransformInputIteratorIb7NonZeroIdEPdlEENS0_5tupleIJPlS6_EEENSJ_IJSD_SD_EEES6_SK_JS6_EEE10hipError_tPvRmT3_T4_T5_T6_T7_T9_mT8_P12ihipStream_tbDpT10_ENKUlT_T0_E_clISt17integral_constantIbLb1EES16_EEDaS11_S12_EUlS11_E_NS1_11comp_targetILNS1_3genE5ELNS1_11target_archE942ELNS1_3gpuE9ELNS1_3repE0EEENS1_30default_config_static_selectorELNS0_4arch9wavefront6targetE0EEEvT1_ ; -- Begin function _ZN7rocprim17ROCPRIM_400000_NS6detail17trampoline_kernelINS0_14default_configENS1_25partition_config_selectorILNS1_17partition_subalgoE5ElNS0_10empty_typeEbEEZZNS1_14partition_implILS5_5ELb0ES3_mN6hipcub16HIPCUB_304000_NS21CountingInputIteratorIllEEPS6_NSA_22TransformInputIteratorIb7NonZeroIdEPdlEENS0_5tupleIJPlS6_EEENSJ_IJSD_SD_EEES6_SK_JS6_EEE10hipError_tPvRmT3_T4_T5_T6_T7_T9_mT8_P12ihipStream_tbDpT10_ENKUlT_T0_E_clISt17integral_constantIbLb1EES16_EEDaS11_S12_EUlS11_E_NS1_11comp_targetILNS1_3genE5ELNS1_11target_archE942ELNS1_3gpuE9ELNS1_3repE0EEENS1_30default_config_static_selectorELNS0_4arch9wavefront6targetE0EEEvT1_
	.globl	_ZN7rocprim17ROCPRIM_400000_NS6detail17trampoline_kernelINS0_14default_configENS1_25partition_config_selectorILNS1_17partition_subalgoE5ElNS0_10empty_typeEbEEZZNS1_14partition_implILS5_5ELb0ES3_mN6hipcub16HIPCUB_304000_NS21CountingInputIteratorIllEEPS6_NSA_22TransformInputIteratorIb7NonZeroIdEPdlEENS0_5tupleIJPlS6_EEENSJ_IJSD_SD_EEES6_SK_JS6_EEE10hipError_tPvRmT3_T4_T5_T6_T7_T9_mT8_P12ihipStream_tbDpT10_ENKUlT_T0_E_clISt17integral_constantIbLb1EES16_EEDaS11_S12_EUlS11_E_NS1_11comp_targetILNS1_3genE5ELNS1_11target_archE942ELNS1_3gpuE9ELNS1_3repE0EEENS1_30default_config_static_selectorELNS0_4arch9wavefront6targetE0EEEvT1_
	.p2align	8
	.type	_ZN7rocprim17ROCPRIM_400000_NS6detail17trampoline_kernelINS0_14default_configENS1_25partition_config_selectorILNS1_17partition_subalgoE5ElNS0_10empty_typeEbEEZZNS1_14partition_implILS5_5ELb0ES3_mN6hipcub16HIPCUB_304000_NS21CountingInputIteratorIllEEPS6_NSA_22TransformInputIteratorIb7NonZeroIdEPdlEENS0_5tupleIJPlS6_EEENSJ_IJSD_SD_EEES6_SK_JS6_EEE10hipError_tPvRmT3_T4_T5_T6_T7_T9_mT8_P12ihipStream_tbDpT10_ENKUlT_T0_E_clISt17integral_constantIbLb1EES16_EEDaS11_S12_EUlS11_E_NS1_11comp_targetILNS1_3genE5ELNS1_11target_archE942ELNS1_3gpuE9ELNS1_3repE0EEENS1_30default_config_static_selectorELNS0_4arch9wavefront6targetE0EEEvT1_,@function
_ZN7rocprim17ROCPRIM_400000_NS6detail17trampoline_kernelINS0_14default_configENS1_25partition_config_selectorILNS1_17partition_subalgoE5ElNS0_10empty_typeEbEEZZNS1_14partition_implILS5_5ELb0ES3_mN6hipcub16HIPCUB_304000_NS21CountingInputIteratorIllEEPS6_NSA_22TransformInputIteratorIb7NonZeroIdEPdlEENS0_5tupleIJPlS6_EEENSJ_IJSD_SD_EEES6_SK_JS6_EEE10hipError_tPvRmT3_T4_T5_T6_T7_T9_mT8_P12ihipStream_tbDpT10_ENKUlT_T0_E_clISt17integral_constantIbLb1EES16_EEDaS11_S12_EUlS11_E_NS1_11comp_targetILNS1_3genE5ELNS1_11target_archE942ELNS1_3gpuE9ELNS1_3repE0EEENS1_30default_config_static_selectorELNS0_4arch9wavefront6targetE0EEEvT1_: ; @_ZN7rocprim17ROCPRIM_400000_NS6detail17trampoline_kernelINS0_14default_configENS1_25partition_config_selectorILNS1_17partition_subalgoE5ElNS0_10empty_typeEbEEZZNS1_14partition_implILS5_5ELb0ES3_mN6hipcub16HIPCUB_304000_NS21CountingInputIteratorIllEEPS6_NSA_22TransformInputIteratorIb7NonZeroIdEPdlEENS0_5tupleIJPlS6_EEENSJ_IJSD_SD_EEES6_SK_JS6_EEE10hipError_tPvRmT3_T4_T5_T6_T7_T9_mT8_P12ihipStream_tbDpT10_ENKUlT_T0_E_clISt17integral_constantIbLb1EES16_EEDaS11_S12_EUlS11_E_NS1_11comp_targetILNS1_3genE5ELNS1_11target_archE942ELNS1_3gpuE9ELNS1_3repE0EEENS1_30default_config_static_selectorELNS0_4arch9wavefront6targetE0EEEvT1_
; %bb.0:
	.section	.rodata,"a",@progbits
	.p2align	6, 0x0
	.amdhsa_kernel _ZN7rocprim17ROCPRIM_400000_NS6detail17trampoline_kernelINS0_14default_configENS1_25partition_config_selectorILNS1_17partition_subalgoE5ElNS0_10empty_typeEbEEZZNS1_14partition_implILS5_5ELb0ES3_mN6hipcub16HIPCUB_304000_NS21CountingInputIteratorIllEEPS6_NSA_22TransformInputIteratorIb7NonZeroIdEPdlEENS0_5tupleIJPlS6_EEENSJ_IJSD_SD_EEES6_SK_JS6_EEE10hipError_tPvRmT3_T4_T5_T6_T7_T9_mT8_P12ihipStream_tbDpT10_ENKUlT_T0_E_clISt17integral_constantIbLb1EES16_EEDaS11_S12_EUlS11_E_NS1_11comp_targetILNS1_3genE5ELNS1_11target_archE942ELNS1_3gpuE9ELNS1_3repE0EEENS1_30default_config_static_selectorELNS0_4arch9wavefront6targetE0EEEvT1_
		.amdhsa_group_segment_fixed_size 0
		.amdhsa_private_segment_fixed_size 0
		.amdhsa_kernarg_size 136
		.amdhsa_user_sgpr_count 15
		.amdhsa_user_sgpr_dispatch_ptr 0
		.amdhsa_user_sgpr_queue_ptr 0
		.amdhsa_user_sgpr_kernarg_segment_ptr 1
		.amdhsa_user_sgpr_dispatch_id 0
		.amdhsa_user_sgpr_private_segment_size 0
		.amdhsa_wavefront_size32 1
		.amdhsa_uses_dynamic_stack 0
		.amdhsa_enable_private_segment 0
		.amdhsa_system_sgpr_workgroup_id_x 1
		.amdhsa_system_sgpr_workgroup_id_y 0
		.amdhsa_system_sgpr_workgroup_id_z 0
		.amdhsa_system_sgpr_workgroup_info 0
		.amdhsa_system_vgpr_workitem_id 0
		.amdhsa_next_free_vgpr 1
		.amdhsa_next_free_sgpr 1
		.amdhsa_reserve_vcc 0
		.amdhsa_float_round_mode_32 0
		.amdhsa_float_round_mode_16_64 0
		.amdhsa_float_denorm_mode_32 3
		.amdhsa_float_denorm_mode_16_64 3
		.amdhsa_dx10_clamp 1
		.amdhsa_ieee_mode 1
		.amdhsa_fp16_overflow 0
		.amdhsa_workgroup_processor_mode 1
		.amdhsa_memory_ordered 1
		.amdhsa_forward_progress 0
		.amdhsa_shared_vgpr_count 0
		.amdhsa_exception_fp_ieee_invalid_op 0
		.amdhsa_exception_fp_denorm_src 0
		.amdhsa_exception_fp_ieee_div_zero 0
		.amdhsa_exception_fp_ieee_overflow 0
		.amdhsa_exception_fp_ieee_underflow 0
		.amdhsa_exception_fp_ieee_inexact 0
		.amdhsa_exception_int_div_zero 0
	.end_amdhsa_kernel
	.section	.text._ZN7rocprim17ROCPRIM_400000_NS6detail17trampoline_kernelINS0_14default_configENS1_25partition_config_selectorILNS1_17partition_subalgoE5ElNS0_10empty_typeEbEEZZNS1_14partition_implILS5_5ELb0ES3_mN6hipcub16HIPCUB_304000_NS21CountingInputIteratorIllEEPS6_NSA_22TransformInputIteratorIb7NonZeroIdEPdlEENS0_5tupleIJPlS6_EEENSJ_IJSD_SD_EEES6_SK_JS6_EEE10hipError_tPvRmT3_T4_T5_T6_T7_T9_mT8_P12ihipStream_tbDpT10_ENKUlT_T0_E_clISt17integral_constantIbLb1EES16_EEDaS11_S12_EUlS11_E_NS1_11comp_targetILNS1_3genE5ELNS1_11target_archE942ELNS1_3gpuE9ELNS1_3repE0EEENS1_30default_config_static_selectorELNS0_4arch9wavefront6targetE0EEEvT1_,"axG",@progbits,_ZN7rocprim17ROCPRIM_400000_NS6detail17trampoline_kernelINS0_14default_configENS1_25partition_config_selectorILNS1_17partition_subalgoE5ElNS0_10empty_typeEbEEZZNS1_14partition_implILS5_5ELb0ES3_mN6hipcub16HIPCUB_304000_NS21CountingInputIteratorIllEEPS6_NSA_22TransformInputIteratorIb7NonZeroIdEPdlEENS0_5tupleIJPlS6_EEENSJ_IJSD_SD_EEES6_SK_JS6_EEE10hipError_tPvRmT3_T4_T5_T6_T7_T9_mT8_P12ihipStream_tbDpT10_ENKUlT_T0_E_clISt17integral_constantIbLb1EES16_EEDaS11_S12_EUlS11_E_NS1_11comp_targetILNS1_3genE5ELNS1_11target_archE942ELNS1_3gpuE9ELNS1_3repE0EEENS1_30default_config_static_selectorELNS0_4arch9wavefront6targetE0EEEvT1_,comdat
.Lfunc_end330:
	.size	_ZN7rocprim17ROCPRIM_400000_NS6detail17trampoline_kernelINS0_14default_configENS1_25partition_config_selectorILNS1_17partition_subalgoE5ElNS0_10empty_typeEbEEZZNS1_14partition_implILS5_5ELb0ES3_mN6hipcub16HIPCUB_304000_NS21CountingInputIteratorIllEEPS6_NSA_22TransformInputIteratorIb7NonZeroIdEPdlEENS0_5tupleIJPlS6_EEENSJ_IJSD_SD_EEES6_SK_JS6_EEE10hipError_tPvRmT3_T4_T5_T6_T7_T9_mT8_P12ihipStream_tbDpT10_ENKUlT_T0_E_clISt17integral_constantIbLb1EES16_EEDaS11_S12_EUlS11_E_NS1_11comp_targetILNS1_3genE5ELNS1_11target_archE942ELNS1_3gpuE9ELNS1_3repE0EEENS1_30default_config_static_selectorELNS0_4arch9wavefront6targetE0EEEvT1_, .Lfunc_end330-_ZN7rocprim17ROCPRIM_400000_NS6detail17trampoline_kernelINS0_14default_configENS1_25partition_config_selectorILNS1_17partition_subalgoE5ElNS0_10empty_typeEbEEZZNS1_14partition_implILS5_5ELb0ES3_mN6hipcub16HIPCUB_304000_NS21CountingInputIteratorIllEEPS6_NSA_22TransformInputIteratorIb7NonZeroIdEPdlEENS0_5tupleIJPlS6_EEENSJ_IJSD_SD_EEES6_SK_JS6_EEE10hipError_tPvRmT3_T4_T5_T6_T7_T9_mT8_P12ihipStream_tbDpT10_ENKUlT_T0_E_clISt17integral_constantIbLb1EES16_EEDaS11_S12_EUlS11_E_NS1_11comp_targetILNS1_3genE5ELNS1_11target_archE942ELNS1_3gpuE9ELNS1_3repE0EEENS1_30default_config_static_selectorELNS0_4arch9wavefront6targetE0EEEvT1_
                                        ; -- End function
	.section	.AMDGPU.csdata,"",@progbits
; Kernel info:
; codeLenInByte = 0
; NumSgprs: 0
; NumVgprs: 0
; ScratchSize: 0
; MemoryBound: 0
; FloatMode: 240
; IeeeMode: 1
; LDSByteSize: 0 bytes/workgroup (compile time only)
; SGPRBlocks: 0
; VGPRBlocks: 0
; NumSGPRsForWavesPerEU: 1
; NumVGPRsForWavesPerEU: 1
; Occupancy: 16
; WaveLimiterHint : 0
; COMPUTE_PGM_RSRC2:SCRATCH_EN: 0
; COMPUTE_PGM_RSRC2:USER_SGPR: 15
; COMPUTE_PGM_RSRC2:TRAP_HANDLER: 0
; COMPUTE_PGM_RSRC2:TGID_X_EN: 1
; COMPUTE_PGM_RSRC2:TGID_Y_EN: 0
; COMPUTE_PGM_RSRC2:TGID_Z_EN: 0
; COMPUTE_PGM_RSRC2:TIDIG_COMP_CNT: 0
	.section	.text._ZN7rocprim17ROCPRIM_400000_NS6detail17trampoline_kernelINS0_14default_configENS1_25partition_config_selectorILNS1_17partition_subalgoE5ElNS0_10empty_typeEbEEZZNS1_14partition_implILS5_5ELb0ES3_mN6hipcub16HIPCUB_304000_NS21CountingInputIteratorIllEEPS6_NSA_22TransformInputIteratorIb7NonZeroIdEPdlEENS0_5tupleIJPlS6_EEENSJ_IJSD_SD_EEES6_SK_JS6_EEE10hipError_tPvRmT3_T4_T5_T6_T7_T9_mT8_P12ihipStream_tbDpT10_ENKUlT_T0_E_clISt17integral_constantIbLb1EES16_EEDaS11_S12_EUlS11_E_NS1_11comp_targetILNS1_3genE4ELNS1_11target_archE910ELNS1_3gpuE8ELNS1_3repE0EEENS1_30default_config_static_selectorELNS0_4arch9wavefront6targetE0EEEvT1_,"axG",@progbits,_ZN7rocprim17ROCPRIM_400000_NS6detail17trampoline_kernelINS0_14default_configENS1_25partition_config_selectorILNS1_17partition_subalgoE5ElNS0_10empty_typeEbEEZZNS1_14partition_implILS5_5ELb0ES3_mN6hipcub16HIPCUB_304000_NS21CountingInputIteratorIllEEPS6_NSA_22TransformInputIteratorIb7NonZeroIdEPdlEENS0_5tupleIJPlS6_EEENSJ_IJSD_SD_EEES6_SK_JS6_EEE10hipError_tPvRmT3_T4_T5_T6_T7_T9_mT8_P12ihipStream_tbDpT10_ENKUlT_T0_E_clISt17integral_constantIbLb1EES16_EEDaS11_S12_EUlS11_E_NS1_11comp_targetILNS1_3genE4ELNS1_11target_archE910ELNS1_3gpuE8ELNS1_3repE0EEENS1_30default_config_static_selectorELNS0_4arch9wavefront6targetE0EEEvT1_,comdat
	.protected	_ZN7rocprim17ROCPRIM_400000_NS6detail17trampoline_kernelINS0_14default_configENS1_25partition_config_selectorILNS1_17partition_subalgoE5ElNS0_10empty_typeEbEEZZNS1_14partition_implILS5_5ELb0ES3_mN6hipcub16HIPCUB_304000_NS21CountingInputIteratorIllEEPS6_NSA_22TransformInputIteratorIb7NonZeroIdEPdlEENS0_5tupleIJPlS6_EEENSJ_IJSD_SD_EEES6_SK_JS6_EEE10hipError_tPvRmT3_T4_T5_T6_T7_T9_mT8_P12ihipStream_tbDpT10_ENKUlT_T0_E_clISt17integral_constantIbLb1EES16_EEDaS11_S12_EUlS11_E_NS1_11comp_targetILNS1_3genE4ELNS1_11target_archE910ELNS1_3gpuE8ELNS1_3repE0EEENS1_30default_config_static_selectorELNS0_4arch9wavefront6targetE0EEEvT1_ ; -- Begin function _ZN7rocprim17ROCPRIM_400000_NS6detail17trampoline_kernelINS0_14default_configENS1_25partition_config_selectorILNS1_17partition_subalgoE5ElNS0_10empty_typeEbEEZZNS1_14partition_implILS5_5ELb0ES3_mN6hipcub16HIPCUB_304000_NS21CountingInputIteratorIllEEPS6_NSA_22TransformInputIteratorIb7NonZeroIdEPdlEENS0_5tupleIJPlS6_EEENSJ_IJSD_SD_EEES6_SK_JS6_EEE10hipError_tPvRmT3_T4_T5_T6_T7_T9_mT8_P12ihipStream_tbDpT10_ENKUlT_T0_E_clISt17integral_constantIbLb1EES16_EEDaS11_S12_EUlS11_E_NS1_11comp_targetILNS1_3genE4ELNS1_11target_archE910ELNS1_3gpuE8ELNS1_3repE0EEENS1_30default_config_static_selectorELNS0_4arch9wavefront6targetE0EEEvT1_
	.globl	_ZN7rocprim17ROCPRIM_400000_NS6detail17trampoline_kernelINS0_14default_configENS1_25partition_config_selectorILNS1_17partition_subalgoE5ElNS0_10empty_typeEbEEZZNS1_14partition_implILS5_5ELb0ES3_mN6hipcub16HIPCUB_304000_NS21CountingInputIteratorIllEEPS6_NSA_22TransformInputIteratorIb7NonZeroIdEPdlEENS0_5tupleIJPlS6_EEENSJ_IJSD_SD_EEES6_SK_JS6_EEE10hipError_tPvRmT3_T4_T5_T6_T7_T9_mT8_P12ihipStream_tbDpT10_ENKUlT_T0_E_clISt17integral_constantIbLb1EES16_EEDaS11_S12_EUlS11_E_NS1_11comp_targetILNS1_3genE4ELNS1_11target_archE910ELNS1_3gpuE8ELNS1_3repE0EEENS1_30default_config_static_selectorELNS0_4arch9wavefront6targetE0EEEvT1_
	.p2align	8
	.type	_ZN7rocprim17ROCPRIM_400000_NS6detail17trampoline_kernelINS0_14default_configENS1_25partition_config_selectorILNS1_17partition_subalgoE5ElNS0_10empty_typeEbEEZZNS1_14partition_implILS5_5ELb0ES3_mN6hipcub16HIPCUB_304000_NS21CountingInputIteratorIllEEPS6_NSA_22TransformInputIteratorIb7NonZeroIdEPdlEENS0_5tupleIJPlS6_EEENSJ_IJSD_SD_EEES6_SK_JS6_EEE10hipError_tPvRmT3_T4_T5_T6_T7_T9_mT8_P12ihipStream_tbDpT10_ENKUlT_T0_E_clISt17integral_constantIbLb1EES16_EEDaS11_S12_EUlS11_E_NS1_11comp_targetILNS1_3genE4ELNS1_11target_archE910ELNS1_3gpuE8ELNS1_3repE0EEENS1_30default_config_static_selectorELNS0_4arch9wavefront6targetE0EEEvT1_,@function
_ZN7rocprim17ROCPRIM_400000_NS6detail17trampoline_kernelINS0_14default_configENS1_25partition_config_selectorILNS1_17partition_subalgoE5ElNS0_10empty_typeEbEEZZNS1_14partition_implILS5_5ELb0ES3_mN6hipcub16HIPCUB_304000_NS21CountingInputIteratorIllEEPS6_NSA_22TransformInputIteratorIb7NonZeroIdEPdlEENS0_5tupleIJPlS6_EEENSJ_IJSD_SD_EEES6_SK_JS6_EEE10hipError_tPvRmT3_T4_T5_T6_T7_T9_mT8_P12ihipStream_tbDpT10_ENKUlT_T0_E_clISt17integral_constantIbLb1EES16_EEDaS11_S12_EUlS11_E_NS1_11comp_targetILNS1_3genE4ELNS1_11target_archE910ELNS1_3gpuE8ELNS1_3repE0EEENS1_30default_config_static_selectorELNS0_4arch9wavefront6targetE0EEEvT1_: ; @_ZN7rocprim17ROCPRIM_400000_NS6detail17trampoline_kernelINS0_14default_configENS1_25partition_config_selectorILNS1_17partition_subalgoE5ElNS0_10empty_typeEbEEZZNS1_14partition_implILS5_5ELb0ES3_mN6hipcub16HIPCUB_304000_NS21CountingInputIteratorIllEEPS6_NSA_22TransformInputIteratorIb7NonZeroIdEPdlEENS0_5tupleIJPlS6_EEENSJ_IJSD_SD_EEES6_SK_JS6_EEE10hipError_tPvRmT3_T4_T5_T6_T7_T9_mT8_P12ihipStream_tbDpT10_ENKUlT_T0_E_clISt17integral_constantIbLb1EES16_EEDaS11_S12_EUlS11_E_NS1_11comp_targetILNS1_3genE4ELNS1_11target_archE910ELNS1_3gpuE8ELNS1_3repE0EEENS1_30default_config_static_selectorELNS0_4arch9wavefront6targetE0EEEvT1_
; %bb.0:
	.section	.rodata,"a",@progbits
	.p2align	6, 0x0
	.amdhsa_kernel _ZN7rocprim17ROCPRIM_400000_NS6detail17trampoline_kernelINS0_14default_configENS1_25partition_config_selectorILNS1_17partition_subalgoE5ElNS0_10empty_typeEbEEZZNS1_14partition_implILS5_5ELb0ES3_mN6hipcub16HIPCUB_304000_NS21CountingInputIteratorIllEEPS6_NSA_22TransformInputIteratorIb7NonZeroIdEPdlEENS0_5tupleIJPlS6_EEENSJ_IJSD_SD_EEES6_SK_JS6_EEE10hipError_tPvRmT3_T4_T5_T6_T7_T9_mT8_P12ihipStream_tbDpT10_ENKUlT_T0_E_clISt17integral_constantIbLb1EES16_EEDaS11_S12_EUlS11_E_NS1_11comp_targetILNS1_3genE4ELNS1_11target_archE910ELNS1_3gpuE8ELNS1_3repE0EEENS1_30default_config_static_selectorELNS0_4arch9wavefront6targetE0EEEvT1_
		.amdhsa_group_segment_fixed_size 0
		.amdhsa_private_segment_fixed_size 0
		.amdhsa_kernarg_size 136
		.amdhsa_user_sgpr_count 15
		.amdhsa_user_sgpr_dispatch_ptr 0
		.amdhsa_user_sgpr_queue_ptr 0
		.amdhsa_user_sgpr_kernarg_segment_ptr 1
		.amdhsa_user_sgpr_dispatch_id 0
		.amdhsa_user_sgpr_private_segment_size 0
		.amdhsa_wavefront_size32 1
		.amdhsa_uses_dynamic_stack 0
		.amdhsa_enable_private_segment 0
		.amdhsa_system_sgpr_workgroup_id_x 1
		.amdhsa_system_sgpr_workgroup_id_y 0
		.amdhsa_system_sgpr_workgroup_id_z 0
		.amdhsa_system_sgpr_workgroup_info 0
		.amdhsa_system_vgpr_workitem_id 0
		.amdhsa_next_free_vgpr 1
		.amdhsa_next_free_sgpr 1
		.amdhsa_reserve_vcc 0
		.amdhsa_float_round_mode_32 0
		.amdhsa_float_round_mode_16_64 0
		.amdhsa_float_denorm_mode_32 3
		.amdhsa_float_denorm_mode_16_64 3
		.amdhsa_dx10_clamp 1
		.amdhsa_ieee_mode 1
		.amdhsa_fp16_overflow 0
		.amdhsa_workgroup_processor_mode 1
		.amdhsa_memory_ordered 1
		.amdhsa_forward_progress 0
		.amdhsa_shared_vgpr_count 0
		.amdhsa_exception_fp_ieee_invalid_op 0
		.amdhsa_exception_fp_denorm_src 0
		.amdhsa_exception_fp_ieee_div_zero 0
		.amdhsa_exception_fp_ieee_overflow 0
		.amdhsa_exception_fp_ieee_underflow 0
		.amdhsa_exception_fp_ieee_inexact 0
		.amdhsa_exception_int_div_zero 0
	.end_amdhsa_kernel
	.section	.text._ZN7rocprim17ROCPRIM_400000_NS6detail17trampoline_kernelINS0_14default_configENS1_25partition_config_selectorILNS1_17partition_subalgoE5ElNS0_10empty_typeEbEEZZNS1_14partition_implILS5_5ELb0ES3_mN6hipcub16HIPCUB_304000_NS21CountingInputIteratorIllEEPS6_NSA_22TransformInputIteratorIb7NonZeroIdEPdlEENS0_5tupleIJPlS6_EEENSJ_IJSD_SD_EEES6_SK_JS6_EEE10hipError_tPvRmT3_T4_T5_T6_T7_T9_mT8_P12ihipStream_tbDpT10_ENKUlT_T0_E_clISt17integral_constantIbLb1EES16_EEDaS11_S12_EUlS11_E_NS1_11comp_targetILNS1_3genE4ELNS1_11target_archE910ELNS1_3gpuE8ELNS1_3repE0EEENS1_30default_config_static_selectorELNS0_4arch9wavefront6targetE0EEEvT1_,"axG",@progbits,_ZN7rocprim17ROCPRIM_400000_NS6detail17trampoline_kernelINS0_14default_configENS1_25partition_config_selectorILNS1_17partition_subalgoE5ElNS0_10empty_typeEbEEZZNS1_14partition_implILS5_5ELb0ES3_mN6hipcub16HIPCUB_304000_NS21CountingInputIteratorIllEEPS6_NSA_22TransformInputIteratorIb7NonZeroIdEPdlEENS0_5tupleIJPlS6_EEENSJ_IJSD_SD_EEES6_SK_JS6_EEE10hipError_tPvRmT3_T4_T5_T6_T7_T9_mT8_P12ihipStream_tbDpT10_ENKUlT_T0_E_clISt17integral_constantIbLb1EES16_EEDaS11_S12_EUlS11_E_NS1_11comp_targetILNS1_3genE4ELNS1_11target_archE910ELNS1_3gpuE8ELNS1_3repE0EEENS1_30default_config_static_selectorELNS0_4arch9wavefront6targetE0EEEvT1_,comdat
.Lfunc_end331:
	.size	_ZN7rocprim17ROCPRIM_400000_NS6detail17trampoline_kernelINS0_14default_configENS1_25partition_config_selectorILNS1_17partition_subalgoE5ElNS0_10empty_typeEbEEZZNS1_14partition_implILS5_5ELb0ES3_mN6hipcub16HIPCUB_304000_NS21CountingInputIteratorIllEEPS6_NSA_22TransformInputIteratorIb7NonZeroIdEPdlEENS0_5tupleIJPlS6_EEENSJ_IJSD_SD_EEES6_SK_JS6_EEE10hipError_tPvRmT3_T4_T5_T6_T7_T9_mT8_P12ihipStream_tbDpT10_ENKUlT_T0_E_clISt17integral_constantIbLb1EES16_EEDaS11_S12_EUlS11_E_NS1_11comp_targetILNS1_3genE4ELNS1_11target_archE910ELNS1_3gpuE8ELNS1_3repE0EEENS1_30default_config_static_selectorELNS0_4arch9wavefront6targetE0EEEvT1_, .Lfunc_end331-_ZN7rocprim17ROCPRIM_400000_NS6detail17trampoline_kernelINS0_14default_configENS1_25partition_config_selectorILNS1_17partition_subalgoE5ElNS0_10empty_typeEbEEZZNS1_14partition_implILS5_5ELb0ES3_mN6hipcub16HIPCUB_304000_NS21CountingInputIteratorIllEEPS6_NSA_22TransformInputIteratorIb7NonZeroIdEPdlEENS0_5tupleIJPlS6_EEENSJ_IJSD_SD_EEES6_SK_JS6_EEE10hipError_tPvRmT3_T4_T5_T6_T7_T9_mT8_P12ihipStream_tbDpT10_ENKUlT_T0_E_clISt17integral_constantIbLb1EES16_EEDaS11_S12_EUlS11_E_NS1_11comp_targetILNS1_3genE4ELNS1_11target_archE910ELNS1_3gpuE8ELNS1_3repE0EEENS1_30default_config_static_selectorELNS0_4arch9wavefront6targetE0EEEvT1_
                                        ; -- End function
	.section	.AMDGPU.csdata,"",@progbits
; Kernel info:
; codeLenInByte = 0
; NumSgprs: 0
; NumVgprs: 0
; ScratchSize: 0
; MemoryBound: 0
; FloatMode: 240
; IeeeMode: 1
; LDSByteSize: 0 bytes/workgroup (compile time only)
; SGPRBlocks: 0
; VGPRBlocks: 0
; NumSGPRsForWavesPerEU: 1
; NumVGPRsForWavesPerEU: 1
; Occupancy: 15
; WaveLimiterHint : 0
; COMPUTE_PGM_RSRC2:SCRATCH_EN: 0
; COMPUTE_PGM_RSRC2:USER_SGPR: 15
; COMPUTE_PGM_RSRC2:TRAP_HANDLER: 0
; COMPUTE_PGM_RSRC2:TGID_X_EN: 1
; COMPUTE_PGM_RSRC2:TGID_Y_EN: 0
; COMPUTE_PGM_RSRC2:TGID_Z_EN: 0
; COMPUTE_PGM_RSRC2:TIDIG_COMP_CNT: 0
	.section	.text._ZN7rocprim17ROCPRIM_400000_NS6detail17trampoline_kernelINS0_14default_configENS1_25partition_config_selectorILNS1_17partition_subalgoE5ElNS0_10empty_typeEbEEZZNS1_14partition_implILS5_5ELb0ES3_mN6hipcub16HIPCUB_304000_NS21CountingInputIteratorIllEEPS6_NSA_22TransformInputIteratorIb7NonZeroIdEPdlEENS0_5tupleIJPlS6_EEENSJ_IJSD_SD_EEES6_SK_JS6_EEE10hipError_tPvRmT3_T4_T5_T6_T7_T9_mT8_P12ihipStream_tbDpT10_ENKUlT_T0_E_clISt17integral_constantIbLb1EES16_EEDaS11_S12_EUlS11_E_NS1_11comp_targetILNS1_3genE3ELNS1_11target_archE908ELNS1_3gpuE7ELNS1_3repE0EEENS1_30default_config_static_selectorELNS0_4arch9wavefront6targetE0EEEvT1_,"axG",@progbits,_ZN7rocprim17ROCPRIM_400000_NS6detail17trampoline_kernelINS0_14default_configENS1_25partition_config_selectorILNS1_17partition_subalgoE5ElNS0_10empty_typeEbEEZZNS1_14partition_implILS5_5ELb0ES3_mN6hipcub16HIPCUB_304000_NS21CountingInputIteratorIllEEPS6_NSA_22TransformInputIteratorIb7NonZeroIdEPdlEENS0_5tupleIJPlS6_EEENSJ_IJSD_SD_EEES6_SK_JS6_EEE10hipError_tPvRmT3_T4_T5_T6_T7_T9_mT8_P12ihipStream_tbDpT10_ENKUlT_T0_E_clISt17integral_constantIbLb1EES16_EEDaS11_S12_EUlS11_E_NS1_11comp_targetILNS1_3genE3ELNS1_11target_archE908ELNS1_3gpuE7ELNS1_3repE0EEENS1_30default_config_static_selectorELNS0_4arch9wavefront6targetE0EEEvT1_,comdat
	.protected	_ZN7rocprim17ROCPRIM_400000_NS6detail17trampoline_kernelINS0_14default_configENS1_25partition_config_selectorILNS1_17partition_subalgoE5ElNS0_10empty_typeEbEEZZNS1_14partition_implILS5_5ELb0ES3_mN6hipcub16HIPCUB_304000_NS21CountingInputIteratorIllEEPS6_NSA_22TransformInputIteratorIb7NonZeroIdEPdlEENS0_5tupleIJPlS6_EEENSJ_IJSD_SD_EEES6_SK_JS6_EEE10hipError_tPvRmT3_T4_T5_T6_T7_T9_mT8_P12ihipStream_tbDpT10_ENKUlT_T0_E_clISt17integral_constantIbLb1EES16_EEDaS11_S12_EUlS11_E_NS1_11comp_targetILNS1_3genE3ELNS1_11target_archE908ELNS1_3gpuE7ELNS1_3repE0EEENS1_30default_config_static_selectorELNS0_4arch9wavefront6targetE0EEEvT1_ ; -- Begin function _ZN7rocprim17ROCPRIM_400000_NS6detail17trampoline_kernelINS0_14default_configENS1_25partition_config_selectorILNS1_17partition_subalgoE5ElNS0_10empty_typeEbEEZZNS1_14partition_implILS5_5ELb0ES3_mN6hipcub16HIPCUB_304000_NS21CountingInputIteratorIllEEPS6_NSA_22TransformInputIteratorIb7NonZeroIdEPdlEENS0_5tupleIJPlS6_EEENSJ_IJSD_SD_EEES6_SK_JS6_EEE10hipError_tPvRmT3_T4_T5_T6_T7_T9_mT8_P12ihipStream_tbDpT10_ENKUlT_T0_E_clISt17integral_constantIbLb1EES16_EEDaS11_S12_EUlS11_E_NS1_11comp_targetILNS1_3genE3ELNS1_11target_archE908ELNS1_3gpuE7ELNS1_3repE0EEENS1_30default_config_static_selectorELNS0_4arch9wavefront6targetE0EEEvT1_
	.globl	_ZN7rocprim17ROCPRIM_400000_NS6detail17trampoline_kernelINS0_14default_configENS1_25partition_config_selectorILNS1_17partition_subalgoE5ElNS0_10empty_typeEbEEZZNS1_14partition_implILS5_5ELb0ES3_mN6hipcub16HIPCUB_304000_NS21CountingInputIteratorIllEEPS6_NSA_22TransformInputIteratorIb7NonZeroIdEPdlEENS0_5tupleIJPlS6_EEENSJ_IJSD_SD_EEES6_SK_JS6_EEE10hipError_tPvRmT3_T4_T5_T6_T7_T9_mT8_P12ihipStream_tbDpT10_ENKUlT_T0_E_clISt17integral_constantIbLb1EES16_EEDaS11_S12_EUlS11_E_NS1_11comp_targetILNS1_3genE3ELNS1_11target_archE908ELNS1_3gpuE7ELNS1_3repE0EEENS1_30default_config_static_selectorELNS0_4arch9wavefront6targetE0EEEvT1_
	.p2align	8
	.type	_ZN7rocprim17ROCPRIM_400000_NS6detail17trampoline_kernelINS0_14default_configENS1_25partition_config_selectorILNS1_17partition_subalgoE5ElNS0_10empty_typeEbEEZZNS1_14partition_implILS5_5ELb0ES3_mN6hipcub16HIPCUB_304000_NS21CountingInputIteratorIllEEPS6_NSA_22TransformInputIteratorIb7NonZeroIdEPdlEENS0_5tupleIJPlS6_EEENSJ_IJSD_SD_EEES6_SK_JS6_EEE10hipError_tPvRmT3_T4_T5_T6_T7_T9_mT8_P12ihipStream_tbDpT10_ENKUlT_T0_E_clISt17integral_constantIbLb1EES16_EEDaS11_S12_EUlS11_E_NS1_11comp_targetILNS1_3genE3ELNS1_11target_archE908ELNS1_3gpuE7ELNS1_3repE0EEENS1_30default_config_static_selectorELNS0_4arch9wavefront6targetE0EEEvT1_,@function
_ZN7rocprim17ROCPRIM_400000_NS6detail17trampoline_kernelINS0_14default_configENS1_25partition_config_selectorILNS1_17partition_subalgoE5ElNS0_10empty_typeEbEEZZNS1_14partition_implILS5_5ELb0ES3_mN6hipcub16HIPCUB_304000_NS21CountingInputIteratorIllEEPS6_NSA_22TransformInputIteratorIb7NonZeroIdEPdlEENS0_5tupleIJPlS6_EEENSJ_IJSD_SD_EEES6_SK_JS6_EEE10hipError_tPvRmT3_T4_T5_T6_T7_T9_mT8_P12ihipStream_tbDpT10_ENKUlT_T0_E_clISt17integral_constantIbLb1EES16_EEDaS11_S12_EUlS11_E_NS1_11comp_targetILNS1_3genE3ELNS1_11target_archE908ELNS1_3gpuE7ELNS1_3repE0EEENS1_30default_config_static_selectorELNS0_4arch9wavefront6targetE0EEEvT1_: ; @_ZN7rocprim17ROCPRIM_400000_NS6detail17trampoline_kernelINS0_14default_configENS1_25partition_config_selectorILNS1_17partition_subalgoE5ElNS0_10empty_typeEbEEZZNS1_14partition_implILS5_5ELb0ES3_mN6hipcub16HIPCUB_304000_NS21CountingInputIteratorIllEEPS6_NSA_22TransformInputIteratorIb7NonZeroIdEPdlEENS0_5tupleIJPlS6_EEENSJ_IJSD_SD_EEES6_SK_JS6_EEE10hipError_tPvRmT3_T4_T5_T6_T7_T9_mT8_P12ihipStream_tbDpT10_ENKUlT_T0_E_clISt17integral_constantIbLb1EES16_EEDaS11_S12_EUlS11_E_NS1_11comp_targetILNS1_3genE3ELNS1_11target_archE908ELNS1_3gpuE7ELNS1_3repE0EEENS1_30default_config_static_selectorELNS0_4arch9wavefront6targetE0EEEvT1_
; %bb.0:
	.section	.rodata,"a",@progbits
	.p2align	6, 0x0
	.amdhsa_kernel _ZN7rocprim17ROCPRIM_400000_NS6detail17trampoline_kernelINS0_14default_configENS1_25partition_config_selectorILNS1_17partition_subalgoE5ElNS0_10empty_typeEbEEZZNS1_14partition_implILS5_5ELb0ES3_mN6hipcub16HIPCUB_304000_NS21CountingInputIteratorIllEEPS6_NSA_22TransformInputIteratorIb7NonZeroIdEPdlEENS0_5tupleIJPlS6_EEENSJ_IJSD_SD_EEES6_SK_JS6_EEE10hipError_tPvRmT3_T4_T5_T6_T7_T9_mT8_P12ihipStream_tbDpT10_ENKUlT_T0_E_clISt17integral_constantIbLb1EES16_EEDaS11_S12_EUlS11_E_NS1_11comp_targetILNS1_3genE3ELNS1_11target_archE908ELNS1_3gpuE7ELNS1_3repE0EEENS1_30default_config_static_selectorELNS0_4arch9wavefront6targetE0EEEvT1_
		.amdhsa_group_segment_fixed_size 0
		.amdhsa_private_segment_fixed_size 0
		.amdhsa_kernarg_size 136
		.amdhsa_user_sgpr_count 15
		.amdhsa_user_sgpr_dispatch_ptr 0
		.amdhsa_user_sgpr_queue_ptr 0
		.amdhsa_user_sgpr_kernarg_segment_ptr 1
		.amdhsa_user_sgpr_dispatch_id 0
		.amdhsa_user_sgpr_private_segment_size 0
		.amdhsa_wavefront_size32 1
		.amdhsa_uses_dynamic_stack 0
		.amdhsa_enable_private_segment 0
		.amdhsa_system_sgpr_workgroup_id_x 1
		.amdhsa_system_sgpr_workgroup_id_y 0
		.amdhsa_system_sgpr_workgroup_id_z 0
		.amdhsa_system_sgpr_workgroup_info 0
		.amdhsa_system_vgpr_workitem_id 0
		.amdhsa_next_free_vgpr 1
		.amdhsa_next_free_sgpr 1
		.amdhsa_reserve_vcc 0
		.amdhsa_float_round_mode_32 0
		.amdhsa_float_round_mode_16_64 0
		.amdhsa_float_denorm_mode_32 3
		.amdhsa_float_denorm_mode_16_64 3
		.amdhsa_dx10_clamp 1
		.amdhsa_ieee_mode 1
		.amdhsa_fp16_overflow 0
		.amdhsa_workgroup_processor_mode 1
		.amdhsa_memory_ordered 1
		.amdhsa_forward_progress 0
		.amdhsa_shared_vgpr_count 0
		.amdhsa_exception_fp_ieee_invalid_op 0
		.amdhsa_exception_fp_denorm_src 0
		.amdhsa_exception_fp_ieee_div_zero 0
		.amdhsa_exception_fp_ieee_overflow 0
		.amdhsa_exception_fp_ieee_underflow 0
		.amdhsa_exception_fp_ieee_inexact 0
		.amdhsa_exception_int_div_zero 0
	.end_amdhsa_kernel
	.section	.text._ZN7rocprim17ROCPRIM_400000_NS6detail17trampoline_kernelINS0_14default_configENS1_25partition_config_selectorILNS1_17partition_subalgoE5ElNS0_10empty_typeEbEEZZNS1_14partition_implILS5_5ELb0ES3_mN6hipcub16HIPCUB_304000_NS21CountingInputIteratorIllEEPS6_NSA_22TransformInputIteratorIb7NonZeroIdEPdlEENS0_5tupleIJPlS6_EEENSJ_IJSD_SD_EEES6_SK_JS6_EEE10hipError_tPvRmT3_T4_T5_T6_T7_T9_mT8_P12ihipStream_tbDpT10_ENKUlT_T0_E_clISt17integral_constantIbLb1EES16_EEDaS11_S12_EUlS11_E_NS1_11comp_targetILNS1_3genE3ELNS1_11target_archE908ELNS1_3gpuE7ELNS1_3repE0EEENS1_30default_config_static_selectorELNS0_4arch9wavefront6targetE0EEEvT1_,"axG",@progbits,_ZN7rocprim17ROCPRIM_400000_NS6detail17trampoline_kernelINS0_14default_configENS1_25partition_config_selectorILNS1_17partition_subalgoE5ElNS0_10empty_typeEbEEZZNS1_14partition_implILS5_5ELb0ES3_mN6hipcub16HIPCUB_304000_NS21CountingInputIteratorIllEEPS6_NSA_22TransformInputIteratorIb7NonZeroIdEPdlEENS0_5tupleIJPlS6_EEENSJ_IJSD_SD_EEES6_SK_JS6_EEE10hipError_tPvRmT3_T4_T5_T6_T7_T9_mT8_P12ihipStream_tbDpT10_ENKUlT_T0_E_clISt17integral_constantIbLb1EES16_EEDaS11_S12_EUlS11_E_NS1_11comp_targetILNS1_3genE3ELNS1_11target_archE908ELNS1_3gpuE7ELNS1_3repE0EEENS1_30default_config_static_selectorELNS0_4arch9wavefront6targetE0EEEvT1_,comdat
.Lfunc_end332:
	.size	_ZN7rocprim17ROCPRIM_400000_NS6detail17trampoline_kernelINS0_14default_configENS1_25partition_config_selectorILNS1_17partition_subalgoE5ElNS0_10empty_typeEbEEZZNS1_14partition_implILS5_5ELb0ES3_mN6hipcub16HIPCUB_304000_NS21CountingInputIteratorIllEEPS6_NSA_22TransformInputIteratorIb7NonZeroIdEPdlEENS0_5tupleIJPlS6_EEENSJ_IJSD_SD_EEES6_SK_JS6_EEE10hipError_tPvRmT3_T4_T5_T6_T7_T9_mT8_P12ihipStream_tbDpT10_ENKUlT_T0_E_clISt17integral_constantIbLb1EES16_EEDaS11_S12_EUlS11_E_NS1_11comp_targetILNS1_3genE3ELNS1_11target_archE908ELNS1_3gpuE7ELNS1_3repE0EEENS1_30default_config_static_selectorELNS0_4arch9wavefront6targetE0EEEvT1_, .Lfunc_end332-_ZN7rocprim17ROCPRIM_400000_NS6detail17trampoline_kernelINS0_14default_configENS1_25partition_config_selectorILNS1_17partition_subalgoE5ElNS0_10empty_typeEbEEZZNS1_14partition_implILS5_5ELb0ES3_mN6hipcub16HIPCUB_304000_NS21CountingInputIteratorIllEEPS6_NSA_22TransformInputIteratorIb7NonZeroIdEPdlEENS0_5tupleIJPlS6_EEENSJ_IJSD_SD_EEES6_SK_JS6_EEE10hipError_tPvRmT3_T4_T5_T6_T7_T9_mT8_P12ihipStream_tbDpT10_ENKUlT_T0_E_clISt17integral_constantIbLb1EES16_EEDaS11_S12_EUlS11_E_NS1_11comp_targetILNS1_3genE3ELNS1_11target_archE908ELNS1_3gpuE7ELNS1_3repE0EEENS1_30default_config_static_selectorELNS0_4arch9wavefront6targetE0EEEvT1_
                                        ; -- End function
	.section	.AMDGPU.csdata,"",@progbits
; Kernel info:
; codeLenInByte = 0
; NumSgprs: 0
; NumVgprs: 0
; ScratchSize: 0
; MemoryBound: 0
; FloatMode: 240
; IeeeMode: 1
; LDSByteSize: 0 bytes/workgroup (compile time only)
; SGPRBlocks: 0
; VGPRBlocks: 0
; NumSGPRsForWavesPerEU: 1
; NumVGPRsForWavesPerEU: 1
; Occupancy: 16
; WaveLimiterHint : 0
; COMPUTE_PGM_RSRC2:SCRATCH_EN: 0
; COMPUTE_PGM_RSRC2:USER_SGPR: 15
; COMPUTE_PGM_RSRC2:TRAP_HANDLER: 0
; COMPUTE_PGM_RSRC2:TGID_X_EN: 1
; COMPUTE_PGM_RSRC2:TGID_Y_EN: 0
; COMPUTE_PGM_RSRC2:TGID_Z_EN: 0
; COMPUTE_PGM_RSRC2:TIDIG_COMP_CNT: 0
	.section	.text._ZN7rocprim17ROCPRIM_400000_NS6detail17trampoline_kernelINS0_14default_configENS1_25partition_config_selectorILNS1_17partition_subalgoE5ElNS0_10empty_typeEbEEZZNS1_14partition_implILS5_5ELb0ES3_mN6hipcub16HIPCUB_304000_NS21CountingInputIteratorIllEEPS6_NSA_22TransformInputIteratorIb7NonZeroIdEPdlEENS0_5tupleIJPlS6_EEENSJ_IJSD_SD_EEES6_SK_JS6_EEE10hipError_tPvRmT3_T4_T5_T6_T7_T9_mT8_P12ihipStream_tbDpT10_ENKUlT_T0_E_clISt17integral_constantIbLb1EES16_EEDaS11_S12_EUlS11_E_NS1_11comp_targetILNS1_3genE2ELNS1_11target_archE906ELNS1_3gpuE6ELNS1_3repE0EEENS1_30default_config_static_selectorELNS0_4arch9wavefront6targetE0EEEvT1_,"axG",@progbits,_ZN7rocprim17ROCPRIM_400000_NS6detail17trampoline_kernelINS0_14default_configENS1_25partition_config_selectorILNS1_17partition_subalgoE5ElNS0_10empty_typeEbEEZZNS1_14partition_implILS5_5ELb0ES3_mN6hipcub16HIPCUB_304000_NS21CountingInputIteratorIllEEPS6_NSA_22TransformInputIteratorIb7NonZeroIdEPdlEENS0_5tupleIJPlS6_EEENSJ_IJSD_SD_EEES6_SK_JS6_EEE10hipError_tPvRmT3_T4_T5_T6_T7_T9_mT8_P12ihipStream_tbDpT10_ENKUlT_T0_E_clISt17integral_constantIbLb1EES16_EEDaS11_S12_EUlS11_E_NS1_11comp_targetILNS1_3genE2ELNS1_11target_archE906ELNS1_3gpuE6ELNS1_3repE0EEENS1_30default_config_static_selectorELNS0_4arch9wavefront6targetE0EEEvT1_,comdat
	.protected	_ZN7rocprim17ROCPRIM_400000_NS6detail17trampoline_kernelINS0_14default_configENS1_25partition_config_selectorILNS1_17partition_subalgoE5ElNS0_10empty_typeEbEEZZNS1_14partition_implILS5_5ELb0ES3_mN6hipcub16HIPCUB_304000_NS21CountingInputIteratorIllEEPS6_NSA_22TransformInputIteratorIb7NonZeroIdEPdlEENS0_5tupleIJPlS6_EEENSJ_IJSD_SD_EEES6_SK_JS6_EEE10hipError_tPvRmT3_T4_T5_T6_T7_T9_mT8_P12ihipStream_tbDpT10_ENKUlT_T0_E_clISt17integral_constantIbLb1EES16_EEDaS11_S12_EUlS11_E_NS1_11comp_targetILNS1_3genE2ELNS1_11target_archE906ELNS1_3gpuE6ELNS1_3repE0EEENS1_30default_config_static_selectorELNS0_4arch9wavefront6targetE0EEEvT1_ ; -- Begin function _ZN7rocprim17ROCPRIM_400000_NS6detail17trampoline_kernelINS0_14default_configENS1_25partition_config_selectorILNS1_17partition_subalgoE5ElNS0_10empty_typeEbEEZZNS1_14partition_implILS5_5ELb0ES3_mN6hipcub16HIPCUB_304000_NS21CountingInputIteratorIllEEPS6_NSA_22TransformInputIteratorIb7NonZeroIdEPdlEENS0_5tupleIJPlS6_EEENSJ_IJSD_SD_EEES6_SK_JS6_EEE10hipError_tPvRmT3_T4_T5_T6_T7_T9_mT8_P12ihipStream_tbDpT10_ENKUlT_T0_E_clISt17integral_constantIbLb1EES16_EEDaS11_S12_EUlS11_E_NS1_11comp_targetILNS1_3genE2ELNS1_11target_archE906ELNS1_3gpuE6ELNS1_3repE0EEENS1_30default_config_static_selectorELNS0_4arch9wavefront6targetE0EEEvT1_
	.globl	_ZN7rocprim17ROCPRIM_400000_NS6detail17trampoline_kernelINS0_14default_configENS1_25partition_config_selectorILNS1_17partition_subalgoE5ElNS0_10empty_typeEbEEZZNS1_14partition_implILS5_5ELb0ES3_mN6hipcub16HIPCUB_304000_NS21CountingInputIteratorIllEEPS6_NSA_22TransformInputIteratorIb7NonZeroIdEPdlEENS0_5tupleIJPlS6_EEENSJ_IJSD_SD_EEES6_SK_JS6_EEE10hipError_tPvRmT3_T4_T5_T6_T7_T9_mT8_P12ihipStream_tbDpT10_ENKUlT_T0_E_clISt17integral_constantIbLb1EES16_EEDaS11_S12_EUlS11_E_NS1_11comp_targetILNS1_3genE2ELNS1_11target_archE906ELNS1_3gpuE6ELNS1_3repE0EEENS1_30default_config_static_selectorELNS0_4arch9wavefront6targetE0EEEvT1_
	.p2align	8
	.type	_ZN7rocprim17ROCPRIM_400000_NS6detail17trampoline_kernelINS0_14default_configENS1_25partition_config_selectorILNS1_17partition_subalgoE5ElNS0_10empty_typeEbEEZZNS1_14partition_implILS5_5ELb0ES3_mN6hipcub16HIPCUB_304000_NS21CountingInputIteratorIllEEPS6_NSA_22TransformInputIteratorIb7NonZeroIdEPdlEENS0_5tupleIJPlS6_EEENSJ_IJSD_SD_EEES6_SK_JS6_EEE10hipError_tPvRmT3_T4_T5_T6_T7_T9_mT8_P12ihipStream_tbDpT10_ENKUlT_T0_E_clISt17integral_constantIbLb1EES16_EEDaS11_S12_EUlS11_E_NS1_11comp_targetILNS1_3genE2ELNS1_11target_archE906ELNS1_3gpuE6ELNS1_3repE0EEENS1_30default_config_static_selectorELNS0_4arch9wavefront6targetE0EEEvT1_,@function
_ZN7rocprim17ROCPRIM_400000_NS6detail17trampoline_kernelINS0_14default_configENS1_25partition_config_selectorILNS1_17partition_subalgoE5ElNS0_10empty_typeEbEEZZNS1_14partition_implILS5_5ELb0ES3_mN6hipcub16HIPCUB_304000_NS21CountingInputIteratorIllEEPS6_NSA_22TransformInputIteratorIb7NonZeroIdEPdlEENS0_5tupleIJPlS6_EEENSJ_IJSD_SD_EEES6_SK_JS6_EEE10hipError_tPvRmT3_T4_T5_T6_T7_T9_mT8_P12ihipStream_tbDpT10_ENKUlT_T0_E_clISt17integral_constantIbLb1EES16_EEDaS11_S12_EUlS11_E_NS1_11comp_targetILNS1_3genE2ELNS1_11target_archE906ELNS1_3gpuE6ELNS1_3repE0EEENS1_30default_config_static_selectorELNS0_4arch9wavefront6targetE0EEEvT1_: ; @_ZN7rocprim17ROCPRIM_400000_NS6detail17trampoline_kernelINS0_14default_configENS1_25partition_config_selectorILNS1_17partition_subalgoE5ElNS0_10empty_typeEbEEZZNS1_14partition_implILS5_5ELb0ES3_mN6hipcub16HIPCUB_304000_NS21CountingInputIteratorIllEEPS6_NSA_22TransformInputIteratorIb7NonZeroIdEPdlEENS0_5tupleIJPlS6_EEENSJ_IJSD_SD_EEES6_SK_JS6_EEE10hipError_tPvRmT3_T4_T5_T6_T7_T9_mT8_P12ihipStream_tbDpT10_ENKUlT_T0_E_clISt17integral_constantIbLb1EES16_EEDaS11_S12_EUlS11_E_NS1_11comp_targetILNS1_3genE2ELNS1_11target_archE906ELNS1_3gpuE6ELNS1_3repE0EEENS1_30default_config_static_selectorELNS0_4arch9wavefront6targetE0EEEvT1_
; %bb.0:
	.section	.rodata,"a",@progbits
	.p2align	6, 0x0
	.amdhsa_kernel _ZN7rocprim17ROCPRIM_400000_NS6detail17trampoline_kernelINS0_14default_configENS1_25partition_config_selectorILNS1_17partition_subalgoE5ElNS0_10empty_typeEbEEZZNS1_14partition_implILS5_5ELb0ES3_mN6hipcub16HIPCUB_304000_NS21CountingInputIteratorIllEEPS6_NSA_22TransformInputIteratorIb7NonZeroIdEPdlEENS0_5tupleIJPlS6_EEENSJ_IJSD_SD_EEES6_SK_JS6_EEE10hipError_tPvRmT3_T4_T5_T6_T7_T9_mT8_P12ihipStream_tbDpT10_ENKUlT_T0_E_clISt17integral_constantIbLb1EES16_EEDaS11_S12_EUlS11_E_NS1_11comp_targetILNS1_3genE2ELNS1_11target_archE906ELNS1_3gpuE6ELNS1_3repE0EEENS1_30default_config_static_selectorELNS0_4arch9wavefront6targetE0EEEvT1_
		.amdhsa_group_segment_fixed_size 0
		.amdhsa_private_segment_fixed_size 0
		.amdhsa_kernarg_size 136
		.amdhsa_user_sgpr_count 15
		.amdhsa_user_sgpr_dispatch_ptr 0
		.amdhsa_user_sgpr_queue_ptr 0
		.amdhsa_user_sgpr_kernarg_segment_ptr 1
		.amdhsa_user_sgpr_dispatch_id 0
		.amdhsa_user_sgpr_private_segment_size 0
		.amdhsa_wavefront_size32 1
		.amdhsa_uses_dynamic_stack 0
		.amdhsa_enable_private_segment 0
		.amdhsa_system_sgpr_workgroup_id_x 1
		.amdhsa_system_sgpr_workgroup_id_y 0
		.amdhsa_system_sgpr_workgroup_id_z 0
		.amdhsa_system_sgpr_workgroup_info 0
		.amdhsa_system_vgpr_workitem_id 0
		.amdhsa_next_free_vgpr 1
		.amdhsa_next_free_sgpr 1
		.amdhsa_reserve_vcc 0
		.amdhsa_float_round_mode_32 0
		.amdhsa_float_round_mode_16_64 0
		.amdhsa_float_denorm_mode_32 3
		.amdhsa_float_denorm_mode_16_64 3
		.amdhsa_dx10_clamp 1
		.amdhsa_ieee_mode 1
		.amdhsa_fp16_overflow 0
		.amdhsa_workgroup_processor_mode 1
		.amdhsa_memory_ordered 1
		.amdhsa_forward_progress 0
		.amdhsa_shared_vgpr_count 0
		.amdhsa_exception_fp_ieee_invalid_op 0
		.amdhsa_exception_fp_denorm_src 0
		.amdhsa_exception_fp_ieee_div_zero 0
		.amdhsa_exception_fp_ieee_overflow 0
		.amdhsa_exception_fp_ieee_underflow 0
		.amdhsa_exception_fp_ieee_inexact 0
		.amdhsa_exception_int_div_zero 0
	.end_amdhsa_kernel
	.section	.text._ZN7rocprim17ROCPRIM_400000_NS6detail17trampoline_kernelINS0_14default_configENS1_25partition_config_selectorILNS1_17partition_subalgoE5ElNS0_10empty_typeEbEEZZNS1_14partition_implILS5_5ELb0ES3_mN6hipcub16HIPCUB_304000_NS21CountingInputIteratorIllEEPS6_NSA_22TransformInputIteratorIb7NonZeroIdEPdlEENS0_5tupleIJPlS6_EEENSJ_IJSD_SD_EEES6_SK_JS6_EEE10hipError_tPvRmT3_T4_T5_T6_T7_T9_mT8_P12ihipStream_tbDpT10_ENKUlT_T0_E_clISt17integral_constantIbLb1EES16_EEDaS11_S12_EUlS11_E_NS1_11comp_targetILNS1_3genE2ELNS1_11target_archE906ELNS1_3gpuE6ELNS1_3repE0EEENS1_30default_config_static_selectorELNS0_4arch9wavefront6targetE0EEEvT1_,"axG",@progbits,_ZN7rocprim17ROCPRIM_400000_NS6detail17trampoline_kernelINS0_14default_configENS1_25partition_config_selectorILNS1_17partition_subalgoE5ElNS0_10empty_typeEbEEZZNS1_14partition_implILS5_5ELb0ES3_mN6hipcub16HIPCUB_304000_NS21CountingInputIteratorIllEEPS6_NSA_22TransformInputIteratorIb7NonZeroIdEPdlEENS0_5tupleIJPlS6_EEENSJ_IJSD_SD_EEES6_SK_JS6_EEE10hipError_tPvRmT3_T4_T5_T6_T7_T9_mT8_P12ihipStream_tbDpT10_ENKUlT_T0_E_clISt17integral_constantIbLb1EES16_EEDaS11_S12_EUlS11_E_NS1_11comp_targetILNS1_3genE2ELNS1_11target_archE906ELNS1_3gpuE6ELNS1_3repE0EEENS1_30default_config_static_selectorELNS0_4arch9wavefront6targetE0EEEvT1_,comdat
.Lfunc_end333:
	.size	_ZN7rocprim17ROCPRIM_400000_NS6detail17trampoline_kernelINS0_14default_configENS1_25partition_config_selectorILNS1_17partition_subalgoE5ElNS0_10empty_typeEbEEZZNS1_14partition_implILS5_5ELb0ES3_mN6hipcub16HIPCUB_304000_NS21CountingInputIteratorIllEEPS6_NSA_22TransformInputIteratorIb7NonZeroIdEPdlEENS0_5tupleIJPlS6_EEENSJ_IJSD_SD_EEES6_SK_JS6_EEE10hipError_tPvRmT3_T4_T5_T6_T7_T9_mT8_P12ihipStream_tbDpT10_ENKUlT_T0_E_clISt17integral_constantIbLb1EES16_EEDaS11_S12_EUlS11_E_NS1_11comp_targetILNS1_3genE2ELNS1_11target_archE906ELNS1_3gpuE6ELNS1_3repE0EEENS1_30default_config_static_selectorELNS0_4arch9wavefront6targetE0EEEvT1_, .Lfunc_end333-_ZN7rocprim17ROCPRIM_400000_NS6detail17trampoline_kernelINS0_14default_configENS1_25partition_config_selectorILNS1_17partition_subalgoE5ElNS0_10empty_typeEbEEZZNS1_14partition_implILS5_5ELb0ES3_mN6hipcub16HIPCUB_304000_NS21CountingInputIteratorIllEEPS6_NSA_22TransformInputIteratorIb7NonZeroIdEPdlEENS0_5tupleIJPlS6_EEENSJ_IJSD_SD_EEES6_SK_JS6_EEE10hipError_tPvRmT3_T4_T5_T6_T7_T9_mT8_P12ihipStream_tbDpT10_ENKUlT_T0_E_clISt17integral_constantIbLb1EES16_EEDaS11_S12_EUlS11_E_NS1_11comp_targetILNS1_3genE2ELNS1_11target_archE906ELNS1_3gpuE6ELNS1_3repE0EEENS1_30default_config_static_selectorELNS0_4arch9wavefront6targetE0EEEvT1_
                                        ; -- End function
	.section	.AMDGPU.csdata,"",@progbits
; Kernel info:
; codeLenInByte = 0
; NumSgprs: 0
; NumVgprs: 0
; ScratchSize: 0
; MemoryBound: 0
; FloatMode: 240
; IeeeMode: 1
; LDSByteSize: 0 bytes/workgroup (compile time only)
; SGPRBlocks: 0
; VGPRBlocks: 0
; NumSGPRsForWavesPerEU: 1
; NumVGPRsForWavesPerEU: 1
; Occupancy: 16
; WaveLimiterHint : 0
; COMPUTE_PGM_RSRC2:SCRATCH_EN: 0
; COMPUTE_PGM_RSRC2:USER_SGPR: 15
; COMPUTE_PGM_RSRC2:TRAP_HANDLER: 0
; COMPUTE_PGM_RSRC2:TGID_X_EN: 1
; COMPUTE_PGM_RSRC2:TGID_Y_EN: 0
; COMPUTE_PGM_RSRC2:TGID_Z_EN: 0
; COMPUTE_PGM_RSRC2:TIDIG_COMP_CNT: 0
	.section	.text._ZN7rocprim17ROCPRIM_400000_NS6detail17trampoline_kernelINS0_14default_configENS1_25partition_config_selectorILNS1_17partition_subalgoE5ElNS0_10empty_typeEbEEZZNS1_14partition_implILS5_5ELb0ES3_mN6hipcub16HIPCUB_304000_NS21CountingInputIteratorIllEEPS6_NSA_22TransformInputIteratorIb7NonZeroIdEPdlEENS0_5tupleIJPlS6_EEENSJ_IJSD_SD_EEES6_SK_JS6_EEE10hipError_tPvRmT3_T4_T5_T6_T7_T9_mT8_P12ihipStream_tbDpT10_ENKUlT_T0_E_clISt17integral_constantIbLb1EES16_EEDaS11_S12_EUlS11_E_NS1_11comp_targetILNS1_3genE10ELNS1_11target_archE1200ELNS1_3gpuE4ELNS1_3repE0EEENS1_30default_config_static_selectorELNS0_4arch9wavefront6targetE0EEEvT1_,"axG",@progbits,_ZN7rocprim17ROCPRIM_400000_NS6detail17trampoline_kernelINS0_14default_configENS1_25partition_config_selectorILNS1_17partition_subalgoE5ElNS0_10empty_typeEbEEZZNS1_14partition_implILS5_5ELb0ES3_mN6hipcub16HIPCUB_304000_NS21CountingInputIteratorIllEEPS6_NSA_22TransformInputIteratorIb7NonZeroIdEPdlEENS0_5tupleIJPlS6_EEENSJ_IJSD_SD_EEES6_SK_JS6_EEE10hipError_tPvRmT3_T4_T5_T6_T7_T9_mT8_P12ihipStream_tbDpT10_ENKUlT_T0_E_clISt17integral_constantIbLb1EES16_EEDaS11_S12_EUlS11_E_NS1_11comp_targetILNS1_3genE10ELNS1_11target_archE1200ELNS1_3gpuE4ELNS1_3repE0EEENS1_30default_config_static_selectorELNS0_4arch9wavefront6targetE0EEEvT1_,comdat
	.protected	_ZN7rocprim17ROCPRIM_400000_NS6detail17trampoline_kernelINS0_14default_configENS1_25partition_config_selectorILNS1_17partition_subalgoE5ElNS0_10empty_typeEbEEZZNS1_14partition_implILS5_5ELb0ES3_mN6hipcub16HIPCUB_304000_NS21CountingInputIteratorIllEEPS6_NSA_22TransformInputIteratorIb7NonZeroIdEPdlEENS0_5tupleIJPlS6_EEENSJ_IJSD_SD_EEES6_SK_JS6_EEE10hipError_tPvRmT3_T4_T5_T6_T7_T9_mT8_P12ihipStream_tbDpT10_ENKUlT_T0_E_clISt17integral_constantIbLb1EES16_EEDaS11_S12_EUlS11_E_NS1_11comp_targetILNS1_3genE10ELNS1_11target_archE1200ELNS1_3gpuE4ELNS1_3repE0EEENS1_30default_config_static_selectorELNS0_4arch9wavefront6targetE0EEEvT1_ ; -- Begin function _ZN7rocprim17ROCPRIM_400000_NS6detail17trampoline_kernelINS0_14default_configENS1_25partition_config_selectorILNS1_17partition_subalgoE5ElNS0_10empty_typeEbEEZZNS1_14partition_implILS5_5ELb0ES3_mN6hipcub16HIPCUB_304000_NS21CountingInputIteratorIllEEPS6_NSA_22TransformInputIteratorIb7NonZeroIdEPdlEENS0_5tupleIJPlS6_EEENSJ_IJSD_SD_EEES6_SK_JS6_EEE10hipError_tPvRmT3_T4_T5_T6_T7_T9_mT8_P12ihipStream_tbDpT10_ENKUlT_T0_E_clISt17integral_constantIbLb1EES16_EEDaS11_S12_EUlS11_E_NS1_11comp_targetILNS1_3genE10ELNS1_11target_archE1200ELNS1_3gpuE4ELNS1_3repE0EEENS1_30default_config_static_selectorELNS0_4arch9wavefront6targetE0EEEvT1_
	.globl	_ZN7rocprim17ROCPRIM_400000_NS6detail17trampoline_kernelINS0_14default_configENS1_25partition_config_selectorILNS1_17partition_subalgoE5ElNS0_10empty_typeEbEEZZNS1_14partition_implILS5_5ELb0ES3_mN6hipcub16HIPCUB_304000_NS21CountingInputIteratorIllEEPS6_NSA_22TransformInputIteratorIb7NonZeroIdEPdlEENS0_5tupleIJPlS6_EEENSJ_IJSD_SD_EEES6_SK_JS6_EEE10hipError_tPvRmT3_T4_T5_T6_T7_T9_mT8_P12ihipStream_tbDpT10_ENKUlT_T0_E_clISt17integral_constantIbLb1EES16_EEDaS11_S12_EUlS11_E_NS1_11comp_targetILNS1_3genE10ELNS1_11target_archE1200ELNS1_3gpuE4ELNS1_3repE0EEENS1_30default_config_static_selectorELNS0_4arch9wavefront6targetE0EEEvT1_
	.p2align	8
	.type	_ZN7rocprim17ROCPRIM_400000_NS6detail17trampoline_kernelINS0_14default_configENS1_25partition_config_selectorILNS1_17partition_subalgoE5ElNS0_10empty_typeEbEEZZNS1_14partition_implILS5_5ELb0ES3_mN6hipcub16HIPCUB_304000_NS21CountingInputIteratorIllEEPS6_NSA_22TransformInputIteratorIb7NonZeroIdEPdlEENS0_5tupleIJPlS6_EEENSJ_IJSD_SD_EEES6_SK_JS6_EEE10hipError_tPvRmT3_T4_T5_T6_T7_T9_mT8_P12ihipStream_tbDpT10_ENKUlT_T0_E_clISt17integral_constantIbLb1EES16_EEDaS11_S12_EUlS11_E_NS1_11comp_targetILNS1_3genE10ELNS1_11target_archE1200ELNS1_3gpuE4ELNS1_3repE0EEENS1_30default_config_static_selectorELNS0_4arch9wavefront6targetE0EEEvT1_,@function
_ZN7rocprim17ROCPRIM_400000_NS6detail17trampoline_kernelINS0_14default_configENS1_25partition_config_selectorILNS1_17partition_subalgoE5ElNS0_10empty_typeEbEEZZNS1_14partition_implILS5_5ELb0ES3_mN6hipcub16HIPCUB_304000_NS21CountingInputIteratorIllEEPS6_NSA_22TransformInputIteratorIb7NonZeroIdEPdlEENS0_5tupleIJPlS6_EEENSJ_IJSD_SD_EEES6_SK_JS6_EEE10hipError_tPvRmT3_T4_T5_T6_T7_T9_mT8_P12ihipStream_tbDpT10_ENKUlT_T0_E_clISt17integral_constantIbLb1EES16_EEDaS11_S12_EUlS11_E_NS1_11comp_targetILNS1_3genE10ELNS1_11target_archE1200ELNS1_3gpuE4ELNS1_3repE0EEENS1_30default_config_static_selectorELNS0_4arch9wavefront6targetE0EEEvT1_: ; @_ZN7rocprim17ROCPRIM_400000_NS6detail17trampoline_kernelINS0_14default_configENS1_25partition_config_selectorILNS1_17partition_subalgoE5ElNS0_10empty_typeEbEEZZNS1_14partition_implILS5_5ELb0ES3_mN6hipcub16HIPCUB_304000_NS21CountingInputIteratorIllEEPS6_NSA_22TransformInputIteratorIb7NonZeroIdEPdlEENS0_5tupleIJPlS6_EEENSJ_IJSD_SD_EEES6_SK_JS6_EEE10hipError_tPvRmT3_T4_T5_T6_T7_T9_mT8_P12ihipStream_tbDpT10_ENKUlT_T0_E_clISt17integral_constantIbLb1EES16_EEDaS11_S12_EUlS11_E_NS1_11comp_targetILNS1_3genE10ELNS1_11target_archE1200ELNS1_3gpuE4ELNS1_3repE0EEENS1_30default_config_static_selectorELNS0_4arch9wavefront6targetE0EEEvT1_
; %bb.0:
	.section	.rodata,"a",@progbits
	.p2align	6, 0x0
	.amdhsa_kernel _ZN7rocprim17ROCPRIM_400000_NS6detail17trampoline_kernelINS0_14default_configENS1_25partition_config_selectorILNS1_17partition_subalgoE5ElNS0_10empty_typeEbEEZZNS1_14partition_implILS5_5ELb0ES3_mN6hipcub16HIPCUB_304000_NS21CountingInputIteratorIllEEPS6_NSA_22TransformInputIteratorIb7NonZeroIdEPdlEENS0_5tupleIJPlS6_EEENSJ_IJSD_SD_EEES6_SK_JS6_EEE10hipError_tPvRmT3_T4_T5_T6_T7_T9_mT8_P12ihipStream_tbDpT10_ENKUlT_T0_E_clISt17integral_constantIbLb1EES16_EEDaS11_S12_EUlS11_E_NS1_11comp_targetILNS1_3genE10ELNS1_11target_archE1200ELNS1_3gpuE4ELNS1_3repE0EEENS1_30default_config_static_selectorELNS0_4arch9wavefront6targetE0EEEvT1_
		.amdhsa_group_segment_fixed_size 0
		.amdhsa_private_segment_fixed_size 0
		.amdhsa_kernarg_size 136
		.amdhsa_user_sgpr_count 15
		.amdhsa_user_sgpr_dispatch_ptr 0
		.amdhsa_user_sgpr_queue_ptr 0
		.amdhsa_user_sgpr_kernarg_segment_ptr 1
		.amdhsa_user_sgpr_dispatch_id 0
		.amdhsa_user_sgpr_private_segment_size 0
		.amdhsa_wavefront_size32 1
		.amdhsa_uses_dynamic_stack 0
		.amdhsa_enable_private_segment 0
		.amdhsa_system_sgpr_workgroup_id_x 1
		.amdhsa_system_sgpr_workgroup_id_y 0
		.amdhsa_system_sgpr_workgroup_id_z 0
		.amdhsa_system_sgpr_workgroup_info 0
		.amdhsa_system_vgpr_workitem_id 0
		.amdhsa_next_free_vgpr 1
		.amdhsa_next_free_sgpr 1
		.amdhsa_reserve_vcc 0
		.amdhsa_float_round_mode_32 0
		.amdhsa_float_round_mode_16_64 0
		.amdhsa_float_denorm_mode_32 3
		.amdhsa_float_denorm_mode_16_64 3
		.amdhsa_dx10_clamp 1
		.amdhsa_ieee_mode 1
		.amdhsa_fp16_overflow 0
		.amdhsa_workgroup_processor_mode 1
		.amdhsa_memory_ordered 1
		.amdhsa_forward_progress 0
		.amdhsa_shared_vgpr_count 0
		.amdhsa_exception_fp_ieee_invalid_op 0
		.amdhsa_exception_fp_denorm_src 0
		.amdhsa_exception_fp_ieee_div_zero 0
		.amdhsa_exception_fp_ieee_overflow 0
		.amdhsa_exception_fp_ieee_underflow 0
		.amdhsa_exception_fp_ieee_inexact 0
		.amdhsa_exception_int_div_zero 0
	.end_amdhsa_kernel
	.section	.text._ZN7rocprim17ROCPRIM_400000_NS6detail17trampoline_kernelINS0_14default_configENS1_25partition_config_selectorILNS1_17partition_subalgoE5ElNS0_10empty_typeEbEEZZNS1_14partition_implILS5_5ELb0ES3_mN6hipcub16HIPCUB_304000_NS21CountingInputIteratorIllEEPS6_NSA_22TransformInputIteratorIb7NonZeroIdEPdlEENS0_5tupleIJPlS6_EEENSJ_IJSD_SD_EEES6_SK_JS6_EEE10hipError_tPvRmT3_T4_T5_T6_T7_T9_mT8_P12ihipStream_tbDpT10_ENKUlT_T0_E_clISt17integral_constantIbLb1EES16_EEDaS11_S12_EUlS11_E_NS1_11comp_targetILNS1_3genE10ELNS1_11target_archE1200ELNS1_3gpuE4ELNS1_3repE0EEENS1_30default_config_static_selectorELNS0_4arch9wavefront6targetE0EEEvT1_,"axG",@progbits,_ZN7rocprim17ROCPRIM_400000_NS6detail17trampoline_kernelINS0_14default_configENS1_25partition_config_selectorILNS1_17partition_subalgoE5ElNS0_10empty_typeEbEEZZNS1_14partition_implILS5_5ELb0ES3_mN6hipcub16HIPCUB_304000_NS21CountingInputIteratorIllEEPS6_NSA_22TransformInputIteratorIb7NonZeroIdEPdlEENS0_5tupleIJPlS6_EEENSJ_IJSD_SD_EEES6_SK_JS6_EEE10hipError_tPvRmT3_T4_T5_T6_T7_T9_mT8_P12ihipStream_tbDpT10_ENKUlT_T0_E_clISt17integral_constantIbLb1EES16_EEDaS11_S12_EUlS11_E_NS1_11comp_targetILNS1_3genE10ELNS1_11target_archE1200ELNS1_3gpuE4ELNS1_3repE0EEENS1_30default_config_static_selectorELNS0_4arch9wavefront6targetE0EEEvT1_,comdat
.Lfunc_end334:
	.size	_ZN7rocprim17ROCPRIM_400000_NS6detail17trampoline_kernelINS0_14default_configENS1_25partition_config_selectorILNS1_17partition_subalgoE5ElNS0_10empty_typeEbEEZZNS1_14partition_implILS5_5ELb0ES3_mN6hipcub16HIPCUB_304000_NS21CountingInputIteratorIllEEPS6_NSA_22TransformInputIteratorIb7NonZeroIdEPdlEENS0_5tupleIJPlS6_EEENSJ_IJSD_SD_EEES6_SK_JS6_EEE10hipError_tPvRmT3_T4_T5_T6_T7_T9_mT8_P12ihipStream_tbDpT10_ENKUlT_T0_E_clISt17integral_constantIbLb1EES16_EEDaS11_S12_EUlS11_E_NS1_11comp_targetILNS1_3genE10ELNS1_11target_archE1200ELNS1_3gpuE4ELNS1_3repE0EEENS1_30default_config_static_selectorELNS0_4arch9wavefront6targetE0EEEvT1_, .Lfunc_end334-_ZN7rocprim17ROCPRIM_400000_NS6detail17trampoline_kernelINS0_14default_configENS1_25partition_config_selectorILNS1_17partition_subalgoE5ElNS0_10empty_typeEbEEZZNS1_14partition_implILS5_5ELb0ES3_mN6hipcub16HIPCUB_304000_NS21CountingInputIteratorIllEEPS6_NSA_22TransformInputIteratorIb7NonZeroIdEPdlEENS0_5tupleIJPlS6_EEENSJ_IJSD_SD_EEES6_SK_JS6_EEE10hipError_tPvRmT3_T4_T5_T6_T7_T9_mT8_P12ihipStream_tbDpT10_ENKUlT_T0_E_clISt17integral_constantIbLb1EES16_EEDaS11_S12_EUlS11_E_NS1_11comp_targetILNS1_3genE10ELNS1_11target_archE1200ELNS1_3gpuE4ELNS1_3repE0EEENS1_30default_config_static_selectorELNS0_4arch9wavefront6targetE0EEEvT1_
                                        ; -- End function
	.section	.AMDGPU.csdata,"",@progbits
; Kernel info:
; codeLenInByte = 0
; NumSgprs: 0
; NumVgprs: 0
; ScratchSize: 0
; MemoryBound: 0
; FloatMode: 240
; IeeeMode: 1
; LDSByteSize: 0 bytes/workgroup (compile time only)
; SGPRBlocks: 0
; VGPRBlocks: 0
; NumSGPRsForWavesPerEU: 1
; NumVGPRsForWavesPerEU: 1
; Occupancy: 16
; WaveLimiterHint : 0
; COMPUTE_PGM_RSRC2:SCRATCH_EN: 0
; COMPUTE_PGM_RSRC2:USER_SGPR: 15
; COMPUTE_PGM_RSRC2:TRAP_HANDLER: 0
; COMPUTE_PGM_RSRC2:TGID_X_EN: 1
; COMPUTE_PGM_RSRC2:TGID_Y_EN: 0
; COMPUTE_PGM_RSRC2:TGID_Z_EN: 0
; COMPUTE_PGM_RSRC2:TIDIG_COMP_CNT: 0
	.section	.text._ZN7rocprim17ROCPRIM_400000_NS6detail17trampoline_kernelINS0_14default_configENS1_25partition_config_selectorILNS1_17partition_subalgoE5ElNS0_10empty_typeEbEEZZNS1_14partition_implILS5_5ELb0ES3_mN6hipcub16HIPCUB_304000_NS21CountingInputIteratorIllEEPS6_NSA_22TransformInputIteratorIb7NonZeroIdEPdlEENS0_5tupleIJPlS6_EEENSJ_IJSD_SD_EEES6_SK_JS6_EEE10hipError_tPvRmT3_T4_T5_T6_T7_T9_mT8_P12ihipStream_tbDpT10_ENKUlT_T0_E_clISt17integral_constantIbLb1EES16_EEDaS11_S12_EUlS11_E_NS1_11comp_targetILNS1_3genE9ELNS1_11target_archE1100ELNS1_3gpuE3ELNS1_3repE0EEENS1_30default_config_static_selectorELNS0_4arch9wavefront6targetE0EEEvT1_,"axG",@progbits,_ZN7rocprim17ROCPRIM_400000_NS6detail17trampoline_kernelINS0_14default_configENS1_25partition_config_selectorILNS1_17partition_subalgoE5ElNS0_10empty_typeEbEEZZNS1_14partition_implILS5_5ELb0ES3_mN6hipcub16HIPCUB_304000_NS21CountingInputIteratorIllEEPS6_NSA_22TransformInputIteratorIb7NonZeroIdEPdlEENS0_5tupleIJPlS6_EEENSJ_IJSD_SD_EEES6_SK_JS6_EEE10hipError_tPvRmT3_T4_T5_T6_T7_T9_mT8_P12ihipStream_tbDpT10_ENKUlT_T0_E_clISt17integral_constantIbLb1EES16_EEDaS11_S12_EUlS11_E_NS1_11comp_targetILNS1_3genE9ELNS1_11target_archE1100ELNS1_3gpuE3ELNS1_3repE0EEENS1_30default_config_static_selectorELNS0_4arch9wavefront6targetE0EEEvT1_,comdat
	.protected	_ZN7rocprim17ROCPRIM_400000_NS6detail17trampoline_kernelINS0_14default_configENS1_25partition_config_selectorILNS1_17partition_subalgoE5ElNS0_10empty_typeEbEEZZNS1_14partition_implILS5_5ELb0ES3_mN6hipcub16HIPCUB_304000_NS21CountingInputIteratorIllEEPS6_NSA_22TransformInputIteratorIb7NonZeroIdEPdlEENS0_5tupleIJPlS6_EEENSJ_IJSD_SD_EEES6_SK_JS6_EEE10hipError_tPvRmT3_T4_T5_T6_T7_T9_mT8_P12ihipStream_tbDpT10_ENKUlT_T0_E_clISt17integral_constantIbLb1EES16_EEDaS11_S12_EUlS11_E_NS1_11comp_targetILNS1_3genE9ELNS1_11target_archE1100ELNS1_3gpuE3ELNS1_3repE0EEENS1_30default_config_static_selectorELNS0_4arch9wavefront6targetE0EEEvT1_ ; -- Begin function _ZN7rocprim17ROCPRIM_400000_NS6detail17trampoline_kernelINS0_14default_configENS1_25partition_config_selectorILNS1_17partition_subalgoE5ElNS0_10empty_typeEbEEZZNS1_14partition_implILS5_5ELb0ES3_mN6hipcub16HIPCUB_304000_NS21CountingInputIteratorIllEEPS6_NSA_22TransformInputIteratorIb7NonZeroIdEPdlEENS0_5tupleIJPlS6_EEENSJ_IJSD_SD_EEES6_SK_JS6_EEE10hipError_tPvRmT3_T4_T5_T6_T7_T9_mT8_P12ihipStream_tbDpT10_ENKUlT_T0_E_clISt17integral_constantIbLb1EES16_EEDaS11_S12_EUlS11_E_NS1_11comp_targetILNS1_3genE9ELNS1_11target_archE1100ELNS1_3gpuE3ELNS1_3repE0EEENS1_30default_config_static_selectorELNS0_4arch9wavefront6targetE0EEEvT1_
	.globl	_ZN7rocprim17ROCPRIM_400000_NS6detail17trampoline_kernelINS0_14default_configENS1_25partition_config_selectorILNS1_17partition_subalgoE5ElNS0_10empty_typeEbEEZZNS1_14partition_implILS5_5ELb0ES3_mN6hipcub16HIPCUB_304000_NS21CountingInputIteratorIllEEPS6_NSA_22TransformInputIteratorIb7NonZeroIdEPdlEENS0_5tupleIJPlS6_EEENSJ_IJSD_SD_EEES6_SK_JS6_EEE10hipError_tPvRmT3_T4_T5_T6_T7_T9_mT8_P12ihipStream_tbDpT10_ENKUlT_T0_E_clISt17integral_constantIbLb1EES16_EEDaS11_S12_EUlS11_E_NS1_11comp_targetILNS1_3genE9ELNS1_11target_archE1100ELNS1_3gpuE3ELNS1_3repE0EEENS1_30default_config_static_selectorELNS0_4arch9wavefront6targetE0EEEvT1_
	.p2align	8
	.type	_ZN7rocprim17ROCPRIM_400000_NS6detail17trampoline_kernelINS0_14default_configENS1_25partition_config_selectorILNS1_17partition_subalgoE5ElNS0_10empty_typeEbEEZZNS1_14partition_implILS5_5ELb0ES3_mN6hipcub16HIPCUB_304000_NS21CountingInputIteratorIllEEPS6_NSA_22TransformInputIteratorIb7NonZeroIdEPdlEENS0_5tupleIJPlS6_EEENSJ_IJSD_SD_EEES6_SK_JS6_EEE10hipError_tPvRmT3_T4_T5_T6_T7_T9_mT8_P12ihipStream_tbDpT10_ENKUlT_T0_E_clISt17integral_constantIbLb1EES16_EEDaS11_S12_EUlS11_E_NS1_11comp_targetILNS1_3genE9ELNS1_11target_archE1100ELNS1_3gpuE3ELNS1_3repE0EEENS1_30default_config_static_selectorELNS0_4arch9wavefront6targetE0EEEvT1_,@function
_ZN7rocprim17ROCPRIM_400000_NS6detail17trampoline_kernelINS0_14default_configENS1_25partition_config_selectorILNS1_17partition_subalgoE5ElNS0_10empty_typeEbEEZZNS1_14partition_implILS5_5ELb0ES3_mN6hipcub16HIPCUB_304000_NS21CountingInputIteratorIllEEPS6_NSA_22TransformInputIteratorIb7NonZeroIdEPdlEENS0_5tupleIJPlS6_EEENSJ_IJSD_SD_EEES6_SK_JS6_EEE10hipError_tPvRmT3_T4_T5_T6_T7_T9_mT8_P12ihipStream_tbDpT10_ENKUlT_T0_E_clISt17integral_constantIbLb1EES16_EEDaS11_S12_EUlS11_E_NS1_11comp_targetILNS1_3genE9ELNS1_11target_archE1100ELNS1_3gpuE3ELNS1_3repE0EEENS1_30default_config_static_selectorELNS0_4arch9wavefront6targetE0EEEvT1_: ; @_ZN7rocprim17ROCPRIM_400000_NS6detail17trampoline_kernelINS0_14default_configENS1_25partition_config_selectorILNS1_17partition_subalgoE5ElNS0_10empty_typeEbEEZZNS1_14partition_implILS5_5ELb0ES3_mN6hipcub16HIPCUB_304000_NS21CountingInputIteratorIllEEPS6_NSA_22TransformInputIteratorIb7NonZeroIdEPdlEENS0_5tupleIJPlS6_EEENSJ_IJSD_SD_EEES6_SK_JS6_EEE10hipError_tPvRmT3_T4_T5_T6_T7_T9_mT8_P12ihipStream_tbDpT10_ENKUlT_T0_E_clISt17integral_constantIbLb1EES16_EEDaS11_S12_EUlS11_E_NS1_11comp_targetILNS1_3genE9ELNS1_11target_archE1100ELNS1_3gpuE3ELNS1_3repE0EEENS1_30default_config_static_selectorELNS0_4arch9wavefront6targetE0EEEvT1_
; %bb.0:
	s_clause 0x4
	s_load_b64 s[18:19], s[0:1], 0x20
	s_load_b64 s[12:13], s[0:1], 0x30
	;; [unrolled: 1-line block ×3, first 2 shown]
	s_load_b128 s[4:7], s[0:1], 0x48
	s_load_b64 s[14:15], s[0:1], 0x68
	v_cmp_eq_u32_e64 s2, 0, v0
	s_delay_alu instid0(VALU_DEP_1)
	s_and_saveexec_b32 s3, s2
	s_cbranch_execz .LBB335_4
; %bb.1:
	s_mov_b32 s9, exec_lo
	s_mov_b32 s8, exec_lo
	v_mbcnt_lo_u32_b32 v1, s9, 0
                                        ; implicit-def: $vgpr2
	s_delay_alu instid0(VALU_DEP_1)
	v_cmpx_eq_u32_e32 0, v1
	s_cbranch_execz .LBB335_3
; %bb.2:
	s_load_b64 s[10:11], s[0:1], 0x78
	s_bcnt1_i32_b32 s9, s9
	s_delay_alu instid0(SALU_CYCLE_1)
	v_dual_mov_b32 v2, 0 :: v_dual_mov_b32 v3, s9
	s_waitcnt lgkmcnt(0)
	global_atomic_add_u32 v2, v2, v3, s[10:11] glc
.LBB335_3:
	s_or_b32 exec_lo, exec_lo, s8
	s_waitcnt vmcnt(0)
	v_readfirstlane_b32 s8, v2
	s_delay_alu instid0(VALU_DEP_1)
	v_dual_mov_b32 v2, 0 :: v_dual_add_nc_u32 v1, s8, v1
	ds_store_b32 v2, v1
.LBB335_4:
	s_or_b32 exec_lo, exec_lo, s3
	v_mov_b32_e32 v1, 0
	s_clause 0x1
	s_load_b128 s[8:11], s[0:1], 0x8
	s_load_b32 s0, s[0:1], 0x70
	s_waitcnt lgkmcnt(0)
	s_barrier
	buffer_gl0_inv
	ds_load_b32 v3, v1
	s_waitcnt lgkmcnt(0)
	s_barrier
	buffer_gl0_inv
	global_load_b64 v[1:2], v1, s[6:7]
	s_add_u32 s21, s10, s8
	s_mul_i32 s20, s0, 0x300
	s_addc_u32 s22, s11, s9
	s_add_i32 s3, s0, -1
	s_add_u32 s0, s10, s20
	v_readfirstlane_b32 s9, v3
	s_addc_u32 s1, s11, 0
	s_delay_alu instid0(SALU_CYCLE_1) | instskip(SKIP_1) | instid1(VALU_DEP_2)
	v_cmp_ge_u64_e64 s0, s[0:1], s[16:17]
	s_mov_b32 s17, -1
	s_cmp_eq_u32 s9, s3
	s_cselect_b32 s3, -1, 0
	s_delay_alu instid0(VALU_DEP_1) | instid1(SALU_CYCLE_1)
	s_and_b32 s1, s0, s3
	s_mul_i32 s0, s9, 0x300
	s_xor_b32 s8, s1, -1
	s_mov_b32 s1, 0
	s_and_b32 vcc_lo, exec_lo, s8
	s_waitcnt vmcnt(0)
	v_readfirstlane_b32 s6, v1
	v_readfirstlane_b32 s7, v2
	s_cbranch_vccz .LBB335_6
; %bb.5:
	s_add_u32 s17, s0, s21
	s_addc_u32 s23, 0, s22
	v_add_co_u32 v1, s17, s17, v0
	s_delay_alu instid0(VALU_DEP_1) | instskip(SKIP_1) | instid1(VALU_DEP_3)
	v_add_co_ci_u32_e64 v2, null, s23, 0, s17
	v_lshlrev_b32_e32 v13, 3, v0
	v_add_co_u32 v3, vcc_lo, 0x80, v1
	s_delay_alu instid0(VALU_DEP_3)
	v_add_co_ci_u32_e32 v4, vcc_lo, 0, v2, vcc_lo
	v_add_co_u32 v5, vcc_lo, 0x100, v1
	v_add_co_ci_u32_e32 v6, vcc_lo, 0, v2, vcc_lo
	v_add_co_u32 v7, vcc_lo, 0x180, v1
	;; [unrolled: 2-line block ×4, first 2 shown]
	v_add_co_ci_u32_e32 v12, vcc_lo, 0, v2, vcc_lo
	ds_store_2addr_stride64_b64 v13, v[1:2], v[3:4] offset1:2
	ds_store_2addr_stride64_b64 v13, v[5:6], v[7:8] offset0:4 offset1:6
	ds_store_2addr_stride64_b64 v13, v[9:10], v[11:12] offset0:8 offset1:10
	s_waitcnt lgkmcnt(0)
	s_mov_b32 s17, s1
	s_barrier
.LBB335_6:
	v_or_b32_e32 v17, 0x100, v0
	v_or_b32_e32 v16, 0x180, v0
	;; [unrolled: 1-line block ×4, first 2 shown]
	s_and_not1_b32 vcc_lo, exec_lo, s17
	s_cbranch_vccnz .LBB335_8
; %bb.7:
	v_or_b32_e32 v3, 0x80, v0
	s_add_u32 s17, s21, s0
	s_addc_u32 s21, s22, 0
	v_add_co_u32 v1, s22, s17, v0
	s_delay_alu instid0(VALU_DEP_1) | instskip(SKIP_1) | instid1(VALU_DEP_1)
	v_add_co_ci_u32_e64 v2, null, s21, 0, s22
	v_add_co_u32 v3, s22, s17, v3
	v_add_co_ci_u32_e64 v4, null, s21, 0, s22
	v_add_co_u32 v5, s22, s17, v17
	s_delay_alu instid0(VALU_DEP_1) | instskip(SKIP_1) | instid1(VALU_DEP_1)
	v_add_co_ci_u32_e64 v6, null, s21, 0, s22
	v_add_co_u32 v7, s22, s17, v16
	v_add_co_ci_u32_e64 v8, null, s21, 0, s22
	v_add_co_u32 v9, s22, s17, v14
	v_lshlrev_b32_e32 v15, 3, v0
	v_add_co_u32 v11, s17, s17, v13
	v_add_co_ci_u32_e64 v10, null, s21, 0, s22
	v_add_co_ci_u32_e64 v12, null, s21, 0, s17
	ds_store_2addr_stride64_b64 v15, v[1:2], v[3:4] offset1:2
	ds_store_2addr_stride64_b64 v15, v[5:6], v[7:8] offset0:4 offset1:6
	ds_store_2addr_stride64_b64 v15, v[9:10], v[11:12] offset0:8 offset1:10
	s_waitcnt lgkmcnt(0)
	s_barrier
.LBB335_8:
	v_mul_u32_u24_e32 v1, 6, v0
	buffer_gl0_inv
	s_lshl_b64 s[22:23], s[10:11], 3
	s_delay_alu instid0(SALU_CYCLE_1)
	s_add_u32 s11, s18, s22
	v_lshlrev_b32_e32 v15, 3, v1
	s_addc_u32 s17, s19, s23
	s_lshl_b64 s[0:1], s[0:1], 3
	ds_load_b128 v[9:12], v15
	ds_load_b128 v[5:8], v15 offset:16
	ds_load_b128 v[1:4], v15 offset:32
	s_add_u32 s0, s11, s0
	s_addc_u32 s1, s17, s1
	s_and_b32 vcc_lo, exec_lo, s8
	s_mov_b32 s11, -1
	s_waitcnt lgkmcnt(0)
	s_barrier
	buffer_gl0_inv
	s_cbranch_vccz .LBB335_10
; %bb.9:
	v_lshlrev_b32_e32 v26, 3, v0
	s_clause 0x1
	global_load_b64 v[18:19], v26, s[0:1]
	global_load_b64 v[20:21], v26, s[0:1] offset:1024
	v_add_co_u32 v22, s11, s0, v26
	s_delay_alu instid0(VALU_DEP_1) | instskip(SKIP_1) | instid1(VALU_DEP_2)
	v_add_co_ci_u32_e64 v23, null, s1, 0, s11
	s_mov_b32 s11, 0
	v_add_co_u32 v22, vcc_lo, 0x1000, v22
	s_delay_alu instid0(VALU_DEP_2)
	v_add_co_ci_u32_e32 v23, vcc_lo, 0, v23, vcc_lo
	s_clause 0x3
	global_load_b64 v[24:25], v26, s[0:1] offset:2048
	global_load_b64 v[26:27], v26, s[0:1] offset:3072
	global_load_b64 v[28:29], v[22:23], off
	global_load_b64 v[22:23], v[22:23], off offset:1024
	s_waitcnt vmcnt(5)
	v_cmp_neq_f64_e32 vcc_lo, 0, v[18:19]
	v_cndmask_b32_e64 v18, 0, 1, vcc_lo
	s_waitcnt vmcnt(4)
	v_cmp_neq_f64_e32 vcc_lo, 0, v[20:21]
	v_cndmask_b32_e64 v19, 0, 1, vcc_lo
	;; [unrolled: 3-line block ×6, first 2 shown]
	ds_store_b8 v0, v18
	ds_store_b8 v0, v19 offset:128
	ds_store_b8 v0, v20 offset:256
	;; [unrolled: 1-line block ×5, first 2 shown]
	s_waitcnt lgkmcnt(0)
	s_barrier
.LBB335_10:
	s_and_not1_b32 vcc_lo, exec_lo, s11
	s_cbranch_vccnz .LBB335_24
; %bb.11:
	s_add_i32 s20, s20, s10
	v_dual_mov_b32 v18, 0 :: v_dual_mov_b32 v19, 0
	s_sub_i32 s10, s16, s20
	s_mov_b32 s11, exec_lo
	s_addk_i32 s10, 0x300
	s_delay_alu instid0(SALU_CYCLE_1)
	v_cmpx_gt_u32_e64 s10, v0
	s_cbranch_execz .LBB335_13
; %bb.12:
	v_lshlrev_b32_e32 v19, 3, v0
	global_load_b64 v[19:20], v19, s[0:1]
	s_waitcnt vmcnt(0)
	v_cmp_neq_f64_e32 vcc_lo, 0, v[19:20]
	v_cndmask_b32_e64 v19, 0, 1, vcc_lo
.LBB335_13:
	s_or_b32 exec_lo, exec_lo, s11
	v_or_b32_e32 v20, 0x80, v0
	s_mov_b32 s11, exec_lo
	s_delay_alu instid0(VALU_DEP_1)
	v_cmpx_gt_u32_e64 s10, v20
	s_cbranch_execz .LBB335_15
; %bb.14:
	v_lshlrev_b32_e32 v18, 3, v0
	global_load_b64 v[20:21], v18, s[0:1] offset:1024
	s_waitcnt vmcnt(0)
	v_cmp_neq_f64_e32 vcc_lo, 0, v[20:21]
	v_cndmask_b32_e64 v18, 0, 1, vcc_lo
.LBB335_15:
	s_or_b32 exec_lo, exec_lo, s11
	v_cmp_gt_u32_e32 vcc_lo, s10, v17
	v_dual_mov_b32 v17, 0 :: v_dual_mov_b32 v20, 0
	s_and_saveexec_b32 s11, vcc_lo
	s_cbranch_execz .LBB335_17
; %bb.16:
	v_lshlrev_b32_e32 v20, 3, v0
	global_load_b64 v[20:21], v20, s[0:1] offset:2048
	s_waitcnt vmcnt(0)
	v_cmp_neq_f64_e32 vcc_lo, 0, v[20:21]
	v_cndmask_b32_e64 v20, 0, 1, vcc_lo
.LBB335_17:
	s_or_b32 exec_lo, exec_lo, s11
	s_delay_alu instid0(SALU_CYCLE_1)
	s_mov_b32 s11, exec_lo
	v_cmpx_gt_u32_e64 s10, v16
	s_cbranch_execz .LBB335_19
; %bb.18:
	v_lshlrev_b32_e32 v16, 3, v0
	global_load_b64 v[16:17], v16, s[0:1] offset:3072
	s_waitcnt vmcnt(0)
	v_cmp_neq_f64_e32 vcc_lo, 0, v[16:17]
	v_cndmask_b32_e64 v17, 0, 1, vcc_lo
.LBB335_19:
	s_or_b32 exec_lo, exec_lo, s11
	v_dual_mov_b32 v16, 0 :: v_dual_mov_b32 v21, 0
	s_mov_b32 s11, exec_lo
	v_cmpx_gt_u32_e64 s10, v14
	s_cbranch_execz .LBB335_21
; %bb.20:
	v_lshlrev_b32_e32 v14, 3, v14
	global_load_b64 v[21:22], v14, s[0:1]
	s_waitcnt vmcnt(0)
	v_cmp_neq_f64_e32 vcc_lo, 0, v[21:22]
	v_cndmask_b32_e64 v21, 0, 1, vcc_lo
.LBB335_21:
	s_or_b32 exec_lo, exec_lo, s11
	v_cmp_gt_u32_e32 vcc_lo, s10, v13
	s_and_saveexec_b32 s10, vcc_lo
	s_cbranch_execz .LBB335_23
; %bb.22:
	v_lshlrev_b32_e32 v13, 3, v13
	global_load_b64 v[13:14], v13, s[0:1]
	s_waitcnt vmcnt(0)
	v_cmp_neq_f64_e32 vcc_lo, 0, v[13:14]
	v_cndmask_b32_e64 v16, 0, 1, vcc_lo
.LBB335_23:
	s_or_b32 exec_lo, exec_lo, s10
	ds_store_b8 v0, v19
	ds_store_b8 v0, v18 offset:128
	ds_store_b8 v0, v20 offset:256
	ds_store_b8 v0, v17 offset:384
	ds_store_b8 v0, v21 offset:512
	ds_store_b8 v0, v16 offset:640
	s_waitcnt lgkmcnt(0)
	s_barrier
.LBB335_24:
	v_mad_i32_i24 v43, 0xffffffd6, v0, v15
	buffer_gl0_inv
	v_mbcnt_lo_u32_b32 v42, -1, 0
	s_cmp_lg_u32 s9, 0
	s_mov_b32 s1, -1
	ds_load_u16 v36, v43
	ds_load_u16 v33, v43 offset:2
	ds_load_u16 v31, v43 offset:4
	v_mov_b32_e32 v14, 0
	v_and_b32_e32 v44, 15, v42
	s_waitcnt lgkmcnt(0)
	s_barrier
	buffer_gl0_inv
	v_and_b32_e32 v41, 0xff, v36
	v_lshrrev_b16 v34, 8, v36
	v_lshrrev_b16 v35, 8, v33
	v_and_b32_e32 v39, 0xff, v33
	v_lshrrev_b16 v32, 8, v31
	v_and_b32_e32 v37, 0xff, v31
	v_and_b32_e32 v40, 0xffff, v34
	;; [unrolled: 1-line block ×3, first 2 shown]
	s_delay_alu instid0(VALU_DEP_4) | instskip(NEXT) | instid1(VALU_DEP_3)
	v_and_b32_e32 v16, 0xffff, v32
	v_add_co_u32 v13, s0, v40, v41
	s_delay_alu instid0(VALU_DEP_1) | instskip(SKIP_1) | instid1(VALU_DEP_3)
	v_add_co_ci_u32_e64 v15, null, 0, 0, s0
	v_cmp_ne_u32_e64 s0, 0, v44
	v_add_co_u32 v13, vcc_lo, v13, v39
	s_delay_alu instid0(VALU_DEP_3) | instskip(NEXT) | instid1(VALU_DEP_2)
	v_add_co_ci_u32_e32 v15, vcc_lo, 0, v15, vcc_lo
	v_add_co_u32 v13, vcc_lo, v13, v38
	s_delay_alu instid0(VALU_DEP_2) | instskip(NEXT) | instid1(VALU_DEP_2)
	v_add_co_ci_u32_e32 v15, vcc_lo, 0, v15, vcc_lo
	v_add_co_u32 v13, vcc_lo, v13, v37
	s_delay_alu instid0(VALU_DEP_2) | instskip(NEXT) | instid1(VALU_DEP_2)
	v_add_co_ci_u32_e32 v15, vcc_lo, 0, v15, vcc_lo
	v_add_co_u32 v21, vcc_lo, v13, v16
	s_delay_alu instid0(VALU_DEP_2)
	v_add_co_ci_u32_e32 v22, vcc_lo, 0, v15, vcc_lo
	s_cbranch_scc0 .LBB335_93
; %bb.25:
	s_delay_alu instid0(VALU_DEP_2)
	v_mov_b32_e32 v15, v21
	v_mov_b32_dpp v13, v21 row_shr:1 row_mask:0xf bank_mask:0xf
	v_mov_b32_dpp v18, v14 row_shr:1 row_mask:0xf bank_mask:0xf
	v_dual_mov_b32 v17, v21 :: v_dual_mov_b32 v16, v22
	s_and_saveexec_b32 s1, s0
; %bb.26:
	s_delay_alu instid0(VALU_DEP_3) | instskip(SKIP_1) | instid1(VALU_DEP_2)
	v_add_co_u32 v17, vcc_lo, v21, v13
	v_add_co_ci_u32_e32 v14, vcc_lo, 0, v22, vcc_lo
	v_add_co_u32 v13, vcc_lo, 0, v17
	s_delay_alu instid0(VALU_DEP_2) | instskip(NEXT) | instid1(VALU_DEP_1)
	v_add_co_ci_u32_e32 v14, vcc_lo, v18, v14, vcc_lo
	v_dual_mov_b32 v16, v14 :: v_dual_mov_b32 v15, v13
; %bb.27:
	s_or_b32 exec_lo, exec_lo, s1
	v_mov_b32_dpp v13, v17 row_shr:2 row_mask:0xf bank_mask:0xf
	v_mov_b32_dpp v18, v14 row_shr:2 row_mask:0xf bank_mask:0xf
	s_mov_b32 s1, exec_lo
	v_cmpx_lt_u32_e32 1, v44
; %bb.28:
	s_delay_alu instid0(VALU_DEP_3) | instskip(SKIP_1) | instid1(VALU_DEP_2)
	v_add_co_u32 v17, vcc_lo, v15, v13
	v_add_co_ci_u32_e32 v14, vcc_lo, 0, v16, vcc_lo
	v_add_co_u32 v13, vcc_lo, 0, v17
	s_delay_alu instid0(VALU_DEP_2) | instskip(NEXT) | instid1(VALU_DEP_1)
	v_add_co_ci_u32_e32 v14, vcc_lo, v18, v14, vcc_lo
	v_dual_mov_b32 v16, v14 :: v_dual_mov_b32 v15, v13
; %bb.29:
	s_or_b32 exec_lo, exec_lo, s1
	v_mov_b32_dpp v13, v17 row_shr:4 row_mask:0xf bank_mask:0xf
	v_mov_b32_dpp v18, v14 row_shr:4 row_mask:0xf bank_mask:0xf
	s_mov_b32 s1, exec_lo
	v_cmpx_lt_u32_e32 3, v44
	;; [unrolled: 14-line block ×3, first 2 shown]
; %bb.32:
	s_delay_alu instid0(VALU_DEP_3) | instskip(SKIP_1) | instid1(VALU_DEP_2)
	v_add_co_u32 v17, vcc_lo, v15, v18
	v_add_co_ci_u32_e32 v14, vcc_lo, 0, v16, vcc_lo
	v_add_co_u32 v15, vcc_lo, 0, v17
	s_delay_alu instid0(VALU_DEP_2) | instskip(NEXT) | instid1(VALU_DEP_1)
	v_add_co_ci_u32_e32 v16, vcc_lo, v13, v14, vcc_lo
	v_mov_b32_e32 v14, v16
; %bb.33:
	s_or_b32 exec_lo, exec_lo, s1
	ds_swizzle_b32 v13, v17 offset:swizzle(BROADCAST,32,15)
	ds_swizzle_b32 v18, v14 offset:swizzle(BROADCAST,32,15)
	v_and_b32_e32 v19, 16, v42
	s_mov_b32 s1, exec_lo
	s_delay_alu instid0(VALU_DEP_1)
	v_cmpx_ne_u32_e32 0, v19
	s_cbranch_execz .LBB335_35
; %bb.34:
	s_waitcnt lgkmcnt(1)
	v_add_co_u32 v17, vcc_lo, v15, v13
	v_add_co_ci_u32_e32 v14, vcc_lo, 0, v16, vcc_lo
	s_delay_alu instid0(VALU_DEP_2) | instskip(SKIP_1) | instid1(VALU_DEP_2)
	v_add_co_u32 v13, vcc_lo, 0, v17
	s_waitcnt lgkmcnt(0)
	v_add_co_ci_u32_e32 v14, vcc_lo, v18, v14, vcc_lo
	s_delay_alu instid0(VALU_DEP_1)
	v_dual_mov_b32 v16, v14 :: v_dual_mov_b32 v15, v13
.LBB335_35:
	s_or_b32 exec_lo, exec_lo, s1
	s_waitcnt lgkmcnt(0)
	v_or_b32_e32 v18, 31, v0
	v_lshrrev_b32_e32 v13, 5, v0
	s_mov_b32 s1, exec_lo
	s_delay_alu instid0(VALU_DEP_2)
	v_cmpx_eq_u32_e64 v18, v0
	s_cbranch_execz .LBB335_37
; %bb.36:
	s_delay_alu instid0(VALU_DEP_2)
	v_lshlrev_b32_e32 v18, 3, v13
	ds_store_b64 v18, v[15:16]
.LBB335_37:
	s_or_b32 exec_lo, exec_lo, s1
	s_delay_alu instid0(SALU_CYCLE_1)
	s_mov_b32 s1, exec_lo
	s_waitcnt lgkmcnt(0)
	s_barrier
	buffer_gl0_inv
	v_cmpx_gt_u32_e32 4, v0
	s_cbranch_execz .LBB335_43
; %bb.38:
	v_lshlrev_b32_e32 v18, 3, v0
	s_mov_b32 s10, exec_lo
	ds_load_b64 v[15:16], v18
	s_waitcnt lgkmcnt(0)
	v_dual_mov_b32 v20, v15 :: v_dual_and_b32 v19, 3, v42
	v_mov_b32_dpp v24, v15 row_shr:1 row_mask:0xf bank_mask:0xf
	v_mov_b32_dpp v23, v16 row_shr:1 row_mask:0xf bank_mask:0xf
	s_delay_alu instid0(VALU_DEP_3)
	v_cmpx_ne_u32_e32 0, v19
; %bb.39:
	s_delay_alu instid0(VALU_DEP_3) | instskip(SKIP_1) | instid1(VALU_DEP_2)
	v_add_co_u32 v20, vcc_lo, v15, v24
	v_add_co_ci_u32_e32 v16, vcc_lo, 0, v16, vcc_lo
	v_add_co_u32 v15, vcc_lo, 0, v20
	s_delay_alu instid0(VALU_DEP_2)
	v_add_co_ci_u32_e32 v16, vcc_lo, v23, v16, vcc_lo
; %bb.40:
	s_or_b32 exec_lo, exec_lo, s10
	v_mov_b32_dpp v23, v20 row_shr:2 row_mask:0xf bank_mask:0xf
	s_delay_alu instid0(VALU_DEP_2)
	v_mov_b32_dpp v20, v16 row_shr:2 row_mask:0xf bank_mask:0xf
	s_mov_b32 s10, exec_lo
	v_cmpx_lt_u32_e32 1, v19
; %bb.41:
	s_delay_alu instid0(VALU_DEP_3) | instskip(SKIP_1) | instid1(VALU_DEP_2)
	v_add_co_u32 v15, vcc_lo, v15, v23
	v_add_co_ci_u32_e32 v16, vcc_lo, 0, v16, vcc_lo
	v_add_co_u32 v15, vcc_lo, v15, 0
	s_delay_alu instid0(VALU_DEP_2)
	v_add_co_ci_u32_e32 v16, vcc_lo, v16, v20, vcc_lo
; %bb.42:
	s_or_b32 exec_lo, exec_lo, s10
	ds_store_b64 v18, v[15:16]
.LBB335_43:
	s_or_b32 exec_lo, exec_lo, s1
	v_cmp_gt_u32_e32 vcc_lo, 32, v0
	s_mov_b32 s10, exec_lo
	s_waitcnt lgkmcnt(0)
	s_barrier
	buffer_gl0_inv
                                        ; implicit-def: $vgpr23_vgpr24
	v_cmpx_lt_u32_e32 31, v0
	s_cbranch_execz .LBB335_45
; %bb.44:
	v_lshl_add_u32 v13, v13, 3, -8
	ds_load_b64 v[23:24], v13
	s_waitcnt lgkmcnt(0)
	v_add_co_u32 v17, s1, v17, v23
	s_delay_alu instid0(VALU_DEP_1)
	v_add_co_ci_u32_e64 v14, s1, v14, v24, s1
.LBB335_45:
	s_or_b32 exec_lo, exec_lo, s10
	v_add_nc_u32_e32 v13, -1, v42
	s_delay_alu instid0(VALU_DEP_1) | instskip(NEXT) | instid1(VALU_DEP_1)
	v_cmp_gt_i32_e64 s1, 0, v13
	v_cndmask_b32_e64 v13, v13, v42, s1
	v_cmp_eq_u32_e64 s1, 0, v42
	s_delay_alu instid0(VALU_DEP_2)
	v_lshlrev_b32_e32 v13, 2, v13
	ds_bpermute_b32 v29, v13, v17
	ds_bpermute_b32 v30, v13, v14
	s_and_saveexec_b32 s10, vcc_lo
	s_cbranch_execz .LBB335_88
; %bb.46:
	v_mov_b32_e32 v16, 0
	ds_load_b64 v[13:14], v16 offset:24
	s_and_saveexec_b32 s11, s1
	s_cbranch_execz .LBB335_48
; %bb.47:
	s_add_i32 s16, s9, 32
	s_mov_b32 s17, 0
	s_delay_alu instid0(SALU_CYCLE_1) | instskip(NEXT) | instid1(SALU_CYCLE_1)
	s_lshl_b64 s[16:17], s[16:17], 4
	s_add_u32 s16, s14, s16
	s_addc_u32 s17, s15, s17
	s_delay_alu instid0(SALU_CYCLE_1)
	v_dual_mov_b32 v15, 1 :: v_dual_mov_b32 v18, s17
	v_mov_b32_e32 v17, s16
	s_waitcnt lgkmcnt(0)
	;;#ASMSTART
	global_store_dwordx4 v[17:18], v[13:16] off	
s_waitcnt vmcnt(0)
	;;#ASMEND
.LBB335_48:
	s_or_b32 exec_lo, exec_lo, s11
	v_xad_u32 v25, v42, -1, s9
	s_mov_b32 s16, 0
	s_mov_b32 s11, exec_lo
	s_delay_alu instid0(VALU_DEP_1) | instskip(NEXT) | instid1(VALU_DEP_1)
	v_add_nc_u32_e32 v15, 32, v25
	v_lshlrev_b64 v[15:16], 4, v[15:16]
	s_delay_alu instid0(VALU_DEP_1) | instskip(NEXT) | instid1(VALU_DEP_2)
	v_add_co_u32 v15, vcc_lo, s14, v15
	v_add_co_ci_u32_e32 v16, vcc_lo, s15, v16, vcc_lo
	;;#ASMSTART
	global_load_dwordx4 v[17:20], v[15:16] off glc	
s_waitcnt vmcnt(0)
	;;#ASMEND
	v_and_b32_e32 v20, 0xff, v18
	v_and_b32_e32 v26, 0xff00, v18
	;; [unrolled: 1-line block ×3, first 2 shown]
	v_or3_b32 v17, v17, 0, 0
	v_and_b32_e32 v18, 0xff000000, v18
	s_delay_alu instid0(VALU_DEP_4) | instskip(SKIP_1) | instid1(VALU_DEP_4)
	v_or3_b32 v20, 0, v20, v26
	v_and_b32_e32 v26, 0xff, v19
	v_or3_b32 v17, v17, 0, 0
	s_delay_alu instid0(VALU_DEP_3) | instskip(NEXT) | instid1(VALU_DEP_3)
	v_or3_b32 v18, v20, v27, v18
	v_cmpx_eq_u16_e32 0, v26
	s_cbranch_execz .LBB335_54
; %bb.49:
	s_mov_b32 s17, 1
	.p2align	6
.LBB335_50:                             ; =>This Loop Header: Depth=1
                                        ;     Child Loop BB335_51 Depth 2
	s_delay_alu instid0(SALU_CYCLE_1)
	s_max_u32 s18, s17, 1
.LBB335_51:                             ;   Parent Loop BB335_50 Depth=1
                                        ; =>  This Inner Loop Header: Depth=2
	s_delay_alu instid0(SALU_CYCLE_1)
	s_add_i32 s18, s18, -1
	s_sleep 1
	s_cmp_eq_u32 s18, 0
	s_cbranch_scc0 .LBB335_51
; %bb.52:                               ;   in Loop: Header=BB335_50 Depth=1
	;;#ASMSTART
	global_load_dwordx4 v[17:20], v[15:16] off glc	
s_waitcnt vmcnt(0)
	;;#ASMEND
	v_and_b32_e32 v20, 0xff, v19
	s_cmp_lt_u32 s17, 32
	s_cselect_b32 s18, -1, 0
	s_delay_alu instid0(SALU_CYCLE_1) | instskip(NEXT) | instid1(VALU_DEP_1)
	s_cmp_lg_u32 s18, 0
	v_cmp_ne_u16_e32 vcc_lo, 0, v20
	s_addc_u32 s17, s17, 0
	s_or_b32 s16, vcc_lo, s16
	s_delay_alu instid0(SALU_CYCLE_1)
	s_and_not1_b32 exec_lo, exec_lo, s16
	s_cbranch_execnz .LBB335_50
; %bb.53:
	s_or_b32 exec_lo, exec_lo, s16
.LBB335_54:
	s_delay_alu instid0(SALU_CYCLE_1)
	s_or_b32 exec_lo, exec_lo, s11
	v_cmp_ne_u32_e32 vcc_lo, 31, v42
	v_and_b32_e32 v16, 0xff, v19
	v_lshlrev_b32_e64 v46, v42, -1
	s_mov_b32 s11, exec_lo
	v_add_co_ci_u32_e32 v15, vcc_lo, 0, v42, vcc_lo
	s_delay_alu instid0(VALU_DEP_3) | instskip(NEXT) | instid1(VALU_DEP_2)
	v_cmp_eq_u16_e32 vcc_lo, 2, v16
	v_dual_mov_b32 v16, v17 :: v_dual_lshlrev_b32 v45, 2, v15
	v_and_or_b32 v15, vcc_lo, v46, 0x80000000
	ds_bpermute_b32 v26, v45, v17
	ds_bpermute_b32 v20, v45, v18
	v_ctz_i32_b32_e32 v15, v15
	s_delay_alu instid0(VALU_DEP_1)
	v_cmpx_lt_u32_e64 v42, v15
	s_cbranch_execz .LBB335_56
; %bb.55:
	s_waitcnt lgkmcnt(1)
	v_add_co_u32 v16, vcc_lo, v17, v26
	v_add_co_ci_u32_e32 v18, vcc_lo, 0, v18, vcc_lo
	s_delay_alu instid0(VALU_DEP_2) | instskip(SKIP_1) | instid1(VALU_DEP_2)
	v_add_co_u32 v17, vcc_lo, 0, v16
	s_waitcnt lgkmcnt(0)
	v_add_co_ci_u32_e32 v18, vcc_lo, v20, v18, vcc_lo
.LBB335_56:
	s_or_b32 exec_lo, exec_lo, s11
	v_cmp_gt_u32_e32 vcc_lo, 30, v42
	v_add_nc_u32_e32 v48, 2, v42
	s_mov_b32 s11, exec_lo
	s_waitcnt lgkmcnt(0)
	v_cndmask_b32_e64 v20, 0, 1, vcc_lo
	s_delay_alu instid0(VALU_DEP_1) | instskip(NEXT) | instid1(VALU_DEP_1)
	v_lshlrev_b32_e32 v20, 1, v20
	v_add_lshl_u32 v47, v20, v42, 2
	ds_bpermute_b32 v26, v47, v16
	ds_bpermute_b32 v20, v47, v18
	v_cmpx_le_u32_e64 v48, v15
	s_cbranch_execz .LBB335_58
; %bb.57:
	s_waitcnt lgkmcnt(1)
	v_add_co_u32 v16, vcc_lo, v17, v26
	v_add_co_ci_u32_e32 v18, vcc_lo, 0, v18, vcc_lo
	s_delay_alu instid0(VALU_DEP_2) | instskip(SKIP_1) | instid1(VALU_DEP_2)
	v_add_co_u32 v17, vcc_lo, 0, v16
	s_waitcnt lgkmcnt(0)
	v_add_co_ci_u32_e32 v18, vcc_lo, v20, v18, vcc_lo
.LBB335_58:
	s_or_b32 exec_lo, exec_lo, s11
	v_cmp_gt_u32_e32 vcc_lo, 28, v42
	v_add_nc_u32_e32 v50, 4, v42
	s_mov_b32 s11, exec_lo
	s_waitcnt lgkmcnt(0)
	v_cndmask_b32_e64 v20, 0, 1, vcc_lo
	s_delay_alu instid0(VALU_DEP_1) | instskip(NEXT) | instid1(VALU_DEP_1)
	v_lshlrev_b32_e32 v20, 2, v20
	v_add_lshl_u32 v49, v20, v42, 2
	ds_bpermute_b32 v26, v49, v16
	ds_bpermute_b32 v20, v49, v18
	v_cmpx_le_u32_e64 v50, v15
	;; [unrolled: 22-line block ×4, first 2 shown]
	s_cbranch_execz .LBB335_64
; %bb.63:
	s_waitcnt lgkmcnt(1)
	v_add_co_u32 v15, vcc_lo, v17, v20
	v_add_co_ci_u32_e32 v18, vcc_lo, 0, v18, vcc_lo
	s_delay_alu instid0(VALU_DEP_2) | instskip(SKIP_1) | instid1(VALU_DEP_2)
	v_add_co_u32 v17, vcc_lo, v15, 0
	s_waitcnt lgkmcnt(0)
	v_add_co_ci_u32_e32 v18, vcc_lo, v18, v16, vcc_lo
.LBB335_64:
	s_or_b32 exec_lo, exec_lo, s11
	v_mov_b32_e32 v26, 0
	s_branch .LBB335_66
.LBB335_65:                             ;   in Loop: Header=BB335_66 Depth=1
	s_or_b32 exec_lo, exec_lo, s11
	v_add_co_u32 v17, vcc_lo, v17, v15
	v_subrev_nc_u32_e32 v25, 32, v25
	v_add_co_ci_u32_e32 v18, vcc_lo, v18, v16, vcc_lo
.LBB335_66:                             ; =>This Loop Header: Depth=1
                                        ;     Child Loop BB335_69 Depth 2
                                        ;       Child Loop BB335_70 Depth 3
	v_and_b32_e32 v15, 0xff, v19
	s_delay_alu instid0(VALU_DEP_1) | instskip(SKIP_2) | instid1(VALU_DEP_1)
	v_cmp_ne_u16_e32 vcc_lo, 2, v15
	v_cndmask_b32_e64 v15, 0, 1, vcc_lo
	;;#ASMSTART
	;;#ASMEND
	v_cmp_ne_u32_e32 vcc_lo, 0, v15
	s_waitcnt lgkmcnt(0)
	v_dual_mov_b32 v15, v17 :: v_dual_mov_b32 v16, v18
	s_cmp_lg_u32 vcc_lo, exec_lo
	s_cbranch_scc1 .LBB335_83
; %bb.67:                               ;   in Loop: Header=BB335_66 Depth=1
	v_lshlrev_b64 v[17:18], 4, v[25:26]
	s_mov_b32 s11, exec_lo
	s_delay_alu instid0(VALU_DEP_1) | instskip(NEXT) | instid1(VALU_DEP_2)
	v_add_co_u32 v27, vcc_lo, s14, v17
	v_add_co_ci_u32_e32 v28, vcc_lo, s15, v18, vcc_lo
	;;#ASMSTART
	global_load_dwordx4 v[17:20], v[27:28] off glc	
s_waitcnt vmcnt(0)
	;;#ASMEND
	v_and_b32_e32 v20, 0xff, v18
	v_and_b32_e32 v55, 0xff00, v18
	;; [unrolled: 1-line block ×3, first 2 shown]
	v_or3_b32 v17, v17, 0, 0
	v_and_b32_e32 v18, 0xff000000, v18
	s_delay_alu instid0(VALU_DEP_4) | instskip(SKIP_1) | instid1(VALU_DEP_4)
	v_or3_b32 v20, 0, v20, v55
	v_and_b32_e32 v55, 0xff, v19
	v_or3_b32 v17, v17, 0, 0
	s_delay_alu instid0(VALU_DEP_3) | instskip(NEXT) | instid1(VALU_DEP_3)
	v_or3_b32 v18, v20, v56, v18
	v_cmpx_eq_u16_e32 0, v55
	s_cbranch_execz .LBB335_73
; %bb.68:                               ;   in Loop: Header=BB335_66 Depth=1
	s_mov_b32 s17, 1
	s_mov_b32 s16, 0
	.p2align	6
.LBB335_69:                             ;   Parent Loop BB335_66 Depth=1
                                        ; =>  This Loop Header: Depth=2
                                        ;       Child Loop BB335_70 Depth 3
	s_max_u32 s18, s17, 1
.LBB335_70:                             ;   Parent Loop BB335_66 Depth=1
                                        ;     Parent Loop BB335_69 Depth=2
                                        ; =>    This Inner Loop Header: Depth=3
	s_delay_alu instid0(SALU_CYCLE_1)
	s_add_i32 s18, s18, -1
	s_sleep 1
	s_cmp_eq_u32 s18, 0
	s_cbranch_scc0 .LBB335_70
; %bb.71:                               ;   in Loop: Header=BB335_69 Depth=2
	;;#ASMSTART
	global_load_dwordx4 v[17:20], v[27:28] off glc	
s_waitcnt vmcnt(0)
	;;#ASMEND
	v_and_b32_e32 v20, 0xff, v19
	s_cmp_lt_u32 s17, 32
	s_cselect_b32 s18, -1, 0
	s_delay_alu instid0(SALU_CYCLE_1) | instskip(NEXT) | instid1(VALU_DEP_1)
	s_cmp_lg_u32 s18, 0
	v_cmp_ne_u16_e32 vcc_lo, 0, v20
	s_addc_u32 s17, s17, 0
	s_or_b32 s16, vcc_lo, s16
	s_delay_alu instid0(SALU_CYCLE_1)
	s_and_not1_b32 exec_lo, exec_lo, s16
	s_cbranch_execnz .LBB335_69
; %bb.72:                               ;   in Loop: Header=BB335_66 Depth=1
	s_or_b32 exec_lo, exec_lo, s16
.LBB335_73:                             ;   in Loop: Header=BB335_66 Depth=1
	s_delay_alu instid0(SALU_CYCLE_1)
	s_or_b32 exec_lo, exec_lo, s11
	v_dual_mov_b32 v27, v17 :: v_dual_and_b32 v20, 0xff, v19
	ds_bpermute_b32 v55, v45, v17
	ds_bpermute_b32 v28, v45, v18
	s_mov_b32 s11, exec_lo
	v_cmp_eq_u16_e32 vcc_lo, 2, v20
	v_and_or_b32 v20, vcc_lo, v46, 0x80000000
	s_delay_alu instid0(VALU_DEP_1) | instskip(NEXT) | instid1(VALU_DEP_1)
	v_ctz_i32_b32_e32 v20, v20
	v_cmpx_lt_u32_e64 v42, v20
	s_cbranch_execz .LBB335_75
; %bb.74:                               ;   in Loop: Header=BB335_66 Depth=1
	s_waitcnt lgkmcnt(1)
	v_add_co_u32 v27, vcc_lo, v17, v55
	v_add_co_ci_u32_e32 v18, vcc_lo, 0, v18, vcc_lo
	s_delay_alu instid0(VALU_DEP_2) | instskip(SKIP_1) | instid1(VALU_DEP_2)
	v_add_co_u32 v17, vcc_lo, 0, v27
	s_waitcnt lgkmcnt(0)
	v_add_co_ci_u32_e32 v18, vcc_lo, v28, v18, vcc_lo
.LBB335_75:                             ;   in Loop: Header=BB335_66 Depth=1
	s_or_b32 exec_lo, exec_lo, s11
	s_waitcnt lgkmcnt(1)
	ds_bpermute_b32 v55, v47, v27
	s_waitcnt lgkmcnt(1)
	ds_bpermute_b32 v28, v47, v18
	s_mov_b32 s11, exec_lo
	v_cmpx_le_u32_e64 v48, v20
	s_cbranch_execz .LBB335_77
; %bb.76:                               ;   in Loop: Header=BB335_66 Depth=1
	s_waitcnt lgkmcnt(1)
	v_add_co_u32 v27, vcc_lo, v17, v55
	v_add_co_ci_u32_e32 v18, vcc_lo, 0, v18, vcc_lo
	s_delay_alu instid0(VALU_DEP_2) | instskip(SKIP_1) | instid1(VALU_DEP_2)
	v_add_co_u32 v17, vcc_lo, 0, v27
	s_waitcnt lgkmcnt(0)
	v_add_co_ci_u32_e32 v18, vcc_lo, v28, v18, vcc_lo
.LBB335_77:                             ;   in Loop: Header=BB335_66 Depth=1
	s_or_b32 exec_lo, exec_lo, s11
	s_waitcnt lgkmcnt(1)
	ds_bpermute_b32 v55, v49, v27
	s_waitcnt lgkmcnt(1)
	ds_bpermute_b32 v28, v49, v18
	s_mov_b32 s11, exec_lo
	v_cmpx_le_u32_e64 v50, v20
	;; [unrolled: 17-line block ×3, first 2 shown]
	s_cbranch_execz .LBB335_81
; %bb.80:                               ;   in Loop: Header=BB335_66 Depth=1
	s_waitcnt lgkmcnt(1)
	v_add_co_u32 v27, vcc_lo, v17, v55
	v_add_co_ci_u32_e32 v18, vcc_lo, 0, v18, vcc_lo
	s_delay_alu instid0(VALU_DEP_2) | instskip(SKIP_1) | instid1(VALU_DEP_2)
	v_add_co_u32 v17, vcc_lo, 0, v27
	s_waitcnt lgkmcnt(0)
	v_add_co_ci_u32_e32 v18, vcc_lo, v28, v18, vcc_lo
.LBB335_81:                             ;   in Loop: Header=BB335_66 Depth=1
	s_or_b32 exec_lo, exec_lo, s11
	s_waitcnt lgkmcnt(0)
	ds_bpermute_b32 v28, v53, v27
	ds_bpermute_b32 v27, v53, v18
	s_mov_b32 s11, exec_lo
	v_cmpx_le_u32_e64 v54, v20
	s_cbranch_execz .LBB335_65
; %bb.82:                               ;   in Loop: Header=BB335_66 Depth=1
	s_waitcnt lgkmcnt(1)
	v_add_co_u32 v17, vcc_lo, v17, v28
	v_add_co_ci_u32_e32 v18, vcc_lo, 0, v18, vcc_lo
	s_delay_alu instid0(VALU_DEP_2) | instskip(SKIP_1) | instid1(VALU_DEP_2)
	v_add_co_u32 v17, vcc_lo, v17, 0
	s_waitcnt lgkmcnt(0)
	v_add_co_ci_u32_e32 v18, vcc_lo, v18, v27, vcc_lo
	s_branch .LBB335_65
.LBB335_83:                             ;   in Loop: Header=BB335_66 Depth=1
                                        ; implicit-def: $vgpr17_vgpr18
	s_cbranch_execz .LBB335_66
; %bb.84:
	s_and_saveexec_b32 s11, s1
	s_cbranch_execz .LBB335_86
; %bb.85:
	s_add_i32 s16, s9, 32
	s_mov_b32 s17, 0
	v_add_co_u32 v17, vcc_lo, v15, v13
	s_lshl_b64 s[16:17], s[16:17], 4
	v_dual_mov_b32 v19, 2 :: v_dual_mov_b32 v20, 0
	s_add_u32 s16, s14, s16
	s_addc_u32 s17, s15, s17
	v_add_co_ci_u32_e32 v18, vcc_lo, v16, v14, vcc_lo
	v_dual_mov_b32 v26, s17 :: v_dual_mov_b32 v25, s16
	;;#ASMSTART
	global_store_dwordx4 v[25:26], v[17:20] off	
s_waitcnt vmcnt(0)
	;;#ASMEND
	ds_store_b128 v20, v[13:16] offset:6144
.LBB335_86:
	s_or_b32 exec_lo, exec_lo, s11
	s_delay_alu instid0(SALU_CYCLE_1)
	s_and_b32 exec_lo, exec_lo, s2
	s_cbranch_execz .LBB335_88
; %bb.87:
	v_mov_b32_e32 v13, 0
	ds_store_b64 v13, v[15:16] offset:24
.LBB335_88:
	s_or_b32 exec_lo, exec_lo, s10
	v_mov_b32_e32 v15, 0
	s_waitcnt lgkmcnt(0)
	s_barrier
	buffer_gl0_inv
	v_cndmask_b32_e64 v16, v29, v23, s1
	ds_load_b64 v[13:14], v15 offset:24
	v_cndmask_b32_e64 v17, v30, v24, s1
	s_waitcnt lgkmcnt(0)
	s_barrier
	v_cndmask_b32_e64 v16, v16, 0, s2
	buffer_gl0_inv
	v_cndmask_b32_e64 v17, v17, 0, s2
	v_add_co_u32 v29, vcc_lo, v13, v16
	s_delay_alu instid0(VALU_DEP_2) | instskip(SKIP_3) | instid1(VALU_DEP_2)
	v_add_co_ci_u32_e32 v30, vcc_lo, v14, v17, vcc_lo
	ds_load_b128 v[13:16], v15 offset:6144
	v_add_co_u32 v27, vcc_lo, v29, v41
	v_add_co_ci_u32_e32 v28, vcc_lo, 0, v30, vcc_lo
	v_add_co_u32 v25, vcc_lo, v27, v40
	s_delay_alu instid0(VALU_DEP_2) | instskip(NEXT) | instid1(VALU_DEP_2)
	v_add_co_ci_u32_e32 v26, vcc_lo, 0, v28, vcc_lo
	v_add_co_u32 v23, vcc_lo, v25, v39
	s_delay_alu instid0(VALU_DEP_2) | instskip(NEXT) | instid1(VALU_DEP_2)
	;; [unrolled: 3-line block ×3, first 2 shown]
	v_add_co_ci_u32_e32 v20, vcc_lo, 0, v24, vcc_lo
	v_add_co_u32 v17, vcc_lo, v19, v37
	s_delay_alu instid0(VALU_DEP_2)
	v_add_co_ci_u32_e32 v18, vcc_lo, 0, v20, vcc_lo
.LBB335_89:
	s_waitcnt lgkmcnt(0)
	v_cmp_gt_u64_e32 vcc_lo, 0x81, v[13:14]
	s_mov_b32 s0, -1
	s_cbranch_vccnz .LBB335_117
.LBB335_90:
	s_and_b32 vcc_lo, exec_lo, s0
	s_cbranch_vccnz .LBB335_136
.LBB335_91:
	s_and_b32 s0, s2, s3
	s_delay_alu instid0(SALU_CYCLE_1)
	s_and_saveexec_b32 s1, s0
	s_cbranch_execnz .LBB335_152
.LBB335_92:
	s_nop 0
	s_sendmsg sendmsg(MSG_DEALLOC_VGPRS)
	s_endpgm
.LBB335_93:
                                        ; kill: def $vgpr13_vgpr14 killed $sgpr0_sgpr1 killed $exec
                                        ; implicit-def: $vgpr17_vgpr18
                                        ; implicit-def: $vgpr19_vgpr20
                                        ; implicit-def: $vgpr23_vgpr24
                                        ; implicit-def: $vgpr25_vgpr26
                                        ; implicit-def: $vgpr27_vgpr28
                                        ; implicit-def: $vgpr29_vgpr30
                                        ; implicit-def: $vgpr15_vgpr16
	s_and_b32 vcc_lo, exec_lo, s1
	s_cbranch_vccz .LBB335_89
; %bb.94:
	s_waitcnt lgkmcnt(0)
	v_dual_mov_b32 v14, 0 :: v_dual_mov_b32 v15, v21
	v_mov_b32_dpp v16, v21 row_shr:1 row_mask:0xf bank_mask:0xf
	s_delay_alu instid0(VALU_DEP_2)
	v_mov_b32_dpp v13, v14 row_shr:1 row_mask:0xf bank_mask:0xf
	s_and_saveexec_b32 s1, s0
; %bb.95:
	s_delay_alu instid0(VALU_DEP_2) | instskip(SKIP_1) | instid1(VALU_DEP_2)
	v_add_co_u32 v15, vcc_lo, v21, v16
	v_add_co_ci_u32_e32 v14, vcc_lo, 0, v22, vcc_lo
	v_add_co_u32 v21, vcc_lo, 0, v15
	s_delay_alu instid0(VALU_DEP_2) | instskip(NEXT) | instid1(VALU_DEP_1)
	v_add_co_ci_u32_e32 v22, vcc_lo, v13, v14, vcc_lo
	v_mov_b32_e32 v14, v22
; %bb.96:
	s_or_b32 exec_lo, exec_lo, s1
	v_mov_b32_dpp v13, v15 row_shr:2 row_mask:0xf bank_mask:0xf
	s_delay_alu instid0(VALU_DEP_2)
	v_mov_b32_dpp v16, v14 row_shr:2 row_mask:0xf bank_mask:0xf
	s_mov_b32 s0, exec_lo
	v_cmpx_lt_u32_e32 1, v44
; %bb.97:
	s_delay_alu instid0(VALU_DEP_3) | instskip(SKIP_1) | instid1(VALU_DEP_2)
	v_add_co_u32 v15, vcc_lo, v21, v13
	v_add_co_ci_u32_e32 v14, vcc_lo, 0, v22, vcc_lo
	v_add_co_u32 v13, vcc_lo, 0, v15
	s_delay_alu instid0(VALU_DEP_2) | instskip(NEXT) | instid1(VALU_DEP_1)
	v_add_co_ci_u32_e32 v14, vcc_lo, v16, v14, vcc_lo
	v_dual_mov_b32 v22, v14 :: v_dual_mov_b32 v21, v13
; %bb.98:
	s_or_b32 exec_lo, exec_lo, s0
	v_mov_b32_dpp v13, v15 row_shr:4 row_mask:0xf bank_mask:0xf
	v_mov_b32_dpp v16, v14 row_shr:4 row_mask:0xf bank_mask:0xf
	s_mov_b32 s0, exec_lo
	v_cmpx_lt_u32_e32 3, v44
; %bb.99:
	s_delay_alu instid0(VALU_DEP_3) | instskip(SKIP_1) | instid1(VALU_DEP_2)
	v_add_co_u32 v15, vcc_lo, v21, v13
	v_add_co_ci_u32_e32 v14, vcc_lo, 0, v22, vcc_lo
	v_add_co_u32 v13, vcc_lo, 0, v15
	s_delay_alu instid0(VALU_DEP_2) | instskip(NEXT) | instid1(VALU_DEP_1)
	v_add_co_ci_u32_e32 v14, vcc_lo, v16, v14, vcc_lo
	v_dual_mov_b32 v22, v14 :: v_dual_mov_b32 v21, v13
; %bb.100:
	s_or_b32 exec_lo, exec_lo, s0
	v_mov_b32_dpp v16, v15 row_shr:8 row_mask:0xf bank_mask:0xf
	v_mov_b32_dpp v13, v14 row_shr:8 row_mask:0xf bank_mask:0xf
	s_mov_b32 s0, exec_lo
	v_cmpx_lt_u32_e32 7, v44
; %bb.101:
	s_delay_alu instid0(VALU_DEP_3) | instskip(SKIP_1) | instid1(VALU_DEP_2)
	v_add_co_u32 v15, vcc_lo, v21, v16
	v_add_co_ci_u32_e32 v14, vcc_lo, 0, v22, vcc_lo
	v_add_co_u32 v21, vcc_lo, 0, v15
	s_delay_alu instid0(VALU_DEP_2) | instskip(NEXT) | instid1(VALU_DEP_1)
	v_add_co_ci_u32_e32 v22, vcc_lo, v13, v14, vcc_lo
	v_mov_b32_e32 v14, v22
; %bb.102:
	s_or_b32 exec_lo, exec_lo, s0
	ds_swizzle_b32 v15, v15 offset:swizzle(BROADCAST,32,15)
	ds_swizzle_b32 v13, v14 offset:swizzle(BROADCAST,32,15)
	v_and_b32_e32 v14, 16, v42
	s_mov_b32 s0, exec_lo
	s_delay_alu instid0(VALU_DEP_1)
	v_cmpx_ne_u32_e32 0, v14
	s_cbranch_execz .LBB335_104
; %bb.103:
	s_waitcnt lgkmcnt(1)
	v_add_co_u32 v14, vcc_lo, v21, v15
	v_add_co_ci_u32_e32 v15, vcc_lo, 0, v22, vcc_lo
	s_delay_alu instid0(VALU_DEP_2) | instskip(SKIP_1) | instid1(VALU_DEP_2)
	v_add_co_u32 v21, vcc_lo, v14, 0
	s_waitcnt lgkmcnt(0)
	v_add_co_ci_u32_e32 v22, vcc_lo, v15, v13, vcc_lo
.LBB335_104:
	s_or_b32 exec_lo, exec_lo, s0
	s_waitcnt lgkmcnt(0)
	v_or_b32_e32 v13, 31, v0
	v_lshrrev_b32_e32 v15, 5, v0
	s_mov_b32 s0, exec_lo
	s_delay_alu instid0(VALU_DEP_2)
	v_cmpx_eq_u32_e64 v13, v0
	s_cbranch_execz .LBB335_106
; %bb.105:
	s_delay_alu instid0(VALU_DEP_2)
	v_lshlrev_b32_e32 v13, 3, v15
	ds_store_b64 v13, v[21:22]
.LBB335_106:
	s_or_b32 exec_lo, exec_lo, s0
	s_delay_alu instid0(SALU_CYCLE_1)
	s_mov_b32 s0, exec_lo
	s_waitcnt lgkmcnt(0)
	s_barrier
	buffer_gl0_inv
	v_cmpx_gt_u32_e32 4, v0
	s_cbranch_execz .LBB335_112
; %bb.107:
	v_lshlrev_b32_e32 v13, 1, v0
	s_mov_b32 s1, exec_lo
	s_delay_alu instid0(VALU_DEP_1)
	v_add_nc_u32_e32 v16, v43, v13
	ds_load_b64 v[13:14], v16
	s_waitcnt lgkmcnt(0)
	v_dual_mov_b32 v18, v13 :: v_dual_and_b32 v17, 3, v42
	v_mov_b32_dpp v20, v13 row_shr:1 row_mask:0xf bank_mask:0xf
	v_mov_b32_dpp v19, v14 row_shr:1 row_mask:0xf bank_mask:0xf
	s_delay_alu instid0(VALU_DEP_3)
	v_cmpx_ne_u32_e32 0, v17
; %bb.108:
	s_delay_alu instid0(VALU_DEP_3) | instskip(SKIP_1) | instid1(VALU_DEP_2)
	v_add_co_u32 v18, vcc_lo, v13, v20
	v_add_co_ci_u32_e32 v14, vcc_lo, 0, v14, vcc_lo
	v_add_co_u32 v13, vcc_lo, 0, v18
	s_delay_alu instid0(VALU_DEP_2)
	v_add_co_ci_u32_e32 v14, vcc_lo, v19, v14, vcc_lo
; %bb.109:
	s_or_b32 exec_lo, exec_lo, s1
	v_mov_b32_dpp v19, v18 row_shr:2 row_mask:0xf bank_mask:0xf
	s_delay_alu instid0(VALU_DEP_2)
	v_mov_b32_dpp v18, v14 row_shr:2 row_mask:0xf bank_mask:0xf
	s_mov_b32 s1, exec_lo
	v_cmpx_lt_u32_e32 1, v17
; %bb.110:
	s_delay_alu instid0(VALU_DEP_3) | instskip(SKIP_1) | instid1(VALU_DEP_2)
	v_add_co_u32 v13, vcc_lo, v13, v19
	v_add_co_ci_u32_e32 v14, vcc_lo, 0, v14, vcc_lo
	v_add_co_u32 v13, vcc_lo, v13, 0
	s_delay_alu instid0(VALU_DEP_2)
	v_add_co_ci_u32_e32 v14, vcc_lo, v14, v18, vcc_lo
; %bb.111:
	s_or_b32 exec_lo, exec_lo, s1
	ds_store_b64 v16, v[13:14]
.LBB335_112:
	s_or_b32 exec_lo, exec_lo, s0
	v_mov_b32_e32 v17, 0
	v_mov_b32_e32 v18, 0
	s_mov_b32 s0, exec_lo
	s_waitcnt lgkmcnt(0)
	s_barrier
	buffer_gl0_inv
	v_cmpx_lt_u32_e32 31, v0
	s_cbranch_execz .LBB335_114
; %bb.113:
	v_lshl_add_u32 v13, v15, 3, -8
	ds_load_b64 v[17:18], v13
.LBB335_114:
	s_or_b32 exec_lo, exec_lo, s0
	v_dual_mov_b32 v16, 0 :: v_dual_add_nc_u32 v13, -1, v42
	s_delay_alu instid0(VALU_DEP_1) | instskip(SKIP_4) | instid1(VALU_DEP_3)
	v_cmp_gt_i32_e32 vcc_lo, 0, v13
	v_cndmask_b32_e32 v13, v13, v42, vcc_lo
	s_waitcnt lgkmcnt(0)
	v_add_co_u32 v14, vcc_lo, v17, v21
	v_add_co_ci_u32_e32 v15, vcc_lo, v18, v22, vcc_lo
	v_lshlrev_b32_e32 v13, 2, v13
	ds_bpermute_b32 v19, v13, v14
	ds_bpermute_b32 v20, v13, v15
	ds_load_b64 v[13:14], v16 offset:24
	s_and_saveexec_b32 s0, s2
	s_cbranch_execz .LBB335_116
; %bb.115:
	s_add_u32 s10, s14, 0x200
	s_addc_u32 s11, s15, 0
	s_delay_alu instid0(SALU_CYCLE_1)
	v_dual_mov_b32 v15, 2 :: v_dual_mov_b32 v22, s11
	v_mov_b32_e32 v21, s10
	s_waitcnt lgkmcnt(0)
	;;#ASMSTART
	global_store_dwordx4 v[21:22], v[13:16] off	
s_waitcnt vmcnt(0)
	;;#ASMEND
.LBB335_116:
	s_or_b32 exec_lo, exec_lo, s0
	v_cmp_eq_u32_e32 vcc_lo, 0, v42
	s_waitcnt lgkmcnt(0)
	s_barrier
	buffer_gl0_inv
	v_dual_cndmask_b32 v15, v19, v17 :: v_dual_cndmask_b32 v16, v20, v18
	s_delay_alu instid0(VALU_DEP_1) | instskip(NEXT) | instid1(VALU_DEP_2)
	v_cndmask_b32_e64 v29, v15, 0, s2
	v_cndmask_b32_e64 v30, v16, 0, s2
	v_mov_b32_e32 v15, 0
	v_mov_b32_e32 v16, 0
	s_delay_alu instid0(VALU_DEP_4) | instskip(NEXT) | instid1(VALU_DEP_4)
	v_add_co_u32 v27, vcc_lo, v29, v41
	v_add_co_ci_u32_e32 v28, vcc_lo, 0, v30, vcc_lo
	s_delay_alu instid0(VALU_DEP_2) | instskip(NEXT) | instid1(VALU_DEP_2)
	v_add_co_u32 v25, vcc_lo, v27, v40
	v_add_co_ci_u32_e32 v26, vcc_lo, 0, v28, vcc_lo
	s_delay_alu instid0(VALU_DEP_2) | instskip(NEXT) | instid1(VALU_DEP_2)
	;; [unrolled: 3-line block ×4, first 2 shown]
	v_add_co_u32 v17, vcc_lo, v19, v37
	v_add_co_ci_u32_e32 v18, vcc_lo, 0, v20, vcc_lo
	v_cmp_gt_u64_e32 vcc_lo, 0x81, v[13:14]
	s_mov_b32 s0, -1
	s_cbranch_vccz .LBB335_90
.LBB335_117:
	v_add_co_u32 v21, vcc_lo, v15, v13
	v_add_co_ci_u32_e32 v22, vcc_lo, v16, v14, vcc_lo
	s_delay_alu instid0(VALU_DEP_1) | instskip(SKIP_1) | instid1(SALU_CYCLE_1)
	v_cmp_lt_u64_e32 vcc_lo, v[29:30], v[21:22]
	s_or_b32 s1, s8, vcc_lo
	s_and_saveexec_b32 s0, s1
	s_cbranch_execz .LBB335_120
; %bb.118:
	v_and_b32_e32 v37, 1, v36
	s_delay_alu instid0(VALU_DEP_1)
	v_cmp_eq_u32_e32 vcc_lo, 1, v37
	s_and_b32 exec_lo, exec_lo, vcc_lo
	s_cbranch_execz .LBB335_120
; %bb.119:
	v_lshlrev_b64 v[37:38], 3, v[29:30]
	s_lshl_b64 s[10:11], s[6:7], 3
	s_delay_alu instid0(SALU_CYCLE_1) | instskip(SKIP_1) | instid1(VALU_DEP_1)
	s_add_u32 s1, s12, s10
	s_addc_u32 s9, s13, s11
	v_add_co_u32 v37, vcc_lo, s1, v37
	s_delay_alu instid0(VALU_DEP_2)
	v_add_co_ci_u32_e32 v38, vcc_lo, s9, v38, vcc_lo
	global_store_b64 v[37:38], v[9:10], off
.LBB335_120:
	s_or_b32 exec_lo, exec_lo, s0
	v_cmp_lt_u64_e32 vcc_lo, v[27:28], v[21:22]
	s_or_b32 s1, s8, vcc_lo
	s_delay_alu instid0(SALU_CYCLE_1)
	s_and_saveexec_b32 s0, s1
	s_cbranch_execz .LBB335_123
; %bb.121:
	v_and_b32_e32 v30, 1, v34
	s_delay_alu instid0(VALU_DEP_1)
	v_cmp_eq_u32_e32 vcc_lo, 1, v30
	s_and_b32 exec_lo, exec_lo, vcc_lo
	s_cbranch_execz .LBB335_123
; %bb.122:
	v_lshlrev_b64 v[37:38], 3, v[27:28]
	s_lshl_b64 s[10:11], s[6:7], 3
	s_delay_alu instid0(SALU_CYCLE_1) | instskip(SKIP_1) | instid1(VALU_DEP_1)
	s_add_u32 s1, s12, s10
	s_addc_u32 s9, s13, s11
	v_add_co_u32 v37, vcc_lo, s1, v37
	s_delay_alu instid0(VALU_DEP_2)
	v_add_co_ci_u32_e32 v38, vcc_lo, s9, v38, vcc_lo
	global_store_b64 v[37:38], v[11:12], off
.LBB335_123:
	s_or_b32 exec_lo, exec_lo, s0
	v_cmp_lt_u64_e32 vcc_lo, v[25:26], v[21:22]
	s_or_b32 s1, s8, vcc_lo
	s_delay_alu instid0(SALU_CYCLE_1)
	s_and_saveexec_b32 s0, s1
	s_cbranch_execz .LBB335_126
; %bb.124:
	v_and_b32_e32 v28, 1, v33
	s_delay_alu instid0(VALU_DEP_1)
	v_cmp_eq_u32_e32 vcc_lo, 1, v28
	s_and_b32 exec_lo, exec_lo, vcc_lo
	s_cbranch_execz .LBB335_126
; %bb.125:
	v_lshlrev_b64 v[37:38], 3, v[25:26]
	s_lshl_b64 s[10:11], s[6:7], 3
	s_delay_alu instid0(SALU_CYCLE_1) | instskip(SKIP_1) | instid1(VALU_DEP_1)
	s_add_u32 s1, s12, s10
	s_addc_u32 s9, s13, s11
	v_add_co_u32 v37, vcc_lo, s1, v37
	s_delay_alu instid0(VALU_DEP_2)
	v_add_co_ci_u32_e32 v38, vcc_lo, s9, v38, vcc_lo
	global_store_b64 v[37:38], v[5:6], off
.LBB335_126:
	s_or_b32 exec_lo, exec_lo, s0
	v_cmp_lt_u64_e32 vcc_lo, v[23:24], v[21:22]
	s_or_b32 s1, s8, vcc_lo
	s_delay_alu instid0(SALU_CYCLE_1)
	s_and_saveexec_b32 s0, s1
	s_cbranch_execz .LBB335_129
; %bb.127:
	v_and_b32_e32 v26, 1, v35
	s_delay_alu instid0(VALU_DEP_1)
	v_cmp_eq_u32_e32 vcc_lo, 1, v26
	s_and_b32 exec_lo, exec_lo, vcc_lo
	s_cbranch_execz .LBB335_129
; %bb.128:
	v_lshlrev_b64 v[37:38], 3, v[23:24]
	s_lshl_b64 s[10:11], s[6:7], 3
	s_delay_alu instid0(SALU_CYCLE_1) | instskip(SKIP_1) | instid1(VALU_DEP_1)
	s_add_u32 s1, s12, s10
	s_addc_u32 s9, s13, s11
	v_add_co_u32 v37, vcc_lo, s1, v37
	s_delay_alu instid0(VALU_DEP_2)
	v_add_co_ci_u32_e32 v38, vcc_lo, s9, v38, vcc_lo
	global_store_b64 v[37:38], v[7:8], off
.LBB335_129:
	s_or_b32 exec_lo, exec_lo, s0
	v_cmp_lt_u64_e32 vcc_lo, v[19:20], v[21:22]
	s_or_b32 s1, s8, vcc_lo
	s_delay_alu instid0(SALU_CYCLE_1)
	s_and_saveexec_b32 s0, s1
	s_cbranch_execz .LBB335_132
; %bb.130:
	v_and_b32_e32 v24, 1, v31
	s_delay_alu instid0(VALU_DEP_1)
	v_cmp_eq_u32_e32 vcc_lo, 1, v24
	s_and_b32 exec_lo, exec_lo, vcc_lo
	s_cbranch_execz .LBB335_132
; %bb.131:
	v_lshlrev_b64 v[37:38], 3, v[19:20]
	s_lshl_b64 s[10:11], s[6:7], 3
	s_delay_alu instid0(SALU_CYCLE_1) | instskip(SKIP_1) | instid1(VALU_DEP_1)
	s_add_u32 s1, s12, s10
	s_addc_u32 s9, s13, s11
	v_add_co_u32 v37, vcc_lo, s1, v37
	s_delay_alu instid0(VALU_DEP_2)
	v_add_co_ci_u32_e32 v38, vcc_lo, s9, v38, vcc_lo
	global_store_b64 v[37:38], v[1:2], off
.LBB335_132:
	s_or_b32 exec_lo, exec_lo, s0
	v_cmp_lt_u64_e32 vcc_lo, v[17:18], v[21:22]
	s_or_b32 s1, s8, vcc_lo
	s_delay_alu instid0(SALU_CYCLE_1)
	s_and_saveexec_b32 s0, s1
	s_cbranch_execz .LBB335_135
; %bb.133:
	v_and_b32_e32 v20, 1, v32
	s_delay_alu instid0(VALU_DEP_1)
	v_cmp_eq_u32_e32 vcc_lo, 1, v20
	s_and_b32 exec_lo, exec_lo, vcc_lo
	s_cbranch_execz .LBB335_135
; %bb.134:
	v_lshlrev_b64 v[20:21], 3, v[17:18]
	s_lshl_b64 s[8:9], s[6:7], 3
	s_delay_alu instid0(SALU_CYCLE_1) | instskip(SKIP_1) | instid1(VALU_DEP_1)
	s_add_u32 s1, s12, s8
	s_addc_u32 s8, s13, s9
	v_add_co_u32 v20, vcc_lo, s1, v20
	s_delay_alu instid0(VALU_DEP_2)
	v_add_co_ci_u32_e32 v21, vcc_lo, s8, v21, vcc_lo
	global_store_b64 v[20:21], v[3:4], off
.LBB335_135:
	s_or_b32 exec_lo, exec_lo, s0
	s_branch .LBB335_91
.LBB335_136:
	v_and_b32_e32 v18, 1, v36
	s_mov_b32 s0, exec_lo
	s_delay_alu instid0(VALU_DEP_1)
	v_cmpx_eq_u32_e32 1, v18
	s_cbranch_execz .LBB335_138
; %bb.137:
	v_sub_nc_u32_e32 v18, v29, v15
	s_delay_alu instid0(VALU_DEP_1)
	v_lshlrev_b32_e32 v18, 3, v18
	ds_store_b64 v18, v[9:10]
.LBB335_138:
	s_or_b32 exec_lo, exec_lo, s0
	v_and_b32_e32 v9, 1, v34
	s_mov_b32 s0, exec_lo
	s_delay_alu instid0(VALU_DEP_1)
	v_cmpx_eq_u32_e32 1, v9
	s_cbranch_execz .LBB335_140
; %bb.139:
	v_sub_nc_u32_e32 v9, v27, v15
	s_delay_alu instid0(VALU_DEP_1)
	v_lshlrev_b32_e32 v9, 3, v9
	ds_store_b64 v9, v[11:12]
.LBB335_140:
	s_or_b32 exec_lo, exec_lo, s0
	;; [unrolled: 12-line block ×6, first 2 shown]
	v_mov_b32_e32 v1, 0
	s_mov_b32 s1, exec_lo
	s_waitcnt lgkmcnt(0)
	s_waitcnt_vscnt null, 0x0
	s_barrier
	buffer_gl0_inv
	v_cmpx_gt_u64_e64 v[13:14], v[0:1]
	s_cbranch_execz .LBB335_151
; %bb.149:
	v_lshlrev_b64 v[4:5], 3, v[15:16]
	s_lshl_b64 s[8:9], s[6:7], 3
	v_dual_mov_b32 v3, v1 :: v_dual_mov_b32 v2, v0
	v_or_b32_e32 v0, 0x80, v0
	s_delay_alu instid0(VALU_DEP_3) | instskip(NEXT) | instid1(VALU_DEP_4)
	v_add_co_u32 v4, vcc_lo, s12, v4
	v_add_co_ci_u32_e32 v5, vcc_lo, s13, v5, vcc_lo
	s_delay_alu instid0(VALU_DEP_2) | instskip(NEXT) | instid1(VALU_DEP_2)
	v_add_co_u32 v4, vcc_lo, v4, s8
	v_add_co_ci_u32_e32 v5, vcc_lo, s9, v5, vcc_lo
	s_mov_b32 s8, 0
	.p2align	6
.LBB335_150:                            ; =>This Inner Loop Header: Depth=1
	v_lshlrev_b32_e32 v6, 3, v2
	v_lshlrev_b64 v[8:9], 3, v[2:3]
	v_mov_b32_e32 v3, v1
	v_cmp_le_u64_e32 vcc_lo, v[13:14], v[0:1]
	v_mov_b32_e32 v2, v0
	ds_load_b64 v[6:7], v6
	v_add_nc_u32_e32 v0, 0x80, v0
	v_add_co_u32 v8, s0, v4, v8
	s_delay_alu instid0(VALU_DEP_1)
	v_add_co_ci_u32_e64 v9, s0, v5, v9, s0
	s_or_b32 s8, vcc_lo, s8
	s_waitcnt lgkmcnt(0)
	global_store_b64 v[8:9], v[6:7], off
	s_and_not1_b32 exec_lo, exec_lo, s8
	s_cbranch_execnz .LBB335_150
.LBB335_151:
	s_or_b32 exec_lo, exec_lo, s1
	s_and_b32 s0, s2, s3
	s_delay_alu instid0(SALU_CYCLE_1)
	s_and_saveexec_b32 s1, s0
	s_cbranch_execz .LBB335_92
.LBB335_152:
	v_add_co_u32 v0, vcc_lo, v15, v13
	v_add_co_ci_u32_e32 v1, vcc_lo, v16, v14, vcc_lo
	v_mov_b32_e32 v2, 0
	s_delay_alu instid0(VALU_DEP_3) | instskip(NEXT) | instid1(VALU_DEP_3)
	v_add_co_u32 v0, vcc_lo, v0, s6
	v_add_co_ci_u32_e32 v1, vcc_lo, s7, v1, vcc_lo
	global_store_b64 v2, v[0:1], s[4:5]
	s_nop 0
	s_sendmsg sendmsg(MSG_DEALLOC_VGPRS)
	s_endpgm
	.section	.rodata,"a",@progbits
	.p2align	6, 0x0
	.amdhsa_kernel _ZN7rocprim17ROCPRIM_400000_NS6detail17trampoline_kernelINS0_14default_configENS1_25partition_config_selectorILNS1_17partition_subalgoE5ElNS0_10empty_typeEbEEZZNS1_14partition_implILS5_5ELb0ES3_mN6hipcub16HIPCUB_304000_NS21CountingInputIteratorIllEEPS6_NSA_22TransformInputIteratorIb7NonZeroIdEPdlEENS0_5tupleIJPlS6_EEENSJ_IJSD_SD_EEES6_SK_JS6_EEE10hipError_tPvRmT3_T4_T5_T6_T7_T9_mT8_P12ihipStream_tbDpT10_ENKUlT_T0_E_clISt17integral_constantIbLb1EES16_EEDaS11_S12_EUlS11_E_NS1_11comp_targetILNS1_3genE9ELNS1_11target_archE1100ELNS1_3gpuE3ELNS1_3repE0EEENS1_30default_config_static_selectorELNS0_4arch9wavefront6targetE0EEEvT1_
		.amdhsa_group_segment_fixed_size 6160
		.amdhsa_private_segment_fixed_size 0
		.amdhsa_kernarg_size 136
		.amdhsa_user_sgpr_count 15
		.amdhsa_user_sgpr_dispatch_ptr 0
		.amdhsa_user_sgpr_queue_ptr 0
		.amdhsa_user_sgpr_kernarg_segment_ptr 1
		.amdhsa_user_sgpr_dispatch_id 0
		.amdhsa_user_sgpr_private_segment_size 0
		.amdhsa_wavefront_size32 1
		.amdhsa_uses_dynamic_stack 0
		.amdhsa_enable_private_segment 0
		.amdhsa_system_sgpr_workgroup_id_x 1
		.amdhsa_system_sgpr_workgroup_id_y 0
		.amdhsa_system_sgpr_workgroup_id_z 0
		.amdhsa_system_sgpr_workgroup_info 0
		.amdhsa_system_vgpr_workitem_id 0
		.amdhsa_next_free_vgpr 57
		.amdhsa_next_free_sgpr 24
		.amdhsa_reserve_vcc 1
		.amdhsa_float_round_mode_32 0
		.amdhsa_float_round_mode_16_64 0
		.amdhsa_float_denorm_mode_32 3
		.amdhsa_float_denorm_mode_16_64 3
		.amdhsa_dx10_clamp 1
		.amdhsa_ieee_mode 1
		.amdhsa_fp16_overflow 0
		.amdhsa_workgroup_processor_mode 1
		.amdhsa_memory_ordered 1
		.amdhsa_forward_progress 0
		.amdhsa_shared_vgpr_count 0
		.amdhsa_exception_fp_ieee_invalid_op 0
		.amdhsa_exception_fp_denorm_src 0
		.amdhsa_exception_fp_ieee_div_zero 0
		.amdhsa_exception_fp_ieee_overflow 0
		.amdhsa_exception_fp_ieee_underflow 0
		.amdhsa_exception_fp_ieee_inexact 0
		.amdhsa_exception_int_div_zero 0
	.end_amdhsa_kernel
	.section	.text._ZN7rocprim17ROCPRIM_400000_NS6detail17trampoline_kernelINS0_14default_configENS1_25partition_config_selectorILNS1_17partition_subalgoE5ElNS0_10empty_typeEbEEZZNS1_14partition_implILS5_5ELb0ES3_mN6hipcub16HIPCUB_304000_NS21CountingInputIteratorIllEEPS6_NSA_22TransformInputIteratorIb7NonZeroIdEPdlEENS0_5tupleIJPlS6_EEENSJ_IJSD_SD_EEES6_SK_JS6_EEE10hipError_tPvRmT3_T4_T5_T6_T7_T9_mT8_P12ihipStream_tbDpT10_ENKUlT_T0_E_clISt17integral_constantIbLb1EES16_EEDaS11_S12_EUlS11_E_NS1_11comp_targetILNS1_3genE9ELNS1_11target_archE1100ELNS1_3gpuE3ELNS1_3repE0EEENS1_30default_config_static_selectorELNS0_4arch9wavefront6targetE0EEEvT1_,"axG",@progbits,_ZN7rocprim17ROCPRIM_400000_NS6detail17trampoline_kernelINS0_14default_configENS1_25partition_config_selectorILNS1_17partition_subalgoE5ElNS0_10empty_typeEbEEZZNS1_14partition_implILS5_5ELb0ES3_mN6hipcub16HIPCUB_304000_NS21CountingInputIteratorIllEEPS6_NSA_22TransformInputIteratorIb7NonZeroIdEPdlEENS0_5tupleIJPlS6_EEENSJ_IJSD_SD_EEES6_SK_JS6_EEE10hipError_tPvRmT3_T4_T5_T6_T7_T9_mT8_P12ihipStream_tbDpT10_ENKUlT_T0_E_clISt17integral_constantIbLb1EES16_EEDaS11_S12_EUlS11_E_NS1_11comp_targetILNS1_3genE9ELNS1_11target_archE1100ELNS1_3gpuE3ELNS1_3repE0EEENS1_30default_config_static_selectorELNS0_4arch9wavefront6targetE0EEEvT1_,comdat
.Lfunc_end335:
	.size	_ZN7rocprim17ROCPRIM_400000_NS6detail17trampoline_kernelINS0_14default_configENS1_25partition_config_selectorILNS1_17partition_subalgoE5ElNS0_10empty_typeEbEEZZNS1_14partition_implILS5_5ELb0ES3_mN6hipcub16HIPCUB_304000_NS21CountingInputIteratorIllEEPS6_NSA_22TransformInputIteratorIb7NonZeroIdEPdlEENS0_5tupleIJPlS6_EEENSJ_IJSD_SD_EEES6_SK_JS6_EEE10hipError_tPvRmT3_T4_T5_T6_T7_T9_mT8_P12ihipStream_tbDpT10_ENKUlT_T0_E_clISt17integral_constantIbLb1EES16_EEDaS11_S12_EUlS11_E_NS1_11comp_targetILNS1_3genE9ELNS1_11target_archE1100ELNS1_3gpuE3ELNS1_3repE0EEENS1_30default_config_static_selectorELNS0_4arch9wavefront6targetE0EEEvT1_, .Lfunc_end335-_ZN7rocprim17ROCPRIM_400000_NS6detail17trampoline_kernelINS0_14default_configENS1_25partition_config_selectorILNS1_17partition_subalgoE5ElNS0_10empty_typeEbEEZZNS1_14partition_implILS5_5ELb0ES3_mN6hipcub16HIPCUB_304000_NS21CountingInputIteratorIllEEPS6_NSA_22TransformInputIteratorIb7NonZeroIdEPdlEENS0_5tupleIJPlS6_EEENSJ_IJSD_SD_EEES6_SK_JS6_EEE10hipError_tPvRmT3_T4_T5_T6_T7_T9_mT8_P12ihipStream_tbDpT10_ENKUlT_T0_E_clISt17integral_constantIbLb1EES16_EEDaS11_S12_EUlS11_E_NS1_11comp_targetILNS1_3genE9ELNS1_11target_archE1100ELNS1_3gpuE3ELNS1_3repE0EEENS1_30default_config_static_selectorELNS0_4arch9wavefront6targetE0EEEvT1_
                                        ; -- End function
	.section	.AMDGPU.csdata,"",@progbits
; Kernel info:
; codeLenInByte = 6656
; NumSgprs: 26
; NumVgprs: 57
; ScratchSize: 0
; MemoryBound: 0
; FloatMode: 240
; IeeeMode: 1
; LDSByteSize: 6160 bytes/workgroup (compile time only)
; SGPRBlocks: 3
; VGPRBlocks: 7
; NumSGPRsForWavesPerEU: 26
; NumVGPRsForWavesPerEU: 57
; Occupancy: 16
; WaveLimiterHint : 1
; COMPUTE_PGM_RSRC2:SCRATCH_EN: 0
; COMPUTE_PGM_RSRC2:USER_SGPR: 15
; COMPUTE_PGM_RSRC2:TRAP_HANDLER: 0
; COMPUTE_PGM_RSRC2:TGID_X_EN: 1
; COMPUTE_PGM_RSRC2:TGID_Y_EN: 0
; COMPUTE_PGM_RSRC2:TGID_Z_EN: 0
; COMPUTE_PGM_RSRC2:TIDIG_COMP_CNT: 0
	.section	.text._ZN7rocprim17ROCPRIM_400000_NS6detail17trampoline_kernelINS0_14default_configENS1_25partition_config_selectorILNS1_17partition_subalgoE5ElNS0_10empty_typeEbEEZZNS1_14partition_implILS5_5ELb0ES3_mN6hipcub16HIPCUB_304000_NS21CountingInputIteratorIllEEPS6_NSA_22TransformInputIteratorIb7NonZeroIdEPdlEENS0_5tupleIJPlS6_EEENSJ_IJSD_SD_EEES6_SK_JS6_EEE10hipError_tPvRmT3_T4_T5_T6_T7_T9_mT8_P12ihipStream_tbDpT10_ENKUlT_T0_E_clISt17integral_constantIbLb1EES16_EEDaS11_S12_EUlS11_E_NS1_11comp_targetILNS1_3genE8ELNS1_11target_archE1030ELNS1_3gpuE2ELNS1_3repE0EEENS1_30default_config_static_selectorELNS0_4arch9wavefront6targetE0EEEvT1_,"axG",@progbits,_ZN7rocprim17ROCPRIM_400000_NS6detail17trampoline_kernelINS0_14default_configENS1_25partition_config_selectorILNS1_17partition_subalgoE5ElNS0_10empty_typeEbEEZZNS1_14partition_implILS5_5ELb0ES3_mN6hipcub16HIPCUB_304000_NS21CountingInputIteratorIllEEPS6_NSA_22TransformInputIteratorIb7NonZeroIdEPdlEENS0_5tupleIJPlS6_EEENSJ_IJSD_SD_EEES6_SK_JS6_EEE10hipError_tPvRmT3_T4_T5_T6_T7_T9_mT8_P12ihipStream_tbDpT10_ENKUlT_T0_E_clISt17integral_constantIbLb1EES16_EEDaS11_S12_EUlS11_E_NS1_11comp_targetILNS1_3genE8ELNS1_11target_archE1030ELNS1_3gpuE2ELNS1_3repE0EEENS1_30default_config_static_selectorELNS0_4arch9wavefront6targetE0EEEvT1_,comdat
	.protected	_ZN7rocprim17ROCPRIM_400000_NS6detail17trampoline_kernelINS0_14default_configENS1_25partition_config_selectorILNS1_17partition_subalgoE5ElNS0_10empty_typeEbEEZZNS1_14partition_implILS5_5ELb0ES3_mN6hipcub16HIPCUB_304000_NS21CountingInputIteratorIllEEPS6_NSA_22TransformInputIteratorIb7NonZeroIdEPdlEENS0_5tupleIJPlS6_EEENSJ_IJSD_SD_EEES6_SK_JS6_EEE10hipError_tPvRmT3_T4_T5_T6_T7_T9_mT8_P12ihipStream_tbDpT10_ENKUlT_T0_E_clISt17integral_constantIbLb1EES16_EEDaS11_S12_EUlS11_E_NS1_11comp_targetILNS1_3genE8ELNS1_11target_archE1030ELNS1_3gpuE2ELNS1_3repE0EEENS1_30default_config_static_selectorELNS0_4arch9wavefront6targetE0EEEvT1_ ; -- Begin function _ZN7rocprim17ROCPRIM_400000_NS6detail17trampoline_kernelINS0_14default_configENS1_25partition_config_selectorILNS1_17partition_subalgoE5ElNS0_10empty_typeEbEEZZNS1_14partition_implILS5_5ELb0ES3_mN6hipcub16HIPCUB_304000_NS21CountingInputIteratorIllEEPS6_NSA_22TransformInputIteratorIb7NonZeroIdEPdlEENS0_5tupleIJPlS6_EEENSJ_IJSD_SD_EEES6_SK_JS6_EEE10hipError_tPvRmT3_T4_T5_T6_T7_T9_mT8_P12ihipStream_tbDpT10_ENKUlT_T0_E_clISt17integral_constantIbLb1EES16_EEDaS11_S12_EUlS11_E_NS1_11comp_targetILNS1_3genE8ELNS1_11target_archE1030ELNS1_3gpuE2ELNS1_3repE0EEENS1_30default_config_static_selectorELNS0_4arch9wavefront6targetE0EEEvT1_
	.globl	_ZN7rocprim17ROCPRIM_400000_NS6detail17trampoline_kernelINS0_14default_configENS1_25partition_config_selectorILNS1_17partition_subalgoE5ElNS0_10empty_typeEbEEZZNS1_14partition_implILS5_5ELb0ES3_mN6hipcub16HIPCUB_304000_NS21CountingInputIteratorIllEEPS6_NSA_22TransformInputIteratorIb7NonZeroIdEPdlEENS0_5tupleIJPlS6_EEENSJ_IJSD_SD_EEES6_SK_JS6_EEE10hipError_tPvRmT3_T4_T5_T6_T7_T9_mT8_P12ihipStream_tbDpT10_ENKUlT_T0_E_clISt17integral_constantIbLb1EES16_EEDaS11_S12_EUlS11_E_NS1_11comp_targetILNS1_3genE8ELNS1_11target_archE1030ELNS1_3gpuE2ELNS1_3repE0EEENS1_30default_config_static_selectorELNS0_4arch9wavefront6targetE0EEEvT1_
	.p2align	8
	.type	_ZN7rocprim17ROCPRIM_400000_NS6detail17trampoline_kernelINS0_14default_configENS1_25partition_config_selectorILNS1_17partition_subalgoE5ElNS0_10empty_typeEbEEZZNS1_14partition_implILS5_5ELb0ES3_mN6hipcub16HIPCUB_304000_NS21CountingInputIteratorIllEEPS6_NSA_22TransformInputIteratorIb7NonZeroIdEPdlEENS0_5tupleIJPlS6_EEENSJ_IJSD_SD_EEES6_SK_JS6_EEE10hipError_tPvRmT3_T4_T5_T6_T7_T9_mT8_P12ihipStream_tbDpT10_ENKUlT_T0_E_clISt17integral_constantIbLb1EES16_EEDaS11_S12_EUlS11_E_NS1_11comp_targetILNS1_3genE8ELNS1_11target_archE1030ELNS1_3gpuE2ELNS1_3repE0EEENS1_30default_config_static_selectorELNS0_4arch9wavefront6targetE0EEEvT1_,@function
_ZN7rocprim17ROCPRIM_400000_NS6detail17trampoline_kernelINS0_14default_configENS1_25partition_config_selectorILNS1_17partition_subalgoE5ElNS0_10empty_typeEbEEZZNS1_14partition_implILS5_5ELb0ES3_mN6hipcub16HIPCUB_304000_NS21CountingInputIteratorIllEEPS6_NSA_22TransformInputIteratorIb7NonZeroIdEPdlEENS0_5tupleIJPlS6_EEENSJ_IJSD_SD_EEES6_SK_JS6_EEE10hipError_tPvRmT3_T4_T5_T6_T7_T9_mT8_P12ihipStream_tbDpT10_ENKUlT_T0_E_clISt17integral_constantIbLb1EES16_EEDaS11_S12_EUlS11_E_NS1_11comp_targetILNS1_3genE8ELNS1_11target_archE1030ELNS1_3gpuE2ELNS1_3repE0EEENS1_30default_config_static_selectorELNS0_4arch9wavefront6targetE0EEEvT1_: ; @_ZN7rocprim17ROCPRIM_400000_NS6detail17trampoline_kernelINS0_14default_configENS1_25partition_config_selectorILNS1_17partition_subalgoE5ElNS0_10empty_typeEbEEZZNS1_14partition_implILS5_5ELb0ES3_mN6hipcub16HIPCUB_304000_NS21CountingInputIteratorIllEEPS6_NSA_22TransformInputIteratorIb7NonZeroIdEPdlEENS0_5tupleIJPlS6_EEENSJ_IJSD_SD_EEES6_SK_JS6_EEE10hipError_tPvRmT3_T4_T5_T6_T7_T9_mT8_P12ihipStream_tbDpT10_ENKUlT_T0_E_clISt17integral_constantIbLb1EES16_EEDaS11_S12_EUlS11_E_NS1_11comp_targetILNS1_3genE8ELNS1_11target_archE1030ELNS1_3gpuE2ELNS1_3repE0EEENS1_30default_config_static_selectorELNS0_4arch9wavefront6targetE0EEEvT1_
; %bb.0:
	.section	.rodata,"a",@progbits
	.p2align	6, 0x0
	.amdhsa_kernel _ZN7rocprim17ROCPRIM_400000_NS6detail17trampoline_kernelINS0_14default_configENS1_25partition_config_selectorILNS1_17partition_subalgoE5ElNS0_10empty_typeEbEEZZNS1_14partition_implILS5_5ELb0ES3_mN6hipcub16HIPCUB_304000_NS21CountingInputIteratorIllEEPS6_NSA_22TransformInputIteratorIb7NonZeroIdEPdlEENS0_5tupleIJPlS6_EEENSJ_IJSD_SD_EEES6_SK_JS6_EEE10hipError_tPvRmT3_T4_T5_T6_T7_T9_mT8_P12ihipStream_tbDpT10_ENKUlT_T0_E_clISt17integral_constantIbLb1EES16_EEDaS11_S12_EUlS11_E_NS1_11comp_targetILNS1_3genE8ELNS1_11target_archE1030ELNS1_3gpuE2ELNS1_3repE0EEENS1_30default_config_static_selectorELNS0_4arch9wavefront6targetE0EEEvT1_
		.amdhsa_group_segment_fixed_size 0
		.amdhsa_private_segment_fixed_size 0
		.amdhsa_kernarg_size 136
		.amdhsa_user_sgpr_count 15
		.amdhsa_user_sgpr_dispatch_ptr 0
		.amdhsa_user_sgpr_queue_ptr 0
		.amdhsa_user_sgpr_kernarg_segment_ptr 1
		.amdhsa_user_sgpr_dispatch_id 0
		.amdhsa_user_sgpr_private_segment_size 0
		.amdhsa_wavefront_size32 1
		.amdhsa_uses_dynamic_stack 0
		.amdhsa_enable_private_segment 0
		.amdhsa_system_sgpr_workgroup_id_x 1
		.amdhsa_system_sgpr_workgroup_id_y 0
		.amdhsa_system_sgpr_workgroup_id_z 0
		.amdhsa_system_sgpr_workgroup_info 0
		.amdhsa_system_vgpr_workitem_id 0
		.amdhsa_next_free_vgpr 1
		.amdhsa_next_free_sgpr 1
		.amdhsa_reserve_vcc 0
		.amdhsa_float_round_mode_32 0
		.amdhsa_float_round_mode_16_64 0
		.amdhsa_float_denorm_mode_32 3
		.amdhsa_float_denorm_mode_16_64 3
		.amdhsa_dx10_clamp 1
		.amdhsa_ieee_mode 1
		.amdhsa_fp16_overflow 0
		.amdhsa_workgroup_processor_mode 1
		.amdhsa_memory_ordered 1
		.amdhsa_forward_progress 0
		.amdhsa_shared_vgpr_count 0
		.amdhsa_exception_fp_ieee_invalid_op 0
		.amdhsa_exception_fp_denorm_src 0
		.amdhsa_exception_fp_ieee_div_zero 0
		.amdhsa_exception_fp_ieee_overflow 0
		.amdhsa_exception_fp_ieee_underflow 0
		.amdhsa_exception_fp_ieee_inexact 0
		.amdhsa_exception_int_div_zero 0
	.end_amdhsa_kernel
	.section	.text._ZN7rocprim17ROCPRIM_400000_NS6detail17trampoline_kernelINS0_14default_configENS1_25partition_config_selectorILNS1_17partition_subalgoE5ElNS0_10empty_typeEbEEZZNS1_14partition_implILS5_5ELb0ES3_mN6hipcub16HIPCUB_304000_NS21CountingInputIteratorIllEEPS6_NSA_22TransformInputIteratorIb7NonZeroIdEPdlEENS0_5tupleIJPlS6_EEENSJ_IJSD_SD_EEES6_SK_JS6_EEE10hipError_tPvRmT3_T4_T5_T6_T7_T9_mT8_P12ihipStream_tbDpT10_ENKUlT_T0_E_clISt17integral_constantIbLb1EES16_EEDaS11_S12_EUlS11_E_NS1_11comp_targetILNS1_3genE8ELNS1_11target_archE1030ELNS1_3gpuE2ELNS1_3repE0EEENS1_30default_config_static_selectorELNS0_4arch9wavefront6targetE0EEEvT1_,"axG",@progbits,_ZN7rocprim17ROCPRIM_400000_NS6detail17trampoline_kernelINS0_14default_configENS1_25partition_config_selectorILNS1_17partition_subalgoE5ElNS0_10empty_typeEbEEZZNS1_14partition_implILS5_5ELb0ES3_mN6hipcub16HIPCUB_304000_NS21CountingInputIteratorIllEEPS6_NSA_22TransformInputIteratorIb7NonZeroIdEPdlEENS0_5tupleIJPlS6_EEENSJ_IJSD_SD_EEES6_SK_JS6_EEE10hipError_tPvRmT3_T4_T5_T6_T7_T9_mT8_P12ihipStream_tbDpT10_ENKUlT_T0_E_clISt17integral_constantIbLb1EES16_EEDaS11_S12_EUlS11_E_NS1_11comp_targetILNS1_3genE8ELNS1_11target_archE1030ELNS1_3gpuE2ELNS1_3repE0EEENS1_30default_config_static_selectorELNS0_4arch9wavefront6targetE0EEEvT1_,comdat
.Lfunc_end336:
	.size	_ZN7rocprim17ROCPRIM_400000_NS6detail17trampoline_kernelINS0_14default_configENS1_25partition_config_selectorILNS1_17partition_subalgoE5ElNS0_10empty_typeEbEEZZNS1_14partition_implILS5_5ELb0ES3_mN6hipcub16HIPCUB_304000_NS21CountingInputIteratorIllEEPS6_NSA_22TransformInputIteratorIb7NonZeroIdEPdlEENS0_5tupleIJPlS6_EEENSJ_IJSD_SD_EEES6_SK_JS6_EEE10hipError_tPvRmT3_T4_T5_T6_T7_T9_mT8_P12ihipStream_tbDpT10_ENKUlT_T0_E_clISt17integral_constantIbLb1EES16_EEDaS11_S12_EUlS11_E_NS1_11comp_targetILNS1_3genE8ELNS1_11target_archE1030ELNS1_3gpuE2ELNS1_3repE0EEENS1_30default_config_static_selectorELNS0_4arch9wavefront6targetE0EEEvT1_, .Lfunc_end336-_ZN7rocprim17ROCPRIM_400000_NS6detail17trampoline_kernelINS0_14default_configENS1_25partition_config_selectorILNS1_17partition_subalgoE5ElNS0_10empty_typeEbEEZZNS1_14partition_implILS5_5ELb0ES3_mN6hipcub16HIPCUB_304000_NS21CountingInputIteratorIllEEPS6_NSA_22TransformInputIteratorIb7NonZeroIdEPdlEENS0_5tupleIJPlS6_EEENSJ_IJSD_SD_EEES6_SK_JS6_EEE10hipError_tPvRmT3_T4_T5_T6_T7_T9_mT8_P12ihipStream_tbDpT10_ENKUlT_T0_E_clISt17integral_constantIbLb1EES16_EEDaS11_S12_EUlS11_E_NS1_11comp_targetILNS1_3genE8ELNS1_11target_archE1030ELNS1_3gpuE2ELNS1_3repE0EEENS1_30default_config_static_selectorELNS0_4arch9wavefront6targetE0EEEvT1_
                                        ; -- End function
	.section	.AMDGPU.csdata,"",@progbits
; Kernel info:
; codeLenInByte = 0
; NumSgprs: 0
; NumVgprs: 0
; ScratchSize: 0
; MemoryBound: 0
; FloatMode: 240
; IeeeMode: 1
; LDSByteSize: 0 bytes/workgroup (compile time only)
; SGPRBlocks: 0
; VGPRBlocks: 0
; NumSGPRsForWavesPerEU: 1
; NumVGPRsForWavesPerEU: 1
; Occupancy: 16
; WaveLimiterHint : 0
; COMPUTE_PGM_RSRC2:SCRATCH_EN: 0
; COMPUTE_PGM_RSRC2:USER_SGPR: 15
; COMPUTE_PGM_RSRC2:TRAP_HANDLER: 0
; COMPUTE_PGM_RSRC2:TGID_X_EN: 1
; COMPUTE_PGM_RSRC2:TGID_Y_EN: 0
; COMPUTE_PGM_RSRC2:TGID_Z_EN: 0
; COMPUTE_PGM_RSRC2:TIDIG_COMP_CNT: 0
	.section	.text._ZN7rocprim17ROCPRIM_400000_NS6detail17trampoline_kernelINS0_14default_configENS1_25partition_config_selectorILNS1_17partition_subalgoE5ElNS0_10empty_typeEbEEZZNS1_14partition_implILS5_5ELb0ES3_mN6hipcub16HIPCUB_304000_NS21CountingInputIteratorIllEEPS6_NSA_22TransformInputIteratorIb7NonZeroIdEPdlEENS0_5tupleIJPlS6_EEENSJ_IJSD_SD_EEES6_SK_JS6_EEE10hipError_tPvRmT3_T4_T5_T6_T7_T9_mT8_P12ihipStream_tbDpT10_ENKUlT_T0_E_clISt17integral_constantIbLb1EES15_IbLb0EEEEDaS11_S12_EUlS11_E_NS1_11comp_targetILNS1_3genE0ELNS1_11target_archE4294967295ELNS1_3gpuE0ELNS1_3repE0EEENS1_30default_config_static_selectorELNS0_4arch9wavefront6targetE0EEEvT1_,"axG",@progbits,_ZN7rocprim17ROCPRIM_400000_NS6detail17trampoline_kernelINS0_14default_configENS1_25partition_config_selectorILNS1_17partition_subalgoE5ElNS0_10empty_typeEbEEZZNS1_14partition_implILS5_5ELb0ES3_mN6hipcub16HIPCUB_304000_NS21CountingInputIteratorIllEEPS6_NSA_22TransformInputIteratorIb7NonZeroIdEPdlEENS0_5tupleIJPlS6_EEENSJ_IJSD_SD_EEES6_SK_JS6_EEE10hipError_tPvRmT3_T4_T5_T6_T7_T9_mT8_P12ihipStream_tbDpT10_ENKUlT_T0_E_clISt17integral_constantIbLb1EES15_IbLb0EEEEDaS11_S12_EUlS11_E_NS1_11comp_targetILNS1_3genE0ELNS1_11target_archE4294967295ELNS1_3gpuE0ELNS1_3repE0EEENS1_30default_config_static_selectorELNS0_4arch9wavefront6targetE0EEEvT1_,comdat
	.protected	_ZN7rocprim17ROCPRIM_400000_NS6detail17trampoline_kernelINS0_14default_configENS1_25partition_config_selectorILNS1_17partition_subalgoE5ElNS0_10empty_typeEbEEZZNS1_14partition_implILS5_5ELb0ES3_mN6hipcub16HIPCUB_304000_NS21CountingInputIteratorIllEEPS6_NSA_22TransformInputIteratorIb7NonZeroIdEPdlEENS0_5tupleIJPlS6_EEENSJ_IJSD_SD_EEES6_SK_JS6_EEE10hipError_tPvRmT3_T4_T5_T6_T7_T9_mT8_P12ihipStream_tbDpT10_ENKUlT_T0_E_clISt17integral_constantIbLb1EES15_IbLb0EEEEDaS11_S12_EUlS11_E_NS1_11comp_targetILNS1_3genE0ELNS1_11target_archE4294967295ELNS1_3gpuE0ELNS1_3repE0EEENS1_30default_config_static_selectorELNS0_4arch9wavefront6targetE0EEEvT1_ ; -- Begin function _ZN7rocprim17ROCPRIM_400000_NS6detail17trampoline_kernelINS0_14default_configENS1_25partition_config_selectorILNS1_17partition_subalgoE5ElNS0_10empty_typeEbEEZZNS1_14partition_implILS5_5ELb0ES3_mN6hipcub16HIPCUB_304000_NS21CountingInputIteratorIllEEPS6_NSA_22TransformInputIteratorIb7NonZeroIdEPdlEENS0_5tupleIJPlS6_EEENSJ_IJSD_SD_EEES6_SK_JS6_EEE10hipError_tPvRmT3_T4_T5_T6_T7_T9_mT8_P12ihipStream_tbDpT10_ENKUlT_T0_E_clISt17integral_constantIbLb1EES15_IbLb0EEEEDaS11_S12_EUlS11_E_NS1_11comp_targetILNS1_3genE0ELNS1_11target_archE4294967295ELNS1_3gpuE0ELNS1_3repE0EEENS1_30default_config_static_selectorELNS0_4arch9wavefront6targetE0EEEvT1_
	.globl	_ZN7rocprim17ROCPRIM_400000_NS6detail17trampoline_kernelINS0_14default_configENS1_25partition_config_selectorILNS1_17partition_subalgoE5ElNS0_10empty_typeEbEEZZNS1_14partition_implILS5_5ELb0ES3_mN6hipcub16HIPCUB_304000_NS21CountingInputIteratorIllEEPS6_NSA_22TransformInputIteratorIb7NonZeroIdEPdlEENS0_5tupleIJPlS6_EEENSJ_IJSD_SD_EEES6_SK_JS6_EEE10hipError_tPvRmT3_T4_T5_T6_T7_T9_mT8_P12ihipStream_tbDpT10_ENKUlT_T0_E_clISt17integral_constantIbLb1EES15_IbLb0EEEEDaS11_S12_EUlS11_E_NS1_11comp_targetILNS1_3genE0ELNS1_11target_archE4294967295ELNS1_3gpuE0ELNS1_3repE0EEENS1_30default_config_static_selectorELNS0_4arch9wavefront6targetE0EEEvT1_
	.p2align	8
	.type	_ZN7rocprim17ROCPRIM_400000_NS6detail17trampoline_kernelINS0_14default_configENS1_25partition_config_selectorILNS1_17partition_subalgoE5ElNS0_10empty_typeEbEEZZNS1_14partition_implILS5_5ELb0ES3_mN6hipcub16HIPCUB_304000_NS21CountingInputIteratorIllEEPS6_NSA_22TransformInputIteratorIb7NonZeroIdEPdlEENS0_5tupleIJPlS6_EEENSJ_IJSD_SD_EEES6_SK_JS6_EEE10hipError_tPvRmT3_T4_T5_T6_T7_T9_mT8_P12ihipStream_tbDpT10_ENKUlT_T0_E_clISt17integral_constantIbLb1EES15_IbLb0EEEEDaS11_S12_EUlS11_E_NS1_11comp_targetILNS1_3genE0ELNS1_11target_archE4294967295ELNS1_3gpuE0ELNS1_3repE0EEENS1_30default_config_static_selectorELNS0_4arch9wavefront6targetE0EEEvT1_,@function
_ZN7rocprim17ROCPRIM_400000_NS6detail17trampoline_kernelINS0_14default_configENS1_25partition_config_selectorILNS1_17partition_subalgoE5ElNS0_10empty_typeEbEEZZNS1_14partition_implILS5_5ELb0ES3_mN6hipcub16HIPCUB_304000_NS21CountingInputIteratorIllEEPS6_NSA_22TransformInputIteratorIb7NonZeroIdEPdlEENS0_5tupleIJPlS6_EEENSJ_IJSD_SD_EEES6_SK_JS6_EEE10hipError_tPvRmT3_T4_T5_T6_T7_T9_mT8_P12ihipStream_tbDpT10_ENKUlT_T0_E_clISt17integral_constantIbLb1EES15_IbLb0EEEEDaS11_S12_EUlS11_E_NS1_11comp_targetILNS1_3genE0ELNS1_11target_archE4294967295ELNS1_3gpuE0ELNS1_3repE0EEENS1_30default_config_static_selectorELNS0_4arch9wavefront6targetE0EEEvT1_: ; @_ZN7rocprim17ROCPRIM_400000_NS6detail17trampoline_kernelINS0_14default_configENS1_25partition_config_selectorILNS1_17partition_subalgoE5ElNS0_10empty_typeEbEEZZNS1_14partition_implILS5_5ELb0ES3_mN6hipcub16HIPCUB_304000_NS21CountingInputIteratorIllEEPS6_NSA_22TransformInputIteratorIb7NonZeroIdEPdlEENS0_5tupleIJPlS6_EEENSJ_IJSD_SD_EEES6_SK_JS6_EEE10hipError_tPvRmT3_T4_T5_T6_T7_T9_mT8_P12ihipStream_tbDpT10_ENKUlT_T0_E_clISt17integral_constantIbLb1EES15_IbLb0EEEEDaS11_S12_EUlS11_E_NS1_11comp_targetILNS1_3genE0ELNS1_11target_archE4294967295ELNS1_3gpuE0ELNS1_3repE0EEENS1_30default_config_static_selectorELNS0_4arch9wavefront6targetE0EEEvT1_
; %bb.0:
	.section	.rodata,"a",@progbits
	.p2align	6, 0x0
	.amdhsa_kernel _ZN7rocprim17ROCPRIM_400000_NS6detail17trampoline_kernelINS0_14default_configENS1_25partition_config_selectorILNS1_17partition_subalgoE5ElNS0_10empty_typeEbEEZZNS1_14partition_implILS5_5ELb0ES3_mN6hipcub16HIPCUB_304000_NS21CountingInputIteratorIllEEPS6_NSA_22TransformInputIteratorIb7NonZeroIdEPdlEENS0_5tupleIJPlS6_EEENSJ_IJSD_SD_EEES6_SK_JS6_EEE10hipError_tPvRmT3_T4_T5_T6_T7_T9_mT8_P12ihipStream_tbDpT10_ENKUlT_T0_E_clISt17integral_constantIbLb1EES15_IbLb0EEEEDaS11_S12_EUlS11_E_NS1_11comp_targetILNS1_3genE0ELNS1_11target_archE4294967295ELNS1_3gpuE0ELNS1_3repE0EEENS1_30default_config_static_selectorELNS0_4arch9wavefront6targetE0EEEvT1_
		.amdhsa_group_segment_fixed_size 0
		.amdhsa_private_segment_fixed_size 0
		.amdhsa_kernarg_size 120
		.amdhsa_user_sgpr_count 15
		.amdhsa_user_sgpr_dispatch_ptr 0
		.amdhsa_user_sgpr_queue_ptr 0
		.amdhsa_user_sgpr_kernarg_segment_ptr 1
		.amdhsa_user_sgpr_dispatch_id 0
		.amdhsa_user_sgpr_private_segment_size 0
		.amdhsa_wavefront_size32 1
		.amdhsa_uses_dynamic_stack 0
		.amdhsa_enable_private_segment 0
		.amdhsa_system_sgpr_workgroup_id_x 1
		.amdhsa_system_sgpr_workgroup_id_y 0
		.amdhsa_system_sgpr_workgroup_id_z 0
		.amdhsa_system_sgpr_workgroup_info 0
		.amdhsa_system_vgpr_workitem_id 0
		.amdhsa_next_free_vgpr 1
		.amdhsa_next_free_sgpr 1
		.amdhsa_reserve_vcc 0
		.amdhsa_float_round_mode_32 0
		.amdhsa_float_round_mode_16_64 0
		.amdhsa_float_denorm_mode_32 3
		.amdhsa_float_denorm_mode_16_64 3
		.amdhsa_dx10_clamp 1
		.amdhsa_ieee_mode 1
		.amdhsa_fp16_overflow 0
		.amdhsa_workgroup_processor_mode 1
		.amdhsa_memory_ordered 1
		.amdhsa_forward_progress 0
		.amdhsa_shared_vgpr_count 0
		.amdhsa_exception_fp_ieee_invalid_op 0
		.amdhsa_exception_fp_denorm_src 0
		.amdhsa_exception_fp_ieee_div_zero 0
		.amdhsa_exception_fp_ieee_overflow 0
		.amdhsa_exception_fp_ieee_underflow 0
		.amdhsa_exception_fp_ieee_inexact 0
		.amdhsa_exception_int_div_zero 0
	.end_amdhsa_kernel
	.section	.text._ZN7rocprim17ROCPRIM_400000_NS6detail17trampoline_kernelINS0_14default_configENS1_25partition_config_selectorILNS1_17partition_subalgoE5ElNS0_10empty_typeEbEEZZNS1_14partition_implILS5_5ELb0ES3_mN6hipcub16HIPCUB_304000_NS21CountingInputIteratorIllEEPS6_NSA_22TransformInputIteratorIb7NonZeroIdEPdlEENS0_5tupleIJPlS6_EEENSJ_IJSD_SD_EEES6_SK_JS6_EEE10hipError_tPvRmT3_T4_T5_T6_T7_T9_mT8_P12ihipStream_tbDpT10_ENKUlT_T0_E_clISt17integral_constantIbLb1EES15_IbLb0EEEEDaS11_S12_EUlS11_E_NS1_11comp_targetILNS1_3genE0ELNS1_11target_archE4294967295ELNS1_3gpuE0ELNS1_3repE0EEENS1_30default_config_static_selectorELNS0_4arch9wavefront6targetE0EEEvT1_,"axG",@progbits,_ZN7rocprim17ROCPRIM_400000_NS6detail17trampoline_kernelINS0_14default_configENS1_25partition_config_selectorILNS1_17partition_subalgoE5ElNS0_10empty_typeEbEEZZNS1_14partition_implILS5_5ELb0ES3_mN6hipcub16HIPCUB_304000_NS21CountingInputIteratorIllEEPS6_NSA_22TransformInputIteratorIb7NonZeroIdEPdlEENS0_5tupleIJPlS6_EEENSJ_IJSD_SD_EEES6_SK_JS6_EEE10hipError_tPvRmT3_T4_T5_T6_T7_T9_mT8_P12ihipStream_tbDpT10_ENKUlT_T0_E_clISt17integral_constantIbLb1EES15_IbLb0EEEEDaS11_S12_EUlS11_E_NS1_11comp_targetILNS1_3genE0ELNS1_11target_archE4294967295ELNS1_3gpuE0ELNS1_3repE0EEENS1_30default_config_static_selectorELNS0_4arch9wavefront6targetE0EEEvT1_,comdat
.Lfunc_end337:
	.size	_ZN7rocprim17ROCPRIM_400000_NS6detail17trampoline_kernelINS0_14default_configENS1_25partition_config_selectorILNS1_17partition_subalgoE5ElNS0_10empty_typeEbEEZZNS1_14partition_implILS5_5ELb0ES3_mN6hipcub16HIPCUB_304000_NS21CountingInputIteratorIllEEPS6_NSA_22TransformInputIteratorIb7NonZeroIdEPdlEENS0_5tupleIJPlS6_EEENSJ_IJSD_SD_EEES6_SK_JS6_EEE10hipError_tPvRmT3_T4_T5_T6_T7_T9_mT8_P12ihipStream_tbDpT10_ENKUlT_T0_E_clISt17integral_constantIbLb1EES15_IbLb0EEEEDaS11_S12_EUlS11_E_NS1_11comp_targetILNS1_3genE0ELNS1_11target_archE4294967295ELNS1_3gpuE0ELNS1_3repE0EEENS1_30default_config_static_selectorELNS0_4arch9wavefront6targetE0EEEvT1_, .Lfunc_end337-_ZN7rocprim17ROCPRIM_400000_NS6detail17trampoline_kernelINS0_14default_configENS1_25partition_config_selectorILNS1_17partition_subalgoE5ElNS0_10empty_typeEbEEZZNS1_14partition_implILS5_5ELb0ES3_mN6hipcub16HIPCUB_304000_NS21CountingInputIteratorIllEEPS6_NSA_22TransformInputIteratorIb7NonZeroIdEPdlEENS0_5tupleIJPlS6_EEENSJ_IJSD_SD_EEES6_SK_JS6_EEE10hipError_tPvRmT3_T4_T5_T6_T7_T9_mT8_P12ihipStream_tbDpT10_ENKUlT_T0_E_clISt17integral_constantIbLb1EES15_IbLb0EEEEDaS11_S12_EUlS11_E_NS1_11comp_targetILNS1_3genE0ELNS1_11target_archE4294967295ELNS1_3gpuE0ELNS1_3repE0EEENS1_30default_config_static_selectorELNS0_4arch9wavefront6targetE0EEEvT1_
                                        ; -- End function
	.section	.AMDGPU.csdata,"",@progbits
; Kernel info:
; codeLenInByte = 0
; NumSgprs: 0
; NumVgprs: 0
; ScratchSize: 0
; MemoryBound: 0
; FloatMode: 240
; IeeeMode: 1
; LDSByteSize: 0 bytes/workgroup (compile time only)
; SGPRBlocks: 0
; VGPRBlocks: 0
; NumSGPRsForWavesPerEU: 1
; NumVGPRsForWavesPerEU: 1
; Occupancy: 16
; WaveLimiterHint : 0
; COMPUTE_PGM_RSRC2:SCRATCH_EN: 0
; COMPUTE_PGM_RSRC2:USER_SGPR: 15
; COMPUTE_PGM_RSRC2:TRAP_HANDLER: 0
; COMPUTE_PGM_RSRC2:TGID_X_EN: 1
; COMPUTE_PGM_RSRC2:TGID_Y_EN: 0
; COMPUTE_PGM_RSRC2:TGID_Z_EN: 0
; COMPUTE_PGM_RSRC2:TIDIG_COMP_CNT: 0
	.section	.text._ZN7rocprim17ROCPRIM_400000_NS6detail17trampoline_kernelINS0_14default_configENS1_25partition_config_selectorILNS1_17partition_subalgoE5ElNS0_10empty_typeEbEEZZNS1_14partition_implILS5_5ELb0ES3_mN6hipcub16HIPCUB_304000_NS21CountingInputIteratorIllEEPS6_NSA_22TransformInputIteratorIb7NonZeroIdEPdlEENS0_5tupleIJPlS6_EEENSJ_IJSD_SD_EEES6_SK_JS6_EEE10hipError_tPvRmT3_T4_T5_T6_T7_T9_mT8_P12ihipStream_tbDpT10_ENKUlT_T0_E_clISt17integral_constantIbLb1EES15_IbLb0EEEEDaS11_S12_EUlS11_E_NS1_11comp_targetILNS1_3genE5ELNS1_11target_archE942ELNS1_3gpuE9ELNS1_3repE0EEENS1_30default_config_static_selectorELNS0_4arch9wavefront6targetE0EEEvT1_,"axG",@progbits,_ZN7rocprim17ROCPRIM_400000_NS6detail17trampoline_kernelINS0_14default_configENS1_25partition_config_selectorILNS1_17partition_subalgoE5ElNS0_10empty_typeEbEEZZNS1_14partition_implILS5_5ELb0ES3_mN6hipcub16HIPCUB_304000_NS21CountingInputIteratorIllEEPS6_NSA_22TransformInputIteratorIb7NonZeroIdEPdlEENS0_5tupleIJPlS6_EEENSJ_IJSD_SD_EEES6_SK_JS6_EEE10hipError_tPvRmT3_T4_T5_T6_T7_T9_mT8_P12ihipStream_tbDpT10_ENKUlT_T0_E_clISt17integral_constantIbLb1EES15_IbLb0EEEEDaS11_S12_EUlS11_E_NS1_11comp_targetILNS1_3genE5ELNS1_11target_archE942ELNS1_3gpuE9ELNS1_3repE0EEENS1_30default_config_static_selectorELNS0_4arch9wavefront6targetE0EEEvT1_,comdat
	.protected	_ZN7rocprim17ROCPRIM_400000_NS6detail17trampoline_kernelINS0_14default_configENS1_25partition_config_selectorILNS1_17partition_subalgoE5ElNS0_10empty_typeEbEEZZNS1_14partition_implILS5_5ELb0ES3_mN6hipcub16HIPCUB_304000_NS21CountingInputIteratorIllEEPS6_NSA_22TransformInputIteratorIb7NonZeroIdEPdlEENS0_5tupleIJPlS6_EEENSJ_IJSD_SD_EEES6_SK_JS6_EEE10hipError_tPvRmT3_T4_T5_T6_T7_T9_mT8_P12ihipStream_tbDpT10_ENKUlT_T0_E_clISt17integral_constantIbLb1EES15_IbLb0EEEEDaS11_S12_EUlS11_E_NS1_11comp_targetILNS1_3genE5ELNS1_11target_archE942ELNS1_3gpuE9ELNS1_3repE0EEENS1_30default_config_static_selectorELNS0_4arch9wavefront6targetE0EEEvT1_ ; -- Begin function _ZN7rocprim17ROCPRIM_400000_NS6detail17trampoline_kernelINS0_14default_configENS1_25partition_config_selectorILNS1_17partition_subalgoE5ElNS0_10empty_typeEbEEZZNS1_14partition_implILS5_5ELb0ES3_mN6hipcub16HIPCUB_304000_NS21CountingInputIteratorIllEEPS6_NSA_22TransformInputIteratorIb7NonZeroIdEPdlEENS0_5tupleIJPlS6_EEENSJ_IJSD_SD_EEES6_SK_JS6_EEE10hipError_tPvRmT3_T4_T5_T6_T7_T9_mT8_P12ihipStream_tbDpT10_ENKUlT_T0_E_clISt17integral_constantIbLb1EES15_IbLb0EEEEDaS11_S12_EUlS11_E_NS1_11comp_targetILNS1_3genE5ELNS1_11target_archE942ELNS1_3gpuE9ELNS1_3repE0EEENS1_30default_config_static_selectorELNS0_4arch9wavefront6targetE0EEEvT1_
	.globl	_ZN7rocprim17ROCPRIM_400000_NS6detail17trampoline_kernelINS0_14default_configENS1_25partition_config_selectorILNS1_17partition_subalgoE5ElNS0_10empty_typeEbEEZZNS1_14partition_implILS5_5ELb0ES3_mN6hipcub16HIPCUB_304000_NS21CountingInputIteratorIllEEPS6_NSA_22TransformInputIteratorIb7NonZeroIdEPdlEENS0_5tupleIJPlS6_EEENSJ_IJSD_SD_EEES6_SK_JS6_EEE10hipError_tPvRmT3_T4_T5_T6_T7_T9_mT8_P12ihipStream_tbDpT10_ENKUlT_T0_E_clISt17integral_constantIbLb1EES15_IbLb0EEEEDaS11_S12_EUlS11_E_NS1_11comp_targetILNS1_3genE5ELNS1_11target_archE942ELNS1_3gpuE9ELNS1_3repE0EEENS1_30default_config_static_selectorELNS0_4arch9wavefront6targetE0EEEvT1_
	.p2align	8
	.type	_ZN7rocprim17ROCPRIM_400000_NS6detail17trampoline_kernelINS0_14default_configENS1_25partition_config_selectorILNS1_17partition_subalgoE5ElNS0_10empty_typeEbEEZZNS1_14partition_implILS5_5ELb0ES3_mN6hipcub16HIPCUB_304000_NS21CountingInputIteratorIllEEPS6_NSA_22TransformInputIteratorIb7NonZeroIdEPdlEENS0_5tupleIJPlS6_EEENSJ_IJSD_SD_EEES6_SK_JS6_EEE10hipError_tPvRmT3_T4_T5_T6_T7_T9_mT8_P12ihipStream_tbDpT10_ENKUlT_T0_E_clISt17integral_constantIbLb1EES15_IbLb0EEEEDaS11_S12_EUlS11_E_NS1_11comp_targetILNS1_3genE5ELNS1_11target_archE942ELNS1_3gpuE9ELNS1_3repE0EEENS1_30default_config_static_selectorELNS0_4arch9wavefront6targetE0EEEvT1_,@function
_ZN7rocprim17ROCPRIM_400000_NS6detail17trampoline_kernelINS0_14default_configENS1_25partition_config_selectorILNS1_17partition_subalgoE5ElNS0_10empty_typeEbEEZZNS1_14partition_implILS5_5ELb0ES3_mN6hipcub16HIPCUB_304000_NS21CountingInputIteratorIllEEPS6_NSA_22TransformInputIteratorIb7NonZeroIdEPdlEENS0_5tupleIJPlS6_EEENSJ_IJSD_SD_EEES6_SK_JS6_EEE10hipError_tPvRmT3_T4_T5_T6_T7_T9_mT8_P12ihipStream_tbDpT10_ENKUlT_T0_E_clISt17integral_constantIbLb1EES15_IbLb0EEEEDaS11_S12_EUlS11_E_NS1_11comp_targetILNS1_3genE5ELNS1_11target_archE942ELNS1_3gpuE9ELNS1_3repE0EEENS1_30default_config_static_selectorELNS0_4arch9wavefront6targetE0EEEvT1_: ; @_ZN7rocprim17ROCPRIM_400000_NS6detail17trampoline_kernelINS0_14default_configENS1_25partition_config_selectorILNS1_17partition_subalgoE5ElNS0_10empty_typeEbEEZZNS1_14partition_implILS5_5ELb0ES3_mN6hipcub16HIPCUB_304000_NS21CountingInputIteratorIllEEPS6_NSA_22TransformInputIteratorIb7NonZeroIdEPdlEENS0_5tupleIJPlS6_EEENSJ_IJSD_SD_EEES6_SK_JS6_EEE10hipError_tPvRmT3_T4_T5_T6_T7_T9_mT8_P12ihipStream_tbDpT10_ENKUlT_T0_E_clISt17integral_constantIbLb1EES15_IbLb0EEEEDaS11_S12_EUlS11_E_NS1_11comp_targetILNS1_3genE5ELNS1_11target_archE942ELNS1_3gpuE9ELNS1_3repE0EEENS1_30default_config_static_selectorELNS0_4arch9wavefront6targetE0EEEvT1_
; %bb.0:
	.section	.rodata,"a",@progbits
	.p2align	6, 0x0
	.amdhsa_kernel _ZN7rocprim17ROCPRIM_400000_NS6detail17trampoline_kernelINS0_14default_configENS1_25partition_config_selectorILNS1_17partition_subalgoE5ElNS0_10empty_typeEbEEZZNS1_14partition_implILS5_5ELb0ES3_mN6hipcub16HIPCUB_304000_NS21CountingInputIteratorIllEEPS6_NSA_22TransformInputIteratorIb7NonZeroIdEPdlEENS0_5tupleIJPlS6_EEENSJ_IJSD_SD_EEES6_SK_JS6_EEE10hipError_tPvRmT3_T4_T5_T6_T7_T9_mT8_P12ihipStream_tbDpT10_ENKUlT_T0_E_clISt17integral_constantIbLb1EES15_IbLb0EEEEDaS11_S12_EUlS11_E_NS1_11comp_targetILNS1_3genE5ELNS1_11target_archE942ELNS1_3gpuE9ELNS1_3repE0EEENS1_30default_config_static_selectorELNS0_4arch9wavefront6targetE0EEEvT1_
		.amdhsa_group_segment_fixed_size 0
		.amdhsa_private_segment_fixed_size 0
		.amdhsa_kernarg_size 120
		.amdhsa_user_sgpr_count 15
		.amdhsa_user_sgpr_dispatch_ptr 0
		.amdhsa_user_sgpr_queue_ptr 0
		.amdhsa_user_sgpr_kernarg_segment_ptr 1
		.amdhsa_user_sgpr_dispatch_id 0
		.amdhsa_user_sgpr_private_segment_size 0
		.amdhsa_wavefront_size32 1
		.amdhsa_uses_dynamic_stack 0
		.amdhsa_enable_private_segment 0
		.amdhsa_system_sgpr_workgroup_id_x 1
		.amdhsa_system_sgpr_workgroup_id_y 0
		.amdhsa_system_sgpr_workgroup_id_z 0
		.amdhsa_system_sgpr_workgroup_info 0
		.amdhsa_system_vgpr_workitem_id 0
		.amdhsa_next_free_vgpr 1
		.amdhsa_next_free_sgpr 1
		.amdhsa_reserve_vcc 0
		.amdhsa_float_round_mode_32 0
		.amdhsa_float_round_mode_16_64 0
		.amdhsa_float_denorm_mode_32 3
		.amdhsa_float_denorm_mode_16_64 3
		.amdhsa_dx10_clamp 1
		.amdhsa_ieee_mode 1
		.amdhsa_fp16_overflow 0
		.amdhsa_workgroup_processor_mode 1
		.amdhsa_memory_ordered 1
		.amdhsa_forward_progress 0
		.amdhsa_shared_vgpr_count 0
		.amdhsa_exception_fp_ieee_invalid_op 0
		.amdhsa_exception_fp_denorm_src 0
		.amdhsa_exception_fp_ieee_div_zero 0
		.amdhsa_exception_fp_ieee_overflow 0
		.amdhsa_exception_fp_ieee_underflow 0
		.amdhsa_exception_fp_ieee_inexact 0
		.amdhsa_exception_int_div_zero 0
	.end_amdhsa_kernel
	.section	.text._ZN7rocprim17ROCPRIM_400000_NS6detail17trampoline_kernelINS0_14default_configENS1_25partition_config_selectorILNS1_17partition_subalgoE5ElNS0_10empty_typeEbEEZZNS1_14partition_implILS5_5ELb0ES3_mN6hipcub16HIPCUB_304000_NS21CountingInputIteratorIllEEPS6_NSA_22TransformInputIteratorIb7NonZeroIdEPdlEENS0_5tupleIJPlS6_EEENSJ_IJSD_SD_EEES6_SK_JS6_EEE10hipError_tPvRmT3_T4_T5_T6_T7_T9_mT8_P12ihipStream_tbDpT10_ENKUlT_T0_E_clISt17integral_constantIbLb1EES15_IbLb0EEEEDaS11_S12_EUlS11_E_NS1_11comp_targetILNS1_3genE5ELNS1_11target_archE942ELNS1_3gpuE9ELNS1_3repE0EEENS1_30default_config_static_selectorELNS0_4arch9wavefront6targetE0EEEvT1_,"axG",@progbits,_ZN7rocprim17ROCPRIM_400000_NS6detail17trampoline_kernelINS0_14default_configENS1_25partition_config_selectorILNS1_17partition_subalgoE5ElNS0_10empty_typeEbEEZZNS1_14partition_implILS5_5ELb0ES3_mN6hipcub16HIPCUB_304000_NS21CountingInputIteratorIllEEPS6_NSA_22TransformInputIteratorIb7NonZeroIdEPdlEENS0_5tupleIJPlS6_EEENSJ_IJSD_SD_EEES6_SK_JS6_EEE10hipError_tPvRmT3_T4_T5_T6_T7_T9_mT8_P12ihipStream_tbDpT10_ENKUlT_T0_E_clISt17integral_constantIbLb1EES15_IbLb0EEEEDaS11_S12_EUlS11_E_NS1_11comp_targetILNS1_3genE5ELNS1_11target_archE942ELNS1_3gpuE9ELNS1_3repE0EEENS1_30default_config_static_selectorELNS0_4arch9wavefront6targetE0EEEvT1_,comdat
.Lfunc_end338:
	.size	_ZN7rocprim17ROCPRIM_400000_NS6detail17trampoline_kernelINS0_14default_configENS1_25partition_config_selectorILNS1_17partition_subalgoE5ElNS0_10empty_typeEbEEZZNS1_14partition_implILS5_5ELb0ES3_mN6hipcub16HIPCUB_304000_NS21CountingInputIteratorIllEEPS6_NSA_22TransformInputIteratorIb7NonZeroIdEPdlEENS0_5tupleIJPlS6_EEENSJ_IJSD_SD_EEES6_SK_JS6_EEE10hipError_tPvRmT3_T4_T5_T6_T7_T9_mT8_P12ihipStream_tbDpT10_ENKUlT_T0_E_clISt17integral_constantIbLb1EES15_IbLb0EEEEDaS11_S12_EUlS11_E_NS1_11comp_targetILNS1_3genE5ELNS1_11target_archE942ELNS1_3gpuE9ELNS1_3repE0EEENS1_30default_config_static_selectorELNS0_4arch9wavefront6targetE0EEEvT1_, .Lfunc_end338-_ZN7rocprim17ROCPRIM_400000_NS6detail17trampoline_kernelINS0_14default_configENS1_25partition_config_selectorILNS1_17partition_subalgoE5ElNS0_10empty_typeEbEEZZNS1_14partition_implILS5_5ELb0ES3_mN6hipcub16HIPCUB_304000_NS21CountingInputIteratorIllEEPS6_NSA_22TransformInputIteratorIb7NonZeroIdEPdlEENS0_5tupleIJPlS6_EEENSJ_IJSD_SD_EEES6_SK_JS6_EEE10hipError_tPvRmT3_T4_T5_T6_T7_T9_mT8_P12ihipStream_tbDpT10_ENKUlT_T0_E_clISt17integral_constantIbLb1EES15_IbLb0EEEEDaS11_S12_EUlS11_E_NS1_11comp_targetILNS1_3genE5ELNS1_11target_archE942ELNS1_3gpuE9ELNS1_3repE0EEENS1_30default_config_static_selectorELNS0_4arch9wavefront6targetE0EEEvT1_
                                        ; -- End function
	.section	.AMDGPU.csdata,"",@progbits
; Kernel info:
; codeLenInByte = 0
; NumSgprs: 0
; NumVgprs: 0
; ScratchSize: 0
; MemoryBound: 0
; FloatMode: 240
; IeeeMode: 1
; LDSByteSize: 0 bytes/workgroup (compile time only)
; SGPRBlocks: 0
; VGPRBlocks: 0
; NumSGPRsForWavesPerEU: 1
; NumVGPRsForWavesPerEU: 1
; Occupancy: 16
; WaveLimiterHint : 0
; COMPUTE_PGM_RSRC2:SCRATCH_EN: 0
; COMPUTE_PGM_RSRC2:USER_SGPR: 15
; COMPUTE_PGM_RSRC2:TRAP_HANDLER: 0
; COMPUTE_PGM_RSRC2:TGID_X_EN: 1
; COMPUTE_PGM_RSRC2:TGID_Y_EN: 0
; COMPUTE_PGM_RSRC2:TGID_Z_EN: 0
; COMPUTE_PGM_RSRC2:TIDIG_COMP_CNT: 0
	.section	.text._ZN7rocprim17ROCPRIM_400000_NS6detail17trampoline_kernelINS0_14default_configENS1_25partition_config_selectorILNS1_17partition_subalgoE5ElNS0_10empty_typeEbEEZZNS1_14partition_implILS5_5ELb0ES3_mN6hipcub16HIPCUB_304000_NS21CountingInputIteratorIllEEPS6_NSA_22TransformInputIteratorIb7NonZeroIdEPdlEENS0_5tupleIJPlS6_EEENSJ_IJSD_SD_EEES6_SK_JS6_EEE10hipError_tPvRmT3_T4_T5_T6_T7_T9_mT8_P12ihipStream_tbDpT10_ENKUlT_T0_E_clISt17integral_constantIbLb1EES15_IbLb0EEEEDaS11_S12_EUlS11_E_NS1_11comp_targetILNS1_3genE4ELNS1_11target_archE910ELNS1_3gpuE8ELNS1_3repE0EEENS1_30default_config_static_selectorELNS0_4arch9wavefront6targetE0EEEvT1_,"axG",@progbits,_ZN7rocprim17ROCPRIM_400000_NS6detail17trampoline_kernelINS0_14default_configENS1_25partition_config_selectorILNS1_17partition_subalgoE5ElNS0_10empty_typeEbEEZZNS1_14partition_implILS5_5ELb0ES3_mN6hipcub16HIPCUB_304000_NS21CountingInputIteratorIllEEPS6_NSA_22TransformInputIteratorIb7NonZeroIdEPdlEENS0_5tupleIJPlS6_EEENSJ_IJSD_SD_EEES6_SK_JS6_EEE10hipError_tPvRmT3_T4_T5_T6_T7_T9_mT8_P12ihipStream_tbDpT10_ENKUlT_T0_E_clISt17integral_constantIbLb1EES15_IbLb0EEEEDaS11_S12_EUlS11_E_NS1_11comp_targetILNS1_3genE4ELNS1_11target_archE910ELNS1_3gpuE8ELNS1_3repE0EEENS1_30default_config_static_selectorELNS0_4arch9wavefront6targetE0EEEvT1_,comdat
	.protected	_ZN7rocprim17ROCPRIM_400000_NS6detail17trampoline_kernelINS0_14default_configENS1_25partition_config_selectorILNS1_17partition_subalgoE5ElNS0_10empty_typeEbEEZZNS1_14partition_implILS5_5ELb0ES3_mN6hipcub16HIPCUB_304000_NS21CountingInputIteratorIllEEPS6_NSA_22TransformInputIteratorIb7NonZeroIdEPdlEENS0_5tupleIJPlS6_EEENSJ_IJSD_SD_EEES6_SK_JS6_EEE10hipError_tPvRmT3_T4_T5_T6_T7_T9_mT8_P12ihipStream_tbDpT10_ENKUlT_T0_E_clISt17integral_constantIbLb1EES15_IbLb0EEEEDaS11_S12_EUlS11_E_NS1_11comp_targetILNS1_3genE4ELNS1_11target_archE910ELNS1_3gpuE8ELNS1_3repE0EEENS1_30default_config_static_selectorELNS0_4arch9wavefront6targetE0EEEvT1_ ; -- Begin function _ZN7rocprim17ROCPRIM_400000_NS6detail17trampoline_kernelINS0_14default_configENS1_25partition_config_selectorILNS1_17partition_subalgoE5ElNS0_10empty_typeEbEEZZNS1_14partition_implILS5_5ELb0ES3_mN6hipcub16HIPCUB_304000_NS21CountingInputIteratorIllEEPS6_NSA_22TransformInputIteratorIb7NonZeroIdEPdlEENS0_5tupleIJPlS6_EEENSJ_IJSD_SD_EEES6_SK_JS6_EEE10hipError_tPvRmT3_T4_T5_T6_T7_T9_mT8_P12ihipStream_tbDpT10_ENKUlT_T0_E_clISt17integral_constantIbLb1EES15_IbLb0EEEEDaS11_S12_EUlS11_E_NS1_11comp_targetILNS1_3genE4ELNS1_11target_archE910ELNS1_3gpuE8ELNS1_3repE0EEENS1_30default_config_static_selectorELNS0_4arch9wavefront6targetE0EEEvT1_
	.globl	_ZN7rocprim17ROCPRIM_400000_NS6detail17trampoline_kernelINS0_14default_configENS1_25partition_config_selectorILNS1_17partition_subalgoE5ElNS0_10empty_typeEbEEZZNS1_14partition_implILS5_5ELb0ES3_mN6hipcub16HIPCUB_304000_NS21CountingInputIteratorIllEEPS6_NSA_22TransformInputIteratorIb7NonZeroIdEPdlEENS0_5tupleIJPlS6_EEENSJ_IJSD_SD_EEES6_SK_JS6_EEE10hipError_tPvRmT3_T4_T5_T6_T7_T9_mT8_P12ihipStream_tbDpT10_ENKUlT_T0_E_clISt17integral_constantIbLb1EES15_IbLb0EEEEDaS11_S12_EUlS11_E_NS1_11comp_targetILNS1_3genE4ELNS1_11target_archE910ELNS1_3gpuE8ELNS1_3repE0EEENS1_30default_config_static_selectorELNS0_4arch9wavefront6targetE0EEEvT1_
	.p2align	8
	.type	_ZN7rocprim17ROCPRIM_400000_NS6detail17trampoline_kernelINS0_14default_configENS1_25partition_config_selectorILNS1_17partition_subalgoE5ElNS0_10empty_typeEbEEZZNS1_14partition_implILS5_5ELb0ES3_mN6hipcub16HIPCUB_304000_NS21CountingInputIteratorIllEEPS6_NSA_22TransformInputIteratorIb7NonZeroIdEPdlEENS0_5tupleIJPlS6_EEENSJ_IJSD_SD_EEES6_SK_JS6_EEE10hipError_tPvRmT3_T4_T5_T6_T7_T9_mT8_P12ihipStream_tbDpT10_ENKUlT_T0_E_clISt17integral_constantIbLb1EES15_IbLb0EEEEDaS11_S12_EUlS11_E_NS1_11comp_targetILNS1_3genE4ELNS1_11target_archE910ELNS1_3gpuE8ELNS1_3repE0EEENS1_30default_config_static_selectorELNS0_4arch9wavefront6targetE0EEEvT1_,@function
_ZN7rocprim17ROCPRIM_400000_NS6detail17trampoline_kernelINS0_14default_configENS1_25partition_config_selectorILNS1_17partition_subalgoE5ElNS0_10empty_typeEbEEZZNS1_14partition_implILS5_5ELb0ES3_mN6hipcub16HIPCUB_304000_NS21CountingInputIteratorIllEEPS6_NSA_22TransformInputIteratorIb7NonZeroIdEPdlEENS0_5tupleIJPlS6_EEENSJ_IJSD_SD_EEES6_SK_JS6_EEE10hipError_tPvRmT3_T4_T5_T6_T7_T9_mT8_P12ihipStream_tbDpT10_ENKUlT_T0_E_clISt17integral_constantIbLb1EES15_IbLb0EEEEDaS11_S12_EUlS11_E_NS1_11comp_targetILNS1_3genE4ELNS1_11target_archE910ELNS1_3gpuE8ELNS1_3repE0EEENS1_30default_config_static_selectorELNS0_4arch9wavefront6targetE0EEEvT1_: ; @_ZN7rocprim17ROCPRIM_400000_NS6detail17trampoline_kernelINS0_14default_configENS1_25partition_config_selectorILNS1_17partition_subalgoE5ElNS0_10empty_typeEbEEZZNS1_14partition_implILS5_5ELb0ES3_mN6hipcub16HIPCUB_304000_NS21CountingInputIteratorIllEEPS6_NSA_22TransformInputIteratorIb7NonZeroIdEPdlEENS0_5tupleIJPlS6_EEENSJ_IJSD_SD_EEES6_SK_JS6_EEE10hipError_tPvRmT3_T4_T5_T6_T7_T9_mT8_P12ihipStream_tbDpT10_ENKUlT_T0_E_clISt17integral_constantIbLb1EES15_IbLb0EEEEDaS11_S12_EUlS11_E_NS1_11comp_targetILNS1_3genE4ELNS1_11target_archE910ELNS1_3gpuE8ELNS1_3repE0EEENS1_30default_config_static_selectorELNS0_4arch9wavefront6targetE0EEEvT1_
; %bb.0:
	.section	.rodata,"a",@progbits
	.p2align	6, 0x0
	.amdhsa_kernel _ZN7rocprim17ROCPRIM_400000_NS6detail17trampoline_kernelINS0_14default_configENS1_25partition_config_selectorILNS1_17partition_subalgoE5ElNS0_10empty_typeEbEEZZNS1_14partition_implILS5_5ELb0ES3_mN6hipcub16HIPCUB_304000_NS21CountingInputIteratorIllEEPS6_NSA_22TransformInputIteratorIb7NonZeroIdEPdlEENS0_5tupleIJPlS6_EEENSJ_IJSD_SD_EEES6_SK_JS6_EEE10hipError_tPvRmT3_T4_T5_T6_T7_T9_mT8_P12ihipStream_tbDpT10_ENKUlT_T0_E_clISt17integral_constantIbLb1EES15_IbLb0EEEEDaS11_S12_EUlS11_E_NS1_11comp_targetILNS1_3genE4ELNS1_11target_archE910ELNS1_3gpuE8ELNS1_3repE0EEENS1_30default_config_static_selectorELNS0_4arch9wavefront6targetE0EEEvT1_
		.amdhsa_group_segment_fixed_size 0
		.amdhsa_private_segment_fixed_size 0
		.amdhsa_kernarg_size 120
		.amdhsa_user_sgpr_count 15
		.amdhsa_user_sgpr_dispatch_ptr 0
		.amdhsa_user_sgpr_queue_ptr 0
		.amdhsa_user_sgpr_kernarg_segment_ptr 1
		.amdhsa_user_sgpr_dispatch_id 0
		.amdhsa_user_sgpr_private_segment_size 0
		.amdhsa_wavefront_size32 1
		.amdhsa_uses_dynamic_stack 0
		.amdhsa_enable_private_segment 0
		.amdhsa_system_sgpr_workgroup_id_x 1
		.amdhsa_system_sgpr_workgroup_id_y 0
		.amdhsa_system_sgpr_workgroup_id_z 0
		.amdhsa_system_sgpr_workgroup_info 0
		.amdhsa_system_vgpr_workitem_id 0
		.amdhsa_next_free_vgpr 1
		.amdhsa_next_free_sgpr 1
		.amdhsa_reserve_vcc 0
		.amdhsa_float_round_mode_32 0
		.amdhsa_float_round_mode_16_64 0
		.amdhsa_float_denorm_mode_32 3
		.amdhsa_float_denorm_mode_16_64 3
		.amdhsa_dx10_clamp 1
		.amdhsa_ieee_mode 1
		.amdhsa_fp16_overflow 0
		.amdhsa_workgroup_processor_mode 1
		.amdhsa_memory_ordered 1
		.amdhsa_forward_progress 0
		.amdhsa_shared_vgpr_count 0
		.amdhsa_exception_fp_ieee_invalid_op 0
		.amdhsa_exception_fp_denorm_src 0
		.amdhsa_exception_fp_ieee_div_zero 0
		.amdhsa_exception_fp_ieee_overflow 0
		.amdhsa_exception_fp_ieee_underflow 0
		.amdhsa_exception_fp_ieee_inexact 0
		.amdhsa_exception_int_div_zero 0
	.end_amdhsa_kernel
	.section	.text._ZN7rocprim17ROCPRIM_400000_NS6detail17trampoline_kernelINS0_14default_configENS1_25partition_config_selectorILNS1_17partition_subalgoE5ElNS0_10empty_typeEbEEZZNS1_14partition_implILS5_5ELb0ES3_mN6hipcub16HIPCUB_304000_NS21CountingInputIteratorIllEEPS6_NSA_22TransformInputIteratorIb7NonZeroIdEPdlEENS0_5tupleIJPlS6_EEENSJ_IJSD_SD_EEES6_SK_JS6_EEE10hipError_tPvRmT3_T4_T5_T6_T7_T9_mT8_P12ihipStream_tbDpT10_ENKUlT_T0_E_clISt17integral_constantIbLb1EES15_IbLb0EEEEDaS11_S12_EUlS11_E_NS1_11comp_targetILNS1_3genE4ELNS1_11target_archE910ELNS1_3gpuE8ELNS1_3repE0EEENS1_30default_config_static_selectorELNS0_4arch9wavefront6targetE0EEEvT1_,"axG",@progbits,_ZN7rocprim17ROCPRIM_400000_NS6detail17trampoline_kernelINS0_14default_configENS1_25partition_config_selectorILNS1_17partition_subalgoE5ElNS0_10empty_typeEbEEZZNS1_14partition_implILS5_5ELb0ES3_mN6hipcub16HIPCUB_304000_NS21CountingInputIteratorIllEEPS6_NSA_22TransformInputIteratorIb7NonZeroIdEPdlEENS0_5tupleIJPlS6_EEENSJ_IJSD_SD_EEES6_SK_JS6_EEE10hipError_tPvRmT3_T4_T5_T6_T7_T9_mT8_P12ihipStream_tbDpT10_ENKUlT_T0_E_clISt17integral_constantIbLb1EES15_IbLb0EEEEDaS11_S12_EUlS11_E_NS1_11comp_targetILNS1_3genE4ELNS1_11target_archE910ELNS1_3gpuE8ELNS1_3repE0EEENS1_30default_config_static_selectorELNS0_4arch9wavefront6targetE0EEEvT1_,comdat
.Lfunc_end339:
	.size	_ZN7rocprim17ROCPRIM_400000_NS6detail17trampoline_kernelINS0_14default_configENS1_25partition_config_selectorILNS1_17partition_subalgoE5ElNS0_10empty_typeEbEEZZNS1_14partition_implILS5_5ELb0ES3_mN6hipcub16HIPCUB_304000_NS21CountingInputIteratorIllEEPS6_NSA_22TransformInputIteratorIb7NonZeroIdEPdlEENS0_5tupleIJPlS6_EEENSJ_IJSD_SD_EEES6_SK_JS6_EEE10hipError_tPvRmT3_T4_T5_T6_T7_T9_mT8_P12ihipStream_tbDpT10_ENKUlT_T0_E_clISt17integral_constantIbLb1EES15_IbLb0EEEEDaS11_S12_EUlS11_E_NS1_11comp_targetILNS1_3genE4ELNS1_11target_archE910ELNS1_3gpuE8ELNS1_3repE0EEENS1_30default_config_static_selectorELNS0_4arch9wavefront6targetE0EEEvT1_, .Lfunc_end339-_ZN7rocprim17ROCPRIM_400000_NS6detail17trampoline_kernelINS0_14default_configENS1_25partition_config_selectorILNS1_17partition_subalgoE5ElNS0_10empty_typeEbEEZZNS1_14partition_implILS5_5ELb0ES3_mN6hipcub16HIPCUB_304000_NS21CountingInputIteratorIllEEPS6_NSA_22TransformInputIteratorIb7NonZeroIdEPdlEENS0_5tupleIJPlS6_EEENSJ_IJSD_SD_EEES6_SK_JS6_EEE10hipError_tPvRmT3_T4_T5_T6_T7_T9_mT8_P12ihipStream_tbDpT10_ENKUlT_T0_E_clISt17integral_constantIbLb1EES15_IbLb0EEEEDaS11_S12_EUlS11_E_NS1_11comp_targetILNS1_3genE4ELNS1_11target_archE910ELNS1_3gpuE8ELNS1_3repE0EEENS1_30default_config_static_selectorELNS0_4arch9wavefront6targetE0EEEvT1_
                                        ; -- End function
	.section	.AMDGPU.csdata,"",@progbits
; Kernel info:
; codeLenInByte = 0
; NumSgprs: 0
; NumVgprs: 0
; ScratchSize: 0
; MemoryBound: 0
; FloatMode: 240
; IeeeMode: 1
; LDSByteSize: 0 bytes/workgroup (compile time only)
; SGPRBlocks: 0
; VGPRBlocks: 0
; NumSGPRsForWavesPerEU: 1
; NumVGPRsForWavesPerEU: 1
; Occupancy: 15
; WaveLimiterHint : 0
; COMPUTE_PGM_RSRC2:SCRATCH_EN: 0
; COMPUTE_PGM_RSRC2:USER_SGPR: 15
; COMPUTE_PGM_RSRC2:TRAP_HANDLER: 0
; COMPUTE_PGM_RSRC2:TGID_X_EN: 1
; COMPUTE_PGM_RSRC2:TGID_Y_EN: 0
; COMPUTE_PGM_RSRC2:TGID_Z_EN: 0
; COMPUTE_PGM_RSRC2:TIDIG_COMP_CNT: 0
	.section	.text._ZN7rocprim17ROCPRIM_400000_NS6detail17trampoline_kernelINS0_14default_configENS1_25partition_config_selectorILNS1_17partition_subalgoE5ElNS0_10empty_typeEbEEZZNS1_14partition_implILS5_5ELb0ES3_mN6hipcub16HIPCUB_304000_NS21CountingInputIteratorIllEEPS6_NSA_22TransformInputIteratorIb7NonZeroIdEPdlEENS0_5tupleIJPlS6_EEENSJ_IJSD_SD_EEES6_SK_JS6_EEE10hipError_tPvRmT3_T4_T5_T6_T7_T9_mT8_P12ihipStream_tbDpT10_ENKUlT_T0_E_clISt17integral_constantIbLb1EES15_IbLb0EEEEDaS11_S12_EUlS11_E_NS1_11comp_targetILNS1_3genE3ELNS1_11target_archE908ELNS1_3gpuE7ELNS1_3repE0EEENS1_30default_config_static_selectorELNS0_4arch9wavefront6targetE0EEEvT1_,"axG",@progbits,_ZN7rocprim17ROCPRIM_400000_NS6detail17trampoline_kernelINS0_14default_configENS1_25partition_config_selectorILNS1_17partition_subalgoE5ElNS0_10empty_typeEbEEZZNS1_14partition_implILS5_5ELb0ES3_mN6hipcub16HIPCUB_304000_NS21CountingInputIteratorIllEEPS6_NSA_22TransformInputIteratorIb7NonZeroIdEPdlEENS0_5tupleIJPlS6_EEENSJ_IJSD_SD_EEES6_SK_JS6_EEE10hipError_tPvRmT3_T4_T5_T6_T7_T9_mT8_P12ihipStream_tbDpT10_ENKUlT_T0_E_clISt17integral_constantIbLb1EES15_IbLb0EEEEDaS11_S12_EUlS11_E_NS1_11comp_targetILNS1_3genE3ELNS1_11target_archE908ELNS1_3gpuE7ELNS1_3repE0EEENS1_30default_config_static_selectorELNS0_4arch9wavefront6targetE0EEEvT1_,comdat
	.protected	_ZN7rocprim17ROCPRIM_400000_NS6detail17trampoline_kernelINS0_14default_configENS1_25partition_config_selectorILNS1_17partition_subalgoE5ElNS0_10empty_typeEbEEZZNS1_14partition_implILS5_5ELb0ES3_mN6hipcub16HIPCUB_304000_NS21CountingInputIteratorIllEEPS6_NSA_22TransformInputIteratorIb7NonZeroIdEPdlEENS0_5tupleIJPlS6_EEENSJ_IJSD_SD_EEES6_SK_JS6_EEE10hipError_tPvRmT3_T4_T5_T6_T7_T9_mT8_P12ihipStream_tbDpT10_ENKUlT_T0_E_clISt17integral_constantIbLb1EES15_IbLb0EEEEDaS11_S12_EUlS11_E_NS1_11comp_targetILNS1_3genE3ELNS1_11target_archE908ELNS1_3gpuE7ELNS1_3repE0EEENS1_30default_config_static_selectorELNS0_4arch9wavefront6targetE0EEEvT1_ ; -- Begin function _ZN7rocprim17ROCPRIM_400000_NS6detail17trampoline_kernelINS0_14default_configENS1_25partition_config_selectorILNS1_17partition_subalgoE5ElNS0_10empty_typeEbEEZZNS1_14partition_implILS5_5ELb0ES3_mN6hipcub16HIPCUB_304000_NS21CountingInputIteratorIllEEPS6_NSA_22TransformInputIteratorIb7NonZeroIdEPdlEENS0_5tupleIJPlS6_EEENSJ_IJSD_SD_EEES6_SK_JS6_EEE10hipError_tPvRmT3_T4_T5_T6_T7_T9_mT8_P12ihipStream_tbDpT10_ENKUlT_T0_E_clISt17integral_constantIbLb1EES15_IbLb0EEEEDaS11_S12_EUlS11_E_NS1_11comp_targetILNS1_3genE3ELNS1_11target_archE908ELNS1_3gpuE7ELNS1_3repE0EEENS1_30default_config_static_selectorELNS0_4arch9wavefront6targetE0EEEvT1_
	.globl	_ZN7rocprim17ROCPRIM_400000_NS6detail17trampoline_kernelINS0_14default_configENS1_25partition_config_selectorILNS1_17partition_subalgoE5ElNS0_10empty_typeEbEEZZNS1_14partition_implILS5_5ELb0ES3_mN6hipcub16HIPCUB_304000_NS21CountingInputIteratorIllEEPS6_NSA_22TransformInputIteratorIb7NonZeroIdEPdlEENS0_5tupleIJPlS6_EEENSJ_IJSD_SD_EEES6_SK_JS6_EEE10hipError_tPvRmT3_T4_T5_T6_T7_T9_mT8_P12ihipStream_tbDpT10_ENKUlT_T0_E_clISt17integral_constantIbLb1EES15_IbLb0EEEEDaS11_S12_EUlS11_E_NS1_11comp_targetILNS1_3genE3ELNS1_11target_archE908ELNS1_3gpuE7ELNS1_3repE0EEENS1_30default_config_static_selectorELNS0_4arch9wavefront6targetE0EEEvT1_
	.p2align	8
	.type	_ZN7rocprim17ROCPRIM_400000_NS6detail17trampoline_kernelINS0_14default_configENS1_25partition_config_selectorILNS1_17partition_subalgoE5ElNS0_10empty_typeEbEEZZNS1_14partition_implILS5_5ELb0ES3_mN6hipcub16HIPCUB_304000_NS21CountingInputIteratorIllEEPS6_NSA_22TransformInputIteratorIb7NonZeroIdEPdlEENS0_5tupleIJPlS6_EEENSJ_IJSD_SD_EEES6_SK_JS6_EEE10hipError_tPvRmT3_T4_T5_T6_T7_T9_mT8_P12ihipStream_tbDpT10_ENKUlT_T0_E_clISt17integral_constantIbLb1EES15_IbLb0EEEEDaS11_S12_EUlS11_E_NS1_11comp_targetILNS1_3genE3ELNS1_11target_archE908ELNS1_3gpuE7ELNS1_3repE0EEENS1_30default_config_static_selectorELNS0_4arch9wavefront6targetE0EEEvT1_,@function
_ZN7rocprim17ROCPRIM_400000_NS6detail17trampoline_kernelINS0_14default_configENS1_25partition_config_selectorILNS1_17partition_subalgoE5ElNS0_10empty_typeEbEEZZNS1_14partition_implILS5_5ELb0ES3_mN6hipcub16HIPCUB_304000_NS21CountingInputIteratorIllEEPS6_NSA_22TransformInputIteratorIb7NonZeroIdEPdlEENS0_5tupleIJPlS6_EEENSJ_IJSD_SD_EEES6_SK_JS6_EEE10hipError_tPvRmT3_T4_T5_T6_T7_T9_mT8_P12ihipStream_tbDpT10_ENKUlT_T0_E_clISt17integral_constantIbLb1EES15_IbLb0EEEEDaS11_S12_EUlS11_E_NS1_11comp_targetILNS1_3genE3ELNS1_11target_archE908ELNS1_3gpuE7ELNS1_3repE0EEENS1_30default_config_static_selectorELNS0_4arch9wavefront6targetE0EEEvT1_: ; @_ZN7rocprim17ROCPRIM_400000_NS6detail17trampoline_kernelINS0_14default_configENS1_25partition_config_selectorILNS1_17partition_subalgoE5ElNS0_10empty_typeEbEEZZNS1_14partition_implILS5_5ELb0ES3_mN6hipcub16HIPCUB_304000_NS21CountingInputIteratorIllEEPS6_NSA_22TransformInputIteratorIb7NonZeroIdEPdlEENS0_5tupleIJPlS6_EEENSJ_IJSD_SD_EEES6_SK_JS6_EEE10hipError_tPvRmT3_T4_T5_T6_T7_T9_mT8_P12ihipStream_tbDpT10_ENKUlT_T0_E_clISt17integral_constantIbLb1EES15_IbLb0EEEEDaS11_S12_EUlS11_E_NS1_11comp_targetILNS1_3genE3ELNS1_11target_archE908ELNS1_3gpuE7ELNS1_3repE0EEENS1_30default_config_static_selectorELNS0_4arch9wavefront6targetE0EEEvT1_
; %bb.0:
	.section	.rodata,"a",@progbits
	.p2align	6, 0x0
	.amdhsa_kernel _ZN7rocprim17ROCPRIM_400000_NS6detail17trampoline_kernelINS0_14default_configENS1_25partition_config_selectorILNS1_17partition_subalgoE5ElNS0_10empty_typeEbEEZZNS1_14partition_implILS5_5ELb0ES3_mN6hipcub16HIPCUB_304000_NS21CountingInputIteratorIllEEPS6_NSA_22TransformInputIteratorIb7NonZeroIdEPdlEENS0_5tupleIJPlS6_EEENSJ_IJSD_SD_EEES6_SK_JS6_EEE10hipError_tPvRmT3_T4_T5_T6_T7_T9_mT8_P12ihipStream_tbDpT10_ENKUlT_T0_E_clISt17integral_constantIbLb1EES15_IbLb0EEEEDaS11_S12_EUlS11_E_NS1_11comp_targetILNS1_3genE3ELNS1_11target_archE908ELNS1_3gpuE7ELNS1_3repE0EEENS1_30default_config_static_selectorELNS0_4arch9wavefront6targetE0EEEvT1_
		.amdhsa_group_segment_fixed_size 0
		.amdhsa_private_segment_fixed_size 0
		.amdhsa_kernarg_size 120
		.amdhsa_user_sgpr_count 15
		.amdhsa_user_sgpr_dispatch_ptr 0
		.amdhsa_user_sgpr_queue_ptr 0
		.amdhsa_user_sgpr_kernarg_segment_ptr 1
		.amdhsa_user_sgpr_dispatch_id 0
		.amdhsa_user_sgpr_private_segment_size 0
		.amdhsa_wavefront_size32 1
		.amdhsa_uses_dynamic_stack 0
		.amdhsa_enable_private_segment 0
		.amdhsa_system_sgpr_workgroup_id_x 1
		.amdhsa_system_sgpr_workgroup_id_y 0
		.amdhsa_system_sgpr_workgroup_id_z 0
		.amdhsa_system_sgpr_workgroup_info 0
		.amdhsa_system_vgpr_workitem_id 0
		.amdhsa_next_free_vgpr 1
		.amdhsa_next_free_sgpr 1
		.amdhsa_reserve_vcc 0
		.amdhsa_float_round_mode_32 0
		.amdhsa_float_round_mode_16_64 0
		.amdhsa_float_denorm_mode_32 3
		.amdhsa_float_denorm_mode_16_64 3
		.amdhsa_dx10_clamp 1
		.amdhsa_ieee_mode 1
		.amdhsa_fp16_overflow 0
		.amdhsa_workgroup_processor_mode 1
		.amdhsa_memory_ordered 1
		.amdhsa_forward_progress 0
		.amdhsa_shared_vgpr_count 0
		.amdhsa_exception_fp_ieee_invalid_op 0
		.amdhsa_exception_fp_denorm_src 0
		.amdhsa_exception_fp_ieee_div_zero 0
		.amdhsa_exception_fp_ieee_overflow 0
		.amdhsa_exception_fp_ieee_underflow 0
		.amdhsa_exception_fp_ieee_inexact 0
		.amdhsa_exception_int_div_zero 0
	.end_amdhsa_kernel
	.section	.text._ZN7rocprim17ROCPRIM_400000_NS6detail17trampoline_kernelINS0_14default_configENS1_25partition_config_selectorILNS1_17partition_subalgoE5ElNS0_10empty_typeEbEEZZNS1_14partition_implILS5_5ELb0ES3_mN6hipcub16HIPCUB_304000_NS21CountingInputIteratorIllEEPS6_NSA_22TransformInputIteratorIb7NonZeroIdEPdlEENS0_5tupleIJPlS6_EEENSJ_IJSD_SD_EEES6_SK_JS6_EEE10hipError_tPvRmT3_T4_T5_T6_T7_T9_mT8_P12ihipStream_tbDpT10_ENKUlT_T0_E_clISt17integral_constantIbLb1EES15_IbLb0EEEEDaS11_S12_EUlS11_E_NS1_11comp_targetILNS1_3genE3ELNS1_11target_archE908ELNS1_3gpuE7ELNS1_3repE0EEENS1_30default_config_static_selectorELNS0_4arch9wavefront6targetE0EEEvT1_,"axG",@progbits,_ZN7rocprim17ROCPRIM_400000_NS6detail17trampoline_kernelINS0_14default_configENS1_25partition_config_selectorILNS1_17partition_subalgoE5ElNS0_10empty_typeEbEEZZNS1_14partition_implILS5_5ELb0ES3_mN6hipcub16HIPCUB_304000_NS21CountingInputIteratorIllEEPS6_NSA_22TransformInputIteratorIb7NonZeroIdEPdlEENS0_5tupleIJPlS6_EEENSJ_IJSD_SD_EEES6_SK_JS6_EEE10hipError_tPvRmT3_T4_T5_T6_T7_T9_mT8_P12ihipStream_tbDpT10_ENKUlT_T0_E_clISt17integral_constantIbLb1EES15_IbLb0EEEEDaS11_S12_EUlS11_E_NS1_11comp_targetILNS1_3genE3ELNS1_11target_archE908ELNS1_3gpuE7ELNS1_3repE0EEENS1_30default_config_static_selectorELNS0_4arch9wavefront6targetE0EEEvT1_,comdat
.Lfunc_end340:
	.size	_ZN7rocprim17ROCPRIM_400000_NS6detail17trampoline_kernelINS0_14default_configENS1_25partition_config_selectorILNS1_17partition_subalgoE5ElNS0_10empty_typeEbEEZZNS1_14partition_implILS5_5ELb0ES3_mN6hipcub16HIPCUB_304000_NS21CountingInputIteratorIllEEPS6_NSA_22TransformInputIteratorIb7NonZeroIdEPdlEENS0_5tupleIJPlS6_EEENSJ_IJSD_SD_EEES6_SK_JS6_EEE10hipError_tPvRmT3_T4_T5_T6_T7_T9_mT8_P12ihipStream_tbDpT10_ENKUlT_T0_E_clISt17integral_constantIbLb1EES15_IbLb0EEEEDaS11_S12_EUlS11_E_NS1_11comp_targetILNS1_3genE3ELNS1_11target_archE908ELNS1_3gpuE7ELNS1_3repE0EEENS1_30default_config_static_selectorELNS0_4arch9wavefront6targetE0EEEvT1_, .Lfunc_end340-_ZN7rocprim17ROCPRIM_400000_NS6detail17trampoline_kernelINS0_14default_configENS1_25partition_config_selectorILNS1_17partition_subalgoE5ElNS0_10empty_typeEbEEZZNS1_14partition_implILS5_5ELb0ES3_mN6hipcub16HIPCUB_304000_NS21CountingInputIteratorIllEEPS6_NSA_22TransformInputIteratorIb7NonZeroIdEPdlEENS0_5tupleIJPlS6_EEENSJ_IJSD_SD_EEES6_SK_JS6_EEE10hipError_tPvRmT3_T4_T5_T6_T7_T9_mT8_P12ihipStream_tbDpT10_ENKUlT_T0_E_clISt17integral_constantIbLb1EES15_IbLb0EEEEDaS11_S12_EUlS11_E_NS1_11comp_targetILNS1_3genE3ELNS1_11target_archE908ELNS1_3gpuE7ELNS1_3repE0EEENS1_30default_config_static_selectorELNS0_4arch9wavefront6targetE0EEEvT1_
                                        ; -- End function
	.section	.AMDGPU.csdata,"",@progbits
; Kernel info:
; codeLenInByte = 0
; NumSgprs: 0
; NumVgprs: 0
; ScratchSize: 0
; MemoryBound: 0
; FloatMode: 240
; IeeeMode: 1
; LDSByteSize: 0 bytes/workgroup (compile time only)
; SGPRBlocks: 0
; VGPRBlocks: 0
; NumSGPRsForWavesPerEU: 1
; NumVGPRsForWavesPerEU: 1
; Occupancy: 16
; WaveLimiterHint : 0
; COMPUTE_PGM_RSRC2:SCRATCH_EN: 0
; COMPUTE_PGM_RSRC2:USER_SGPR: 15
; COMPUTE_PGM_RSRC2:TRAP_HANDLER: 0
; COMPUTE_PGM_RSRC2:TGID_X_EN: 1
; COMPUTE_PGM_RSRC2:TGID_Y_EN: 0
; COMPUTE_PGM_RSRC2:TGID_Z_EN: 0
; COMPUTE_PGM_RSRC2:TIDIG_COMP_CNT: 0
	.section	.text._ZN7rocprim17ROCPRIM_400000_NS6detail17trampoline_kernelINS0_14default_configENS1_25partition_config_selectorILNS1_17partition_subalgoE5ElNS0_10empty_typeEbEEZZNS1_14partition_implILS5_5ELb0ES3_mN6hipcub16HIPCUB_304000_NS21CountingInputIteratorIllEEPS6_NSA_22TransformInputIteratorIb7NonZeroIdEPdlEENS0_5tupleIJPlS6_EEENSJ_IJSD_SD_EEES6_SK_JS6_EEE10hipError_tPvRmT3_T4_T5_T6_T7_T9_mT8_P12ihipStream_tbDpT10_ENKUlT_T0_E_clISt17integral_constantIbLb1EES15_IbLb0EEEEDaS11_S12_EUlS11_E_NS1_11comp_targetILNS1_3genE2ELNS1_11target_archE906ELNS1_3gpuE6ELNS1_3repE0EEENS1_30default_config_static_selectorELNS0_4arch9wavefront6targetE0EEEvT1_,"axG",@progbits,_ZN7rocprim17ROCPRIM_400000_NS6detail17trampoline_kernelINS0_14default_configENS1_25partition_config_selectorILNS1_17partition_subalgoE5ElNS0_10empty_typeEbEEZZNS1_14partition_implILS5_5ELb0ES3_mN6hipcub16HIPCUB_304000_NS21CountingInputIteratorIllEEPS6_NSA_22TransformInputIteratorIb7NonZeroIdEPdlEENS0_5tupleIJPlS6_EEENSJ_IJSD_SD_EEES6_SK_JS6_EEE10hipError_tPvRmT3_T4_T5_T6_T7_T9_mT8_P12ihipStream_tbDpT10_ENKUlT_T0_E_clISt17integral_constantIbLb1EES15_IbLb0EEEEDaS11_S12_EUlS11_E_NS1_11comp_targetILNS1_3genE2ELNS1_11target_archE906ELNS1_3gpuE6ELNS1_3repE0EEENS1_30default_config_static_selectorELNS0_4arch9wavefront6targetE0EEEvT1_,comdat
	.protected	_ZN7rocprim17ROCPRIM_400000_NS6detail17trampoline_kernelINS0_14default_configENS1_25partition_config_selectorILNS1_17partition_subalgoE5ElNS0_10empty_typeEbEEZZNS1_14partition_implILS5_5ELb0ES3_mN6hipcub16HIPCUB_304000_NS21CountingInputIteratorIllEEPS6_NSA_22TransformInputIteratorIb7NonZeroIdEPdlEENS0_5tupleIJPlS6_EEENSJ_IJSD_SD_EEES6_SK_JS6_EEE10hipError_tPvRmT3_T4_T5_T6_T7_T9_mT8_P12ihipStream_tbDpT10_ENKUlT_T0_E_clISt17integral_constantIbLb1EES15_IbLb0EEEEDaS11_S12_EUlS11_E_NS1_11comp_targetILNS1_3genE2ELNS1_11target_archE906ELNS1_3gpuE6ELNS1_3repE0EEENS1_30default_config_static_selectorELNS0_4arch9wavefront6targetE0EEEvT1_ ; -- Begin function _ZN7rocprim17ROCPRIM_400000_NS6detail17trampoline_kernelINS0_14default_configENS1_25partition_config_selectorILNS1_17partition_subalgoE5ElNS0_10empty_typeEbEEZZNS1_14partition_implILS5_5ELb0ES3_mN6hipcub16HIPCUB_304000_NS21CountingInputIteratorIllEEPS6_NSA_22TransformInputIteratorIb7NonZeroIdEPdlEENS0_5tupleIJPlS6_EEENSJ_IJSD_SD_EEES6_SK_JS6_EEE10hipError_tPvRmT3_T4_T5_T6_T7_T9_mT8_P12ihipStream_tbDpT10_ENKUlT_T0_E_clISt17integral_constantIbLb1EES15_IbLb0EEEEDaS11_S12_EUlS11_E_NS1_11comp_targetILNS1_3genE2ELNS1_11target_archE906ELNS1_3gpuE6ELNS1_3repE0EEENS1_30default_config_static_selectorELNS0_4arch9wavefront6targetE0EEEvT1_
	.globl	_ZN7rocprim17ROCPRIM_400000_NS6detail17trampoline_kernelINS0_14default_configENS1_25partition_config_selectorILNS1_17partition_subalgoE5ElNS0_10empty_typeEbEEZZNS1_14partition_implILS5_5ELb0ES3_mN6hipcub16HIPCUB_304000_NS21CountingInputIteratorIllEEPS6_NSA_22TransformInputIteratorIb7NonZeroIdEPdlEENS0_5tupleIJPlS6_EEENSJ_IJSD_SD_EEES6_SK_JS6_EEE10hipError_tPvRmT3_T4_T5_T6_T7_T9_mT8_P12ihipStream_tbDpT10_ENKUlT_T0_E_clISt17integral_constantIbLb1EES15_IbLb0EEEEDaS11_S12_EUlS11_E_NS1_11comp_targetILNS1_3genE2ELNS1_11target_archE906ELNS1_3gpuE6ELNS1_3repE0EEENS1_30default_config_static_selectorELNS0_4arch9wavefront6targetE0EEEvT1_
	.p2align	8
	.type	_ZN7rocprim17ROCPRIM_400000_NS6detail17trampoline_kernelINS0_14default_configENS1_25partition_config_selectorILNS1_17partition_subalgoE5ElNS0_10empty_typeEbEEZZNS1_14partition_implILS5_5ELb0ES3_mN6hipcub16HIPCUB_304000_NS21CountingInputIteratorIllEEPS6_NSA_22TransformInputIteratorIb7NonZeroIdEPdlEENS0_5tupleIJPlS6_EEENSJ_IJSD_SD_EEES6_SK_JS6_EEE10hipError_tPvRmT3_T4_T5_T6_T7_T9_mT8_P12ihipStream_tbDpT10_ENKUlT_T0_E_clISt17integral_constantIbLb1EES15_IbLb0EEEEDaS11_S12_EUlS11_E_NS1_11comp_targetILNS1_3genE2ELNS1_11target_archE906ELNS1_3gpuE6ELNS1_3repE0EEENS1_30default_config_static_selectorELNS0_4arch9wavefront6targetE0EEEvT1_,@function
_ZN7rocprim17ROCPRIM_400000_NS6detail17trampoline_kernelINS0_14default_configENS1_25partition_config_selectorILNS1_17partition_subalgoE5ElNS0_10empty_typeEbEEZZNS1_14partition_implILS5_5ELb0ES3_mN6hipcub16HIPCUB_304000_NS21CountingInputIteratorIllEEPS6_NSA_22TransformInputIteratorIb7NonZeroIdEPdlEENS0_5tupleIJPlS6_EEENSJ_IJSD_SD_EEES6_SK_JS6_EEE10hipError_tPvRmT3_T4_T5_T6_T7_T9_mT8_P12ihipStream_tbDpT10_ENKUlT_T0_E_clISt17integral_constantIbLb1EES15_IbLb0EEEEDaS11_S12_EUlS11_E_NS1_11comp_targetILNS1_3genE2ELNS1_11target_archE906ELNS1_3gpuE6ELNS1_3repE0EEENS1_30default_config_static_selectorELNS0_4arch9wavefront6targetE0EEEvT1_: ; @_ZN7rocprim17ROCPRIM_400000_NS6detail17trampoline_kernelINS0_14default_configENS1_25partition_config_selectorILNS1_17partition_subalgoE5ElNS0_10empty_typeEbEEZZNS1_14partition_implILS5_5ELb0ES3_mN6hipcub16HIPCUB_304000_NS21CountingInputIteratorIllEEPS6_NSA_22TransformInputIteratorIb7NonZeroIdEPdlEENS0_5tupleIJPlS6_EEENSJ_IJSD_SD_EEES6_SK_JS6_EEE10hipError_tPvRmT3_T4_T5_T6_T7_T9_mT8_P12ihipStream_tbDpT10_ENKUlT_T0_E_clISt17integral_constantIbLb1EES15_IbLb0EEEEDaS11_S12_EUlS11_E_NS1_11comp_targetILNS1_3genE2ELNS1_11target_archE906ELNS1_3gpuE6ELNS1_3repE0EEENS1_30default_config_static_selectorELNS0_4arch9wavefront6targetE0EEEvT1_
; %bb.0:
	.section	.rodata,"a",@progbits
	.p2align	6, 0x0
	.amdhsa_kernel _ZN7rocprim17ROCPRIM_400000_NS6detail17trampoline_kernelINS0_14default_configENS1_25partition_config_selectorILNS1_17partition_subalgoE5ElNS0_10empty_typeEbEEZZNS1_14partition_implILS5_5ELb0ES3_mN6hipcub16HIPCUB_304000_NS21CountingInputIteratorIllEEPS6_NSA_22TransformInputIteratorIb7NonZeroIdEPdlEENS0_5tupleIJPlS6_EEENSJ_IJSD_SD_EEES6_SK_JS6_EEE10hipError_tPvRmT3_T4_T5_T6_T7_T9_mT8_P12ihipStream_tbDpT10_ENKUlT_T0_E_clISt17integral_constantIbLb1EES15_IbLb0EEEEDaS11_S12_EUlS11_E_NS1_11comp_targetILNS1_3genE2ELNS1_11target_archE906ELNS1_3gpuE6ELNS1_3repE0EEENS1_30default_config_static_selectorELNS0_4arch9wavefront6targetE0EEEvT1_
		.amdhsa_group_segment_fixed_size 0
		.amdhsa_private_segment_fixed_size 0
		.amdhsa_kernarg_size 120
		.amdhsa_user_sgpr_count 15
		.amdhsa_user_sgpr_dispatch_ptr 0
		.amdhsa_user_sgpr_queue_ptr 0
		.amdhsa_user_sgpr_kernarg_segment_ptr 1
		.amdhsa_user_sgpr_dispatch_id 0
		.amdhsa_user_sgpr_private_segment_size 0
		.amdhsa_wavefront_size32 1
		.amdhsa_uses_dynamic_stack 0
		.amdhsa_enable_private_segment 0
		.amdhsa_system_sgpr_workgroup_id_x 1
		.amdhsa_system_sgpr_workgroup_id_y 0
		.amdhsa_system_sgpr_workgroup_id_z 0
		.amdhsa_system_sgpr_workgroup_info 0
		.amdhsa_system_vgpr_workitem_id 0
		.amdhsa_next_free_vgpr 1
		.amdhsa_next_free_sgpr 1
		.amdhsa_reserve_vcc 0
		.amdhsa_float_round_mode_32 0
		.amdhsa_float_round_mode_16_64 0
		.amdhsa_float_denorm_mode_32 3
		.amdhsa_float_denorm_mode_16_64 3
		.amdhsa_dx10_clamp 1
		.amdhsa_ieee_mode 1
		.amdhsa_fp16_overflow 0
		.amdhsa_workgroup_processor_mode 1
		.amdhsa_memory_ordered 1
		.amdhsa_forward_progress 0
		.amdhsa_shared_vgpr_count 0
		.amdhsa_exception_fp_ieee_invalid_op 0
		.amdhsa_exception_fp_denorm_src 0
		.amdhsa_exception_fp_ieee_div_zero 0
		.amdhsa_exception_fp_ieee_overflow 0
		.amdhsa_exception_fp_ieee_underflow 0
		.amdhsa_exception_fp_ieee_inexact 0
		.amdhsa_exception_int_div_zero 0
	.end_amdhsa_kernel
	.section	.text._ZN7rocprim17ROCPRIM_400000_NS6detail17trampoline_kernelINS0_14default_configENS1_25partition_config_selectorILNS1_17partition_subalgoE5ElNS0_10empty_typeEbEEZZNS1_14partition_implILS5_5ELb0ES3_mN6hipcub16HIPCUB_304000_NS21CountingInputIteratorIllEEPS6_NSA_22TransformInputIteratorIb7NonZeroIdEPdlEENS0_5tupleIJPlS6_EEENSJ_IJSD_SD_EEES6_SK_JS6_EEE10hipError_tPvRmT3_T4_T5_T6_T7_T9_mT8_P12ihipStream_tbDpT10_ENKUlT_T0_E_clISt17integral_constantIbLb1EES15_IbLb0EEEEDaS11_S12_EUlS11_E_NS1_11comp_targetILNS1_3genE2ELNS1_11target_archE906ELNS1_3gpuE6ELNS1_3repE0EEENS1_30default_config_static_selectorELNS0_4arch9wavefront6targetE0EEEvT1_,"axG",@progbits,_ZN7rocprim17ROCPRIM_400000_NS6detail17trampoline_kernelINS0_14default_configENS1_25partition_config_selectorILNS1_17partition_subalgoE5ElNS0_10empty_typeEbEEZZNS1_14partition_implILS5_5ELb0ES3_mN6hipcub16HIPCUB_304000_NS21CountingInputIteratorIllEEPS6_NSA_22TransformInputIteratorIb7NonZeroIdEPdlEENS0_5tupleIJPlS6_EEENSJ_IJSD_SD_EEES6_SK_JS6_EEE10hipError_tPvRmT3_T4_T5_T6_T7_T9_mT8_P12ihipStream_tbDpT10_ENKUlT_T0_E_clISt17integral_constantIbLb1EES15_IbLb0EEEEDaS11_S12_EUlS11_E_NS1_11comp_targetILNS1_3genE2ELNS1_11target_archE906ELNS1_3gpuE6ELNS1_3repE0EEENS1_30default_config_static_selectorELNS0_4arch9wavefront6targetE0EEEvT1_,comdat
.Lfunc_end341:
	.size	_ZN7rocprim17ROCPRIM_400000_NS6detail17trampoline_kernelINS0_14default_configENS1_25partition_config_selectorILNS1_17partition_subalgoE5ElNS0_10empty_typeEbEEZZNS1_14partition_implILS5_5ELb0ES3_mN6hipcub16HIPCUB_304000_NS21CountingInputIteratorIllEEPS6_NSA_22TransformInputIteratorIb7NonZeroIdEPdlEENS0_5tupleIJPlS6_EEENSJ_IJSD_SD_EEES6_SK_JS6_EEE10hipError_tPvRmT3_T4_T5_T6_T7_T9_mT8_P12ihipStream_tbDpT10_ENKUlT_T0_E_clISt17integral_constantIbLb1EES15_IbLb0EEEEDaS11_S12_EUlS11_E_NS1_11comp_targetILNS1_3genE2ELNS1_11target_archE906ELNS1_3gpuE6ELNS1_3repE0EEENS1_30default_config_static_selectorELNS0_4arch9wavefront6targetE0EEEvT1_, .Lfunc_end341-_ZN7rocprim17ROCPRIM_400000_NS6detail17trampoline_kernelINS0_14default_configENS1_25partition_config_selectorILNS1_17partition_subalgoE5ElNS0_10empty_typeEbEEZZNS1_14partition_implILS5_5ELb0ES3_mN6hipcub16HIPCUB_304000_NS21CountingInputIteratorIllEEPS6_NSA_22TransformInputIteratorIb7NonZeroIdEPdlEENS0_5tupleIJPlS6_EEENSJ_IJSD_SD_EEES6_SK_JS6_EEE10hipError_tPvRmT3_T4_T5_T6_T7_T9_mT8_P12ihipStream_tbDpT10_ENKUlT_T0_E_clISt17integral_constantIbLb1EES15_IbLb0EEEEDaS11_S12_EUlS11_E_NS1_11comp_targetILNS1_3genE2ELNS1_11target_archE906ELNS1_3gpuE6ELNS1_3repE0EEENS1_30default_config_static_selectorELNS0_4arch9wavefront6targetE0EEEvT1_
                                        ; -- End function
	.section	.AMDGPU.csdata,"",@progbits
; Kernel info:
; codeLenInByte = 0
; NumSgprs: 0
; NumVgprs: 0
; ScratchSize: 0
; MemoryBound: 0
; FloatMode: 240
; IeeeMode: 1
; LDSByteSize: 0 bytes/workgroup (compile time only)
; SGPRBlocks: 0
; VGPRBlocks: 0
; NumSGPRsForWavesPerEU: 1
; NumVGPRsForWavesPerEU: 1
; Occupancy: 16
; WaveLimiterHint : 0
; COMPUTE_PGM_RSRC2:SCRATCH_EN: 0
; COMPUTE_PGM_RSRC2:USER_SGPR: 15
; COMPUTE_PGM_RSRC2:TRAP_HANDLER: 0
; COMPUTE_PGM_RSRC2:TGID_X_EN: 1
; COMPUTE_PGM_RSRC2:TGID_Y_EN: 0
; COMPUTE_PGM_RSRC2:TGID_Z_EN: 0
; COMPUTE_PGM_RSRC2:TIDIG_COMP_CNT: 0
	.section	.text._ZN7rocprim17ROCPRIM_400000_NS6detail17trampoline_kernelINS0_14default_configENS1_25partition_config_selectorILNS1_17partition_subalgoE5ElNS0_10empty_typeEbEEZZNS1_14partition_implILS5_5ELb0ES3_mN6hipcub16HIPCUB_304000_NS21CountingInputIteratorIllEEPS6_NSA_22TransformInputIteratorIb7NonZeroIdEPdlEENS0_5tupleIJPlS6_EEENSJ_IJSD_SD_EEES6_SK_JS6_EEE10hipError_tPvRmT3_T4_T5_T6_T7_T9_mT8_P12ihipStream_tbDpT10_ENKUlT_T0_E_clISt17integral_constantIbLb1EES15_IbLb0EEEEDaS11_S12_EUlS11_E_NS1_11comp_targetILNS1_3genE10ELNS1_11target_archE1200ELNS1_3gpuE4ELNS1_3repE0EEENS1_30default_config_static_selectorELNS0_4arch9wavefront6targetE0EEEvT1_,"axG",@progbits,_ZN7rocprim17ROCPRIM_400000_NS6detail17trampoline_kernelINS0_14default_configENS1_25partition_config_selectorILNS1_17partition_subalgoE5ElNS0_10empty_typeEbEEZZNS1_14partition_implILS5_5ELb0ES3_mN6hipcub16HIPCUB_304000_NS21CountingInputIteratorIllEEPS6_NSA_22TransformInputIteratorIb7NonZeroIdEPdlEENS0_5tupleIJPlS6_EEENSJ_IJSD_SD_EEES6_SK_JS6_EEE10hipError_tPvRmT3_T4_T5_T6_T7_T9_mT8_P12ihipStream_tbDpT10_ENKUlT_T0_E_clISt17integral_constantIbLb1EES15_IbLb0EEEEDaS11_S12_EUlS11_E_NS1_11comp_targetILNS1_3genE10ELNS1_11target_archE1200ELNS1_3gpuE4ELNS1_3repE0EEENS1_30default_config_static_selectorELNS0_4arch9wavefront6targetE0EEEvT1_,comdat
	.protected	_ZN7rocprim17ROCPRIM_400000_NS6detail17trampoline_kernelINS0_14default_configENS1_25partition_config_selectorILNS1_17partition_subalgoE5ElNS0_10empty_typeEbEEZZNS1_14partition_implILS5_5ELb0ES3_mN6hipcub16HIPCUB_304000_NS21CountingInputIteratorIllEEPS6_NSA_22TransformInputIteratorIb7NonZeroIdEPdlEENS0_5tupleIJPlS6_EEENSJ_IJSD_SD_EEES6_SK_JS6_EEE10hipError_tPvRmT3_T4_T5_T6_T7_T9_mT8_P12ihipStream_tbDpT10_ENKUlT_T0_E_clISt17integral_constantIbLb1EES15_IbLb0EEEEDaS11_S12_EUlS11_E_NS1_11comp_targetILNS1_3genE10ELNS1_11target_archE1200ELNS1_3gpuE4ELNS1_3repE0EEENS1_30default_config_static_selectorELNS0_4arch9wavefront6targetE0EEEvT1_ ; -- Begin function _ZN7rocprim17ROCPRIM_400000_NS6detail17trampoline_kernelINS0_14default_configENS1_25partition_config_selectorILNS1_17partition_subalgoE5ElNS0_10empty_typeEbEEZZNS1_14partition_implILS5_5ELb0ES3_mN6hipcub16HIPCUB_304000_NS21CountingInputIteratorIllEEPS6_NSA_22TransformInputIteratorIb7NonZeroIdEPdlEENS0_5tupleIJPlS6_EEENSJ_IJSD_SD_EEES6_SK_JS6_EEE10hipError_tPvRmT3_T4_T5_T6_T7_T9_mT8_P12ihipStream_tbDpT10_ENKUlT_T0_E_clISt17integral_constantIbLb1EES15_IbLb0EEEEDaS11_S12_EUlS11_E_NS1_11comp_targetILNS1_3genE10ELNS1_11target_archE1200ELNS1_3gpuE4ELNS1_3repE0EEENS1_30default_config_static_selectorELNS0_4arch9wavefront6targetE0EEEvT1_
	.globl	_ZN7rocprim17ROCPRIM_400000_NS6detail17trampoline_kernelINS0_14default_configENS1_25partition_config_selectorILNS1_17partition_subalgoE5ElNS0_10empty_typeEbEEZZNS1_14partition_implILS5_5ELb0ES3_mN6hipcub16HIPCUB_304000_NS21CountingInputIteratorIllEEPS6_NSA_22TransformInputIteratorIb7NonZeroIdEPdlEENS0_5tupleIJPlS6_EEENSJ_IJSD_SD_EEES6_SK_JS6_EEE10hipError_tPvRmT3_T4_T5_T6_T7_T9_mT8_P12ihipStream_tbDpT10_ENKUlT_T0_E_clISt17integral_constantIbLb1EES15_IbLb0EEEEDaS11_S12_EUlS11_E_NS1_11comp_targetILNS1_3genE10ELNS1_11target_archE1200ELNS1_3gpuE4ELNS1_3repE0EEENS1_30default_config_static_selectorELNS0_4arch9wavefront6targetE0EEEvT1_
	.p2align	8
	.type	_ZN7rocprim17ROCPRIM_400000_NS6detail17trampoline_kernelINS0_14default_configENS1_25partition_config_selectorILNS1_17partition_subalgoE5ElNS0_10empty_typeEbEEZZNS1_14partition_implILS5_5ELb0ES3_mN6hipcub16HIPCUB_304000_NS21CountingInputIteratorIllEEPS6_NSA_22TransformInputIteratorIb7NonZeroIdEPdlEENS0_5tupleIJPlS6_EEENSJ_IJSD_SD_EEES6_SK_JS6_EEE10hipError_tPvRmT3_T4_T5_T6_T7_T9_mT8_P12ihipStream_tbDpT10_ENKUlT_T0_E_clISt17integral_constantIbLb1EES15_IbLb0EEEEDaS11_S12_EUlS11_E_NS1_11comp_targetILNS1_3genE10ELNS1_11target_archE1200ELNS1_3gpuE4ELNS1_3repE0EEENS1_30default_config_static_selectorELNS0_4arch9wavefront6targetE0EEEvT1_,@function
_ZN7rocprim17ROCPRIM_400000_NS6detail17trampoline_kernelINS0_14default_configENS1_25partition_config_selectorILNS1_17partition_subalgoE5ElNS0_10empty_typeEbEEZZNS1_14partition_implILS5_5ELb0ES3_mN6hipcub16HIPCUB_304000_NS21CountingInputIteratorIllEEPS6_NSA_22TransformInputIteratorIb7NonZeroIdEPdlEENS0_5tupleIJPlS6_EEENSJ_IJSD_SD_EEES6_SK_JS6_EEE10hipError_tPvRmT3_T4_T5_T6_T7_T9_mT8_P12ihipStream_tbDpT10_ENKUlT_T0_E_clISt17integral_constantIbLb1EES15_IbLb0EEEEDaS11_S12_EUlS11_E_NS1_11comp_targetILNS1_3genE10ELNS1_11target_archE1200ELNS1_3gpuE4ELNS1_3repE0EEENS1_30default_config_static_selectorELNS0_4arch9wavefront6targetE0EEEvT1_: ; @_ZN7rocprim17ROCPRIM_400000_NS6detail17trampoline_kernelINS0_14default_configENS1_25partition_config_selectorILNS1_17partition_subalgoE5ElNS0_10empty_typeEbEEZZNS1_14partition_implILS5_5ELb0ES3_mN6hipcub16HIPCUB_304000_NS21CountingInputIteratorIllEEPS6_NSA_22TransformInputIteratorIb7NonZeroIdEPdlEENS0_5tupleIJPlS6_EEENSJ_IJSD_SD_EEES6_SK_JS6_EEE10hipError_tPvRmT3_T4_T5_T6_T7_T9_mT8_P12ihipStream_tbDpT10_ENKUlT_T0_E_clISt17integral_constantIbLb1EES15_IbLb0EEEEDaS11_S12_EUlS11_E_NS1_11comp_targetILNS1_3genE10ELNS1_11target_archE1200ELNS1_3gpuE4ELNS1_3repE0EEENS1_30default_config_static_selectorELNS0_4arch9wavefront6targetE0EEEvT1_
; %bb.0:
	.section	.rodata,"a",@progbits
	.p2align	6, 0x0
	.amdhsa_kernel _ZN7rocprim17ROCPRIM_400000_NS6detail17trampoline_kernelINS0_14default_configENS1_25partition_config_selectorILNS1_17partition_subalgoE5ElNS0_10empty_typeEbEEZZNS1_14partition_implILS5_5ELb0ES3_mN6hipcub16HIPCUB_304000_NS21CountingInputIteratorIllEEPS6_NSA_22TransformInputIteratorIb7NonZeroIdEPdlEENS0_5tupleIJPlS6_EEENSJ_IJSD_SD_EEES6_SK_JS6_EEE10hipError_tPvRmT3_T4_T5_T6_T7_T9_mT8_P12ihipStream_tbDpT10_ENKUlT_T0_E_clISt17integral_constantIbLb1EES15_IbLb0EEEEDaS11_S12_EUlS11_E_NS1_11comp_targetILNS1_3genE10ELNS1_11target_archE1200ELNS1_3gpuE4ELNS1_3repE0EEENS1_30default_config_static_selectorELNS0_4arch9wavefront6targetE0EEEvT1_
		.amdhsa_group_segment_fixed_size 0
		.amdhsa_private_segment_fixed_size 0
		.amdhsa_kernarg_size 120
		.amdhsa_user_sgpr_count 15
		.amdhsa_user_sgpr_dispatch_ptr 0
		.amdhsa_user_sgpr_queue_ptr 0
		.amdhsa_user_sgpr_kernarg_segment_ptr 1
		.amdhsa_user_sgpr_dispatch_id 0
		.amdhsa_user_sgpr_private_segment_size 0
		.amdhsa_wavefront_size32 1
		.amdhsa_uses_dynamic_stack 0
		.amdhsa_enable_private_segment 0
		.amdhsa_system_sgpr_workgroup_id_x 1
		.amdhsa_system_sgpr_workgroup_id_y 0
		.amdhsa_system_sgpr_workgroup_id_z 0
		.amdhsa_system_sgpr_workgroup_info 0
		.amdhsa_system_vgpr_workitem_id 0
		.amdhsa_next_free_vgpr 1
		.amdhsa_next_free_sgpr 1
		.amdhsa_reserve_vcc 0
		.amdhsa_float_round_mode_32 0
		.amdhsa_float_round_mode_16_64 0
		.amdhsa_float_denorm_mode_32 3
		.amdhsa_float_denorm_mode_16_64 3
		.amdhsa_dx10_clamp 1
		.amdhsa_ieee_mode 1
		.amdhsa_fp16_overflow 0
		.amdhsa_workgroup_processor_mode 1
		.amdhsa_memory_ordered 1
		.amdhsa_forward_progress 0
		.amdhsa_shared_vgpr_count 0
		.amdhsa_exception_fp_ieee_invalid_op 0
		.amdhsa_exception_fp_denorm_src 0
		.amdhsa_exception_fp_ieee_div_zero 0
		.amdhsa_exception_fp_ieee_overflow 0
		.amdhsa_exception_fp_ieee_underflow 0
		.amdhsa_exception_fp_ieee_inexact 0
		.amdhsa_exception_int_div_zero 0
	.end_amdhsa_kernel
	.section	.text._ZN7rocprim17ROCPRIM_400000_NS6detail17trampoline_kernelINS0_14default_configENS1_25partition_config_selectorILNS1_17partition_subalgoE5ElNS0_10empty_typeEbEEZZNS1_14partition_implILS5_5ELb0ES3_mN6hipcub16HIPCUB_304000_NS21CountingInputIteratorIllEEPS6_NSA_22TransformInputIteratorIb7NonZeroIdEPdlEENS0_5tupleIJPlS6_EEENSJ_IJSD_SD_EEES6_SK_JS6_EEE10hipError_tPvRmT3_T4_T5_T6_T7_T9_mT8_P12ihipStream_tbDpT10_ENKUlT_T0_E_clISt17integral_constantIbLb1EES15_IbLb0EEEEDaS11_S12_EUlS11_E_NS1_11comp_targetILNS1_3genE10ELNS1_11target_archE1200ELNS1_3gpuE4ELNS1_3repE0EEENS1_30default_config_static_selectorELNS0_4arch9wavefront6targetE0EEEvT1_,"axG",@progbits,_ZN7rocprim17ROCPRIM_400000_NS6detail17trampoline_kernelINS0_14default_configENS1_25partition_config_selectorILNS1_17partition_subalgoE5ElNS0_10empty_typeEbEEZZNS1_14partition_implILS5_5ELb0ES3_mN6hipcub16HIPCUB_304000_NS21CountingInputIteratorIllEEPS6_NSA_22TransformInputIteratorIb7NonZeroIdEPdlEENS0_5tupleIJPlS6_EEENSJ_IJSD_SD_EEES6_SK_JS6_EEE10hipError_tPvRmT3_T4_T5_T6_T7_T9_mT8_P12ihipStream_tbDpT10_ENKUlT_T0_E_clISt17integral_constantIbLb1EES15_IbLb0EEEEDaS11_S12_EUlS11_E_NS1_11comp_targetILNS1_3genE10ELNS1_11target_archE1200ELNS1_3gpuE4ELNS1_3repE0EEENS1_30default_config_static_selectorELNS0_4arch9wavefront6targetE0EEEvT1_,comdat
.Lfunc_end342:
	.size	_ZN7rocprim17ROCPRIM_400000_NS6detail17trampoline_kernelINS0_14default_configENS1_25partition_config_selectorILNS1_17partition_subalgoE5ElNS0_10empty_typeEbEEZZNS1_14partition_implILS5_5ELb0ES3_mN6hipcub16HIPCUB_304000_NS21CountingInputIteratorIllEEPS6_NSA_22TransformInputIteratorIb7NonZeroIdEPdlEENS0_5tupleIJPlS6_EEENSJ_IJSD_SD_EEES6_SK_JS6_EEE10hipError_tPvRmT3_T4_T5_T6_T7_T9_mT8_P12ihipStream_tbDpT10_ENKUlT_T0_E_clISt17integral_constantIbLb1EES15_IbLb0EEEEDaS11_S12_EUlS11_E_NS1_11comp_targetILNS1_3genE10ELNS1_11target_archE1200ELNS1_3gpuE4ELNS1_3repE0EEENS1_30default_config_static_selectorELNS0_4arch9wavefront6targetE0EEEvT1_, .Lfunc_end342-_ZN7rocprim17ROCPRIM_400000_NS6detail17trampoline_kernelINS0_14default_configENS1_25partition_config_selectorILNS1_17partition_subalgoE5ElNS0_10empty_typeEbEEZZNS1_14partition_implILS5_5ELb0ES3_mN6hipcub16HIPCUB_304000_NS21CountingInputIteratorIllEEPS6_NSA_22TransformInputIteratorIb7NonZeroIdEPdlEENS0_5tupleIJPlS6_EEENSJ_IJSD_SD_EEES6_SK_JS6_EEE10hipError_tPvRmT3_T4_T5_T6_T7_T9_mT8_P12ihipStream_tbDpT10_ENKUlT_T0_E_clISt17integral_constantIbLb1EES15_IbLb0EEEEDaS11_S12_EUlS11_E_NS1_11comp_targetILNS1_3genE10ELNS1_11target_archE1200ELNS1_3gpuE4ELNS1_3repE0EEENS1_30default_config_static_selectorELNS0_4arch9wavefront6targetE0EEEvT1_
                                        ; -- End function
	.section	.AMDGPU.csdata,"",@progbits
; Kernel info:
; codeLenInByte = 0
; NumSgprs: 0
; NumVgprs: 0
; ScratchSize: 0
; MemoryBound: 0
; FloatMode: 240
; IeeeMode: 1
; LDSByteSize: 0 bytes/workgroup (compile time only)
; SGPRBlocks: 0
; VGPRBlocks: 0
; NumSGPRsForWavesPerEU: 1
; NumVGPRsForWavesPerEU: 1
; Occupancy: 16
; WaveLimiterHint : 0
; COMPUTE_PGM_RSRC2:SCRATCH_EN: 0
; COMPUTE_PGM_RSRC2:USER_SGPR: 15
; COMPUTE_PGM_RSRC2:TRAP_HANDLER: 0
; COMPUTE_PGM_RSRC2:TGID_X_EN: 1
; COMPUTE_PGM_RSRC2:TGID_Y_EN: 0
; COMPUTE_PGM_RSRC2:TGID_Z_EN: 0
; COMPUTE_PGM_RSRC2:TIDIG_COMP_CNT: 0
	.section	.text._ZN7rocprim17ROCPRIM_400000_NS6detail17trampoline_kernelINS0_14default_configENS1_25partition_config_selectorILNS1_17partition_subalgoE5ElNS0_10empty_typeEbEEZZNS1_14partition_implILS5_5ELb0ES3_mN6hipcub16HIPCUB_304000_NS21CountingInputIteratorIllEEPS6_NSA_22TransformInputIteratorIb7NonZeroIdEPdlEENS0_5tupleIJPlS6_EEENSJ_IJSD_SD_EEES6_SK_JS6_EEE10hipError_tPvRmT3_T4_T5_T6_T7_T9_mT8_P12ihipStream_tbDpT10_ENKUlT_T0_E_clISt17integral_constantIbLb1EES15_IbLb0EEEEDaS11_S12_EUlS11_E_NS1_11comp_targetILNS1_3genE9ELNS1_11target_archE1100ELNS1_3gpuE3ELNS1_3repE0EEENS1_30default_config_static_selectorELNS0_4arch9wavefront6targetE0EEEvT1_,"axG",@progbits,_ZN7rocprim17ROCPRIM_400000_NS6detail17trampoline_kernelINS0_14default_configENS1_25partition_config_selectorILNS1_17partition_subalgoE5ElNS0_10empty_typeEbEEZZNS1_14partition_implILS5_5ELb0ES3_mN6hipcub16HIPCUB_304000_NS21CountingInputIteratorIllEEPS6_NSA_22TransformInputIteratorIb7NonZeroIdEPdlEENS0_5tupleIJPlS6_EEENSJ_IJSD_SD_EEES6_SK_JS6_EEE10hipError_tPvRmT3_T4_T5_T6_T7_T9_mT8_P12ihipStream_tbDpT10_ENKUlT_T0_E_clISt17integral_constantIbLb1EES15_IbLb0EEEEDaS11_S12_EUlS11_E_NS1_11comp_targetILNS1_3genE9ELNS1_11target_archE1100ELNS1_3gpuE3ELNS1_3repE0EEENS1_30default_config_static_selectorELNS0_4arch9wavefront6targetE0EEEvT1_,comdat
	.protected	_ZN7rocprim17ROCPRIM_400000_NS6detail17trampoline_kernelINS0_14default_configENS1_25partition_config_selectorILNS1_17partition_subalgoE5ElNS0_10empty_typeEbEEZZNS1_14partition_implILS5_5ELb0ES3_mN6hipcub16HIPCUB_304000_NS21CountingInputIteratorIllEEPS6_NSA_22TransformInputIteratorIb7NonZeroIdEPdlEENS0_5tupleIJPlS6_EEENSJ_IJSD_SD_EEES6_SK_JS6_EEE10hipError_tPvRmT3_T4_T5_T6_T7_T9_mT8_P12ihipStream_tbDpT10_ENKUlT_T0_E_clISt17integral_constantIbLb1EES15_IbLb0EEEEDaS11_S12_EUlS11_E_NS1_11comp_targetILNS1_3genE9ELNS1_11target_archE1100ELNS1_3gpuE3ELNS1_3repE0EEENS1_30default_config_static_selectorELNS0_4arch9wavefront6targetE0EEEvT1_ ; -- Begin function _ZN7rocprim17ROCPRIM_400000_NS6detail17trampoline_kernelINS0_14default_configENS1_25partition_config_selectorILNS1_17partition_subalgoE5ElNS0_10empty_typeEbEEZZNS1_14partition_implILS5_5ELb0ES3_mN6hipcub16HIPCUB_304000_NS21CountingInputIteratorIllEEPS6_NSA_22TransformInputIteratorIb7NonZeroIdEPdlEENS0_5tupleIJPlS6_EEENSJ_IJSD_SD_EEES6_SK_JS6_EEE10hipError_tPvRmT3_T4_T5_T6_T7_T9_mT8_P12ihipStream_tbDpT10_ENKUlT_T0_E_clISt17integral_constantIbLb1EES15_IbLb0EEEEDaS11_S12_EUlS11_E_NS1_11comp_targetILNS1_3genE9ELNS1_11target_archE1100ELNS1_3gpuE3ELNS1_3repE0EEENS1_30default_config_static_selectorELNS0_4arch9wavefront6targetE0EEEvT1_
	.globl	_ZN7rocprim17ROCPRIM_400000_NS6detail17trampoline_kernelINS0_14default_configENS1_25partition_config_selectorILNS1_17partition_subalgoE5ElNS0_10empty_typeEbEEZZNS1_14partition_implILS5_5ELb0ES3_mN6hipcub16HIPCUB_304000_NS21CountingInputIteratorIllEEPS6_NSA_22TransformInputIteratorIb7NonZeroIdEPdlEENS0_5tupleIJPlS6_EEENSJ_IJSD_SD_EEES6_SK_JS6_EEE10hipError_tPvRmT3_T4_T5_T6_T7_T9_mT8_P12ihipStream_tbDpT10_ENKUlT_T0_E_clISt17integral_constantIbLb1EES15_IbLb0EEEEDaS11_S12_EUlS11_E_NS1_11comp_targetILNS1_3genE9ELNS1_11target_archE1100ELNS1_3gpuE3ELNS1_3repE0EEENS1_30default_config_static_selectorELNS0_4arch9wavefront6targetE0EEEvT1_
	.p2align	8
	.type	_ZN7rocprim17ROCPRIM_400000_NS6detail17trampoline_kernelINS0_14default_configENS1_25partition_config_selectorILNS1_17partition_subalgoE5ElNS0_10empty_typeEbEEZZNS1_14partition_implILS5_5ELb0ES3_mN6hipcub16HIPCUB_304000_NS21CountingInputIteratorIllEEPS6_NSA_22TransformInputIteratorIb7NonZeroIdEPdlEENS0_5tupleIJPlS6_EEENSJ_IJSD_SD_EEES6_SK_JS6_EEE10hipError_tPvRmT3_T4_T5_T6_T7_T9_mT8_P12ihipStream_tbDpT10_ENKUlT_T0_E_clISt17integral_constantIbLb1EES15_IbLb0EEEEDaS11_S12_EUlS11_E_NS1_11comp_targetILNS1_3genE9ELNS1_11target_archE1100ELNS1_3gpuE3ELNS1_3repE0EEENS1_30default_config_static_selectorELNS0_4arch9wavefront6targetE0EEEvT1_,@function
_ZN7rocprim17ROCPRIM_400000_NS6detail17trampoline_kernelINS0_14default_configENS1_25partition_config_selectorILNS1_17partition_subalgoE5ElNS0_10empty_typeEbEEZZNS1_14partition_implILS5_5ELb0ES3_mN6hipcub16HIPCUB_304000_NS21CountingInputIteratorIllEEPS6_NSA_22TransformInputIteratorIb7NonZeroIdEPdlEENS0_5tupleIJPlS6_EEENSJ_IJSD_SD_EEES6_SK_JS6_EEE10hipError_tPvRmT3_T4_T5_T6_T7_T9_mT8_P12ihipStream_tbDpT10_ENKUlT_T0_E_clISt17integral_constantIbLb1EES15_IbLb0EEEEDaS11_S12_EUlS11_E_NS1_11comp_targetILNS1_3genE9ELNS1_11target_archE1100ELNS1_3gpuE3ELNS1_3repE0EEENS1_30default_config_static_selectorELNS0_4arch9wavefront6targetE0EEEvT1_: ; @_ZN7rocprim17ROCPRIM_400000_NS6detail17trampoline_kernelINS0_14default_configENS1_25partition_config_selectorILNS1_17partition_subalgoE5ElNS0_10empty_typeEbEEZZNS1_14partition_implILS5_5ELb0ES3_mN6hipcub16HIPCUB_304000_NS21CountingInputIteratorIllEEPS6_NSA_22TransformInputIteratorIb7NonZeroIdEPdlEENS0_5tupleIJPlS6_EEENSJ_IJSD_SD_EEES6_SK_JS6_EEE10hipError_tPvRmT3_T4_T5_T6_T7_T9_mT8_P12ihipStream_tbDpT10_ENKUlT_T0_E_clISt17integral_constantIbLb1EES15_IbLb0EEEEDaS11_S12_EUlS11_E_NS1_11comp_targetILNS1_3genE9ELNS1_11target_archE1100ELNS1_3gpuE3ELNS1_3repE0EEENS1_30default_config_static_selectorELNS0_4arch9wavefront6targetE0EEEvT1_
; %bb.0:
	s_clause 0x4
	s_load_b128 s[8:11], s[0:1], 0x8
	s_load_b128 s[4:7], s[0:1], 0x48
	s_load_b32 s14, s[0:1], 0x70
	s_load_b64 s[2:3], s[0:1], 0x58
	s_load_b64 s[12:13], s[0:1], 0x20
	s_waitcnt lgkmcnt(0)
	s_add_u32 s18, s10, s8
	s_load_b64 s[6:7], s[6:7], 0x0
	s_mul_i32 s17, s14, 0x300
	s_addc_u32 s19, s11, s9
	s_add_i32 s14, s14, -1
	s_add_u32 s8, s10, s17
	s_addc_u32 s9, s11, 0
	s_cmp_eq_u32 s15, s14
	v_cmp_ge_u64_e64 s3, s[8:9], s[2:3]
	s_cselect_b32 s14, -1, 0
	s_mul_i32 s8, s15, 0x300
	s_mov_b32 s9, 0
	s_delay_alu instid0(VALU_DEP_1) | instskip(NEXT) | instid1(SALU_CYCLE_1)
	s_and_b32 s3, s14, s3
	s_xor_b32 s16, s3, -1
	s_mov_b32 s3, -1
	s_and_b32 vcc_lo, exec_lo, s16
	s_cbranch_vccz .LBB343_2
; %bb.1:
	s_add_u32 s3, s18, s8
	s_addc_u32 s20, s19, 0
	v_add_co_u32 v1, s3, s3, v0
	s_delay_alu instid0(VALU_DEP_1) | instskip(SKIP_1) | instid1(VALU_DEP_3)
	v_add_co_ci_u32_e64 v2, null, s20, 0, s3
	v_lshlrev_b32_e32 v13, 3, v0
	v_add_co_u32 v3, vcc_lo, 0x80, v1
	s_delay_alu instid0(VALU_DEP_3)
	v_add_co_ci_u32_e32 v4, vcc_lo, 0, v2, vcc_lo
	v_add_co_u32 v5, vcc_lo, 0x100, v1
	v_add_co_ci_u32_e32 v6, vcc_lo, 0, v2, vcc_lo
	v_add_co_u32 v7, vcc_lo, 0x180, v1
	;; [unrolled: 2-line block ×4, first 2 shown]
	v_add_co_ci_u32_e32 v12, vcc_lo, 0, v2, vcc_lo
	ds_store_2addr_stride64_b64 v13, v[1:2], v[3:4] offset1:2
	ds_store_2addr_stride64_b64 v13, v[5:6], v[7:8] offset0:4 offset1:6
	ds_store_2addr_stride64_b64 v13, v[9:10], v[11:12] offset0:8 offset1:10
	s_waitcnt lgkmcnt(0)
	s_mov_b32 s3, s9
	s_barrier
.LBB343_2:
	v_or_b32_e32 v17, 0x100, v0
	v_or_b32_e32 v16, 0x180, v0
	;; [unrolled: 1-line block ×4, first 2 shown]
	s_and_not1_b32 vcc_lo, exec_lo, s3
	s_cbranch_vccnz .LBB343_4
; %bb.3:
	v_or_b32_e32 v3, 0x80, v0
	s_add_u32 s3, s18, s8
	s_addc_u32 s18, s19, 0
	v_add_co_u32 v1, s19, s3, v0
	s_delay_alu instid0(VALU_DEP_1) | instskip(SKIP_1) | instid1(VALU_DEP_1)
	v_add_co_ci_u32_e64 v2, null, s18, 0, s19
	v_add_co_u32 v3, s19, s3, v3
	v_add_co_ci_u32_e64 v4, null, s18, 0, s19
	v_add_co_u32 v5, s19, s3, v17
	s_delay_alu instid0(VALU_DEP_1) | instskip(SKIP_1) | instid1(VALU_DEP_1)
	v_add_co_ci_u32_e64 v6, null, s18, 0, s19
	v_add_co_u32 v7, s19, s3, v16
	v_add_co_ci_u32_e64 v8, null, s18, 0, s19
	v_add_co_u32 v9, s19, s3, v14
	v_lshlrev_b32_e32 v15, 3, v0
	v_add_co_u32 v11, s3, s3, v13
	v_add_co_ci_u32_e64 v10, null, s18, 0, s19
	v_add_co_ci_u32_e64 v12, null, s18, 0, s3
	ds_store_2addr_stride64_b64 v15, v[1:2], v[3:4] offset1:2
	ds_store_2addr_stride64_b64 v15, v[5:6], v[7:8] offset0:4 offset1:6
	ds_store_2addr_stride64_b64 v15, v[9:10], v[11:12] offset0:8 offset1:10
	s_waitcnt lgkmcnt(0)
	s_barrier
.LBB343_4:
	v_mul_u32_u24_e32 v1, 6, v0
	s_waitcnt lgkmcnt(0)
	buffer_gl0_inv
	s_lshl_b64 s[18:19], s[10:11], 3
	s_delay_alu instid0(SALU_CYCLE_1)
	s_add_u32 s3, s12, s18
	v_lshlrev_b32_e32 v15, 3, v1
	s_addc_u32 s11, s13, s19
	s_lshl_b64 s[8:9], s[8:9], 3
	ds_load_b128 v[9:12], v15
	ds_load_b128 v[5:8], v15 offset:16
	ds_load_b128 v[1:4], v15 offset:32
	s_add_u32 s12, s3, s8
	s_addc_u32 s13, s11, s9
	s_and_b32 vcc_lo, exec_lo, s16
	s_mov_b32 s3, -1
	s_waitcnt lgkmcnt(0)
	s_barrier
	buffer_gl0_inv
	s_cbranch_vccz .LBB343_6
; %bb.5:
	v_lshlrev_b32_e32 v26, 3, v0
	s_clause 0x1
	global_load_b64 v[18:19], v26, s[12:13]
	global_load_b64 v[20:21], v26, s[12:13] offset:1024
	v_add_co_u32 v22, s3, s12, v26
	s_delay_alu instid0(VALU_DEP_1) | instskip(SKIP_1) | instid1(VALU_DEP_2)
	v_add_co_ci_u32_e64 v23, null, s13, 0, s3
	s_mov_b32 s3, 0
	v_add_co_u32 v22, vcc_lo, 0x1000, v22
	s_delay_alu instid0(VALU_DEP_2)
	v_add_co_ci_u32_e32 v23, vcc_lo, 0, v23, vcc_lo
	s_clause 0x3
	global_load_b64 v[24:25], v26, s[12:13] offset:2048
	global_load_b64 v[26:27], v26, s[12:13] offset:3072
	global_load_b64 v[28:29], v[22:23], off
	global_load_b64 v[22:23], v[22:23], off offset:1024
	s_waitcnt vmcnt(5)
	v_cmp_neq_f64_e32 vcc_lo, 0, v[18:19]
	v_cndmask_b32_e64 v18, 0, 1, vcc_lo
	s_waitcnt vmcnt(4)
	v_cmp_neq_f64_e32 vcc_lo, 0, v[20:21]
	v_cndmask_b32_e64 v19, 0, 1, vcc_lo
	;; [unrolled: 3-line block ×6, first 2 shown]
	ds_store_b8 v0, v18
	ds_store_b8 v0, v19 offset:128
	ds_store_b8 v0, v20 offset:256
	ds_store_b8 v0, v21 offset:384
	ds_store_b8 v0, v24 offset:512
	ds_store_b8 v0, v22 offset:640
	s_waitcnt lgkmcnt(0)
	s_barrier
.LBB343_6:
	s_load_b64 s[8:9], s[0:1], 0x68
	s_and_not1_b32 vcc_lo, exec_lo, s3
	s_cbranch_vccnz .LBB343_20
; %bb.7:
	s_add_i32 s17, s17, s10
	v_dual_mov_b32 v18, 0 :: v_dual_mov_b32 v19, 0
	s_sub_i32 s2, s2, s17
	s_mov_b32 s3, exec_lo
	s_addk_i32 s2, 0x300
	s_delay_alu instid0(SALU_CYCLE_1)
	v_cmpx_gt_u32_e64 s2, v0
	s_cbranch_execz .LBB343_9
; %bb.8:
	v_lshlrev_b32_e32 v19, 3, v0
	global_load_b64 v[19:20], v19, s[12:13]
	s_waitcnt vmcnt(0)
	v_cmp_neq_f64_e32 vcc_lo, 0, v[19:20]
	v_cndmask_b32_e64 v19, 0, 1, vcc_lo
.LBB343_9:
	s_or_b32 exec_lo, exec_lo, s3
	v_or_b32_e32 v20, 0x80, v0
	s_mov_b32 s3, exec_lo
	s_delay_alu instid0(VALU_DEP_1)
	v_cmpx_gt_u32_e64 s2, v20
	s_cbranch_execz .LBB343_11
; %bb.10:
	v_lshlrev_b32_e32 v18, 3, v0
	global_load_b64 v[20:21], v18, s[12:13] offset:1024
	s_waitcnt vmcnt(0)
	v_cmp_neq_f64_e32 vcc_lo, 0, v[20:21]
	v_cndmask_b32_e64 v18, 0, 1, vcc_lo
.LBB343_11:
	s_or_b32 exec_lo, exec_lo, s3
	v_cmp_gt_u32_e32 vcc_lo, s2, v17
	v_dual_mov_b32 v17, 0 :: v_dual_mov_b32 v20, 0
	s_and_saveexec_b32 s3, vcc_lo
	s_cbranch_execz .LBB343_13
; %bb.12:
	v_lshlrev_b32_e32 v20, 3, v0
	global_load_b64 v[20:21], v20, s[12:13] offset:2048
	s_waitcnt vmcnt(0)
	v_cmp_neq_f64_e32 vcc_lo, 0, v[20:21]
	v_cndmask_b32_e64 v20, 0, 1, vcc_lo
.LBB343_13:
	s_or_b32 exec_lo, exec_lo, s3
	s_delay_alu instid0(SALU_CYCLE_1)
	s_mov_b32 s3, exec_lo
	v_cmpx_gt_u32_e64 s2, v16
	s_cbranch_execz .LBB343_15
; %bb.14:
	v_lshlrev_b32_e32 v16, 3, v0
	global_load_b64 v[16:17], v16, s[12:13] offset:3072
	s_waitcnt vmcnt(0)
	v_cmp_neq_f64_e32 vcc_lo, 0, v[16:17]
	v_cndmask_b32_e64 v17, 0, 1, vcc_lo
.LBB343_15:
	s_or_b32 exec_lo, exec_lo, s3
	v_dual_mov_b32 v16, 0 :: v_dual_mov_b32 v21, 0
	s_mov_b32 s3, exec_lo
	v_cmpx_gt_u32_e64 s2, v14
	s_cbranch_execz .LBB343_17
; %bb.16:
	v_lshlrev_b32_e32 v14, 3, v14
	global_load_b64 v[21:22], v14, s[12:13]
	s_waitcnt vmcnt(0)
	v_cmp_neq_f64_e32 vcc_lo, 0, v[21:22]
	v_cndmask_b32_e64 v21, 0, 1, vcc_lo
.LBB343_17:
	s_or_b32 exec_lo, exec_lo, s3
	v_cmp_gt_u32_e32 vcc_lo, s2, v13
	s_and_saveexec_b32 s2, vcc_lo
	s_cbranch_execz .LBB343_19
; %bb.18:
	v_lshlrev_b32_e32 v13, 3, v13
	global_load_b64 v[13:14], v13, s[12:13]
	s_waitcnt vmcnt(0)
	v_cmp_neq_f64_e32 vcc_lo, 0, v[13:14]
	v_cndmask_b32_e64 v16, 0, 1, vcc_lo
.LBB343_19:
	s_or_b32 exec_lo, exec_lo, s2
	ds_store_b8 v0, v19
	ds_store_b8 v0, v18 offset:128
	ds_store_b8 v0, v20 offset:256
	;; [unrolled: 1-line block ×5, first 2 shown]
	s_waitcnt lgkmcnt(0)
	s_barrier
.LBB343_20:
	v_mad_i32_i24 v43, 0xffffffd6, v0, v15
	s_waitcnt lgkmcnt(0)
	buffer_gl0_inv
	v_mbcnt_lo_u32_b32 v42, -1, 0
	s_cmp_lg_u32 s15, 0
	s_mov_b32 s3, -1
	ds_load_u16 v36, v43
	ds_load_u16 v33, v43 offset:2
	ds_load_u16 v31, v43 offset:4
	v_mov_b32_e32 v14, 0
	v_and_b32_e32 v44, 15, v42
	s_waitcnt lgkmcnt(0)
	s_barrier
	buffer_gl0_inv
	v_and_b32_e32 v41, 0xff, v36
	v_lshrrev_b16 v34, 8, v36
	v_lshrrev_b16 v35, 8, v33
	v_and_b32_e32 v39, 0xff, v33
	v_lshrrev_b16 v32, 8, v31
	v_and_b32_e32 v37, 0xff, v31
	v_and_b32_e32 v40, 0xffff, v34
	;; [unrolled: 1-line block ×3, first 2 shown]
	s_delay_alu instid0(VALU_DEP_4) | instskip(NEXT) | instid1(VALU_DEP_3)
	v_and_b32_e32 v16, 0xffff, v32
	v_add_co_u32 v13, s2, v40, v41
	s_delay_alu instid0(VALU_DEP_1) | instskip(SKIP_1) | instid1(VALU_DEP_3)
	v_add_co_ci_u32_e64 v15, null, 0, 0, s2
	v_cmp_ne_u32_e64 s2, 0, v44
	v_add_co_u32 v13, vcc_lo, v13, v39
	s_delay_alu instid0(VALU_DEP_3) | instskip(NEXT) | instid1(VALU_DEP_2)
	v_add_co_ci_u32_e32 v15, vcc_lo, 0, v15, vcc_lo
	v_add_co_u32 v13, vcc_lo, v13, v38
	s_delay_alu instid0(VALU_DEP_2) | instskip(NEXT) | instid1(VALU_DEP_2)
	v_add_co_ci_u32_e32 v15, vcc_lo, 0, v15, vcc_lo
	v_add_co_u32 v13, vcc_lo, v13, v37
	s_delay_alu instid0(VALU_DEP_2) | instskip(NEXT) | instid1(VALU_DEP_2)
	v_add_co_ci_u32_e32 v15, vcc_lo, 0, v15, vcc_lo
	v_add_co_u32 v21, vcc_lo, v13, v16
	s_delay_alu instid0(VALU_DEP_2)
	v_add_co_ci_u32_e32 v22, vcc_lo, 0, v15, vcc_lo
	s_cbranch_scc0 .LBB343_89
; %bb.21:
	s_delay_alu instid0(VALU_DEP_2)
	v_mov_b32_e32 v15, v21
	v_mov_b32_dpp v13, v21 row_shr:1 row_mask:0xf bank_mask:0xf
	v_mov_b32_dpp v18, v14 row_shr:1 row_mask:0xf bank_mask:0xf
	v_dual_mov_b32 v17, v21 :: v_dual_mov_b32 v16, v22
	s_and_saveexec_b32 s3, s2
; %bb.22:
	s_delay_alu instid0(VALU_DEP_3) | instskip(SKIP_1) | instid1(VALU_DEP_2)
	v_add_co_u32 v17, vcc_lo, v21, v13
	v_add_co_ci_u32_e32 v14, vcc_lo, 0, v22, vcc_lo
	v_add_co_u32 v13, vcc_lo, 0, v17
	s_delay_alu instid0(VALU_DEP_2) | instskip(NEXT) | instid1(VALU_DEP_1)
	v_add_co_ci_u32_e32 v14, vcc_lo, v18, v14, vcc_lo
	v_dual_mov_b32 v16, v14 :: v_dual_mov_b32 v15, v13
; %bb.23:
	s_or_b32 exec_lo, exec_lo, s3
	v_mov_b32_dpp v13, v17 row_shr:2 row_mask:0xf bank_mask:0xf
	v_mov_b32_dpp v18, v14 row_shr:2 row_mask:0xf bank_mask:0xf
	s_mov_b32 s3, exec_lo
	v_cmpx_lt_u32_e32 1, v44
; %bb.24:
	s_delay_alu instid0(VALU_DEP_3) | instskip(SKIP_1) | instid1(VALU_DEP_2)
	v_add_co_u32 v17, vcc_lo, v15, v13
	v_add_co_ci_u32_e32 v14, vcc_lo, 0, v16, vcc_lo
	v_add_co_u32 v13, vcc_lo, 0, v17
	s_delay_alu instid0(VALU_DEP_2) | instskip(NEXT) | instid1(VALU_DEP_1)
	v_add_co_ci_u32_e32 v14, vcc_lo, v18, v14, vcc_lo
	v_dual_mov_b32 v16, v14 :: v_dual_mov_b32 v15, v13
; %bb.25:
	s_or_b32 exec_lo, exec_lo, s3
	v_mov_b32_dpp v13, v17 row_shr:4 row_mask:0xf bank_mask:0xf
	v_mov_b32_dpp v18, v14 row_shr:4 row_mask:0xf bank_mask:0xf
	s_mov_b32 s3, exec_lo
	v_cmpx_lt_u32_e32 3, v44
	;; [unrolled: 14-line block ×3, first 2 shown]
; %bb.28:
	s_delay_alu instid0(VALU_DEP_3) | instskip(SKIP_1) | instid1(VALU_DEP_2)
	v_add_co_u32 v17, vcc_lo, v15, v18
	v_add_co_ci_u32_e32 v14, vcc_lo, 0, v16, vcc_lo
	v_add_co_u32 v15, vcc_lo, 0, v17
	s_delay_alu instid0(VALU_DEP_2) | instskip(NEXT) | instid1(VALU_DEP_1)
	v_add_co_ci_u32_e32 v16, vcc_lo, v13, v14, vcc_lo
	v_mov_b32_e32 v14, v16
; %bb.29:
	s_or_b32 exec_lo, exec_lo, s3
	ds_swizzle_b32 v13, v17 offset:swizzle(BROADCAST,32,15)
	ds_swizzle_b32 v18, v14 offset:swizzle(BROADCAST,32,15)
	v_and_b32_e32 v19, 16, v42
	s_mov_b32 s3, exec_lo
	s_delay_alu instid0(VALU_DEP_1)
	v_cmpx_ne_u32_e32 0, v19
	s_cbranch_execz .LBB343_31
; %bb.30:
	s_waitcnt lgkmcnt(1)
	v_add_co_u32 v17, vcc_lo, v15, v13
	v_add_co_ci_u32_e32 v14, vcc_lo, 0, v16, vcc_lo
	s_delay_alu instid0(VALU_DEP_2) | instskip(SKIP_1) | instid1(VALU_DEP_2)
	v_add_co_u32 v13, vcc_lo, 0, v17
	s_waitcnt lgkmcnt(0)
	v_add_co_ci_u32_e32 v14, vcc_lo, v18, v14, vcc_lo
	s_delay_alu instid0(VALU_DEP_1)
	v_dual_mov_b32 v16, v14 :: v_dual_mov_b32 v15, v13
.LBB343_31:
	s_or_b32 exec_lo, exec_lo, s3
	s_waitcnt lgkmcnt(0)
	v_or_b32_e32 v18, 31, v0
	v_lshrrev_b32_e32 v13, 5, v0
	s_mov_b32 s3, exec_lo
	s_delay_alu instid0(VALU_DEP_2)
	v_cmpx_eq_u32_e64 v18, v0
	s_cbranch_execz .LBB343_33
; %bb.32:
	s_delay_alu instid0(VALU_DEP_2)
	v_lshlrev_b32_e32 v18, 3, v13
	ds_store_b64 v18, v[15:16]
.LBB343_33:
	s_or_b32 exec_lo, exec_lo, s3
	s_delay_alu instid0(SALU_CYCLE_1)
	s_mov_b32 s3, exec_lo
	s_waitcnt lgkmcnt(0)
	s_barrier
	buffer_gl0_inv
	v_cmpx_gt_u32_e32 4, v0
	s_cbranch_execz .LBB343_39
; %bb.34:
	v_lshlrev_b32_e32 v18, 3, v0
	s_mov_b32 s10, exec_lo
	ds_load_b64 v[15:16], v18
	s_waitcnt lgkmcnt(0)
	v_dual_mov_b32 v20, v15 :: v_dual_and_b32 v19, 3, v42
	v_mov_b32_dpp v24, v15 row_shr:1 row_mask:0xf bank_mask:0xf
	v_mov_b32_dpp v23, v16 row_shr:1 row_mask:0xf bank_mask:0xf
	s_delay_alu instid0(VALU_DEP_3)
	v_cmpx_ne_u32_e32 0, v19
; %bb.35:
	s_delay_alu instid0(VALU_DEP_3) | instskip(SKIP_1) | instid1(VALU_DEP_2)
	v_add_co_u32 v20, vcc_lo, v15, v24
	v_add_co_ci_u32_e32 v16, vcc_lo, 0, v16, vcc_lo
	v_add_co_u32 v15, vcc_lo, 0, v20
	s_delay_alu instid0(VALU_DEP_2)
	v_add_co_ci_u32_e32 v16, vcc_lo, v23, v16, vcc_lo
; %bb.36:
	s_or_b32 exec_lo, exec_lo, s10
	v_mov_b32_dpp v23, v20 row_shr:2 row_mask:0xf bank_mask:0xf
	s_delay_alu instid0(VALU_DEP_2)
	v_mov_b32_dpp v20, v16 row_shr:2 row_mask:0xf bank_mask:0xf
	s_mov_b32 s10, exec_lo
	v_cmpx_lt_u32_e32 1, v19
; %bb.37:
	s_delay_alu instid0(VALU_DEP_3) | instskip(SKIP_1) | instid1(VALU_DEP_2)
	v_add_co_u32 v15, vcc_lo, v15, v23
	v_add_co_ci_u32_e32 v16, vcc_lo, 0, v16, vcc_lo
	v_add_co_u32 v15, vcc_lo, v15, 0
	s_delay_alu instid0(VALU_DEP_2)
	v_add_co_ci_u32_e32 v16, vcc_lo, v16, v20, vcc_lo
; %bb.38:
	s_or_b32 exec_lo, exec_lo, s10
	ds_store_b64 v18, v[15:16]
.LBB343_39:
	s_or_b32 exec_lo, exec_lo, s3
	v_cmp_gt_u32_e32 vcc_lo, 32, v0
	s_mov_b32 s10, exec_lo
	s_waitcnt lgkmcnt(0)
	s_barrier
	buffer_gl0_inv
                                        ; implicit-def: $vgpr23_vgpr24
	v_cmpx_lt_u32_e32 31, v0
	s_cbranch_execz .LBB343_41
; %bb.40:
	v_lshl_add_u32 v13, v13, 3, -8
	ds_load_b64 v[23:24], v13
	s_waitcnt lgkmcnt(0)
	v_add_co_u32 v17, s3, v17, v23
	s_delay_alu instid0(VALU_DEP_1)
	v_add_co_ci_u32_e64 v14, s3, v14, v24, s3
.LBB343_41:
	s_or_b32 exec_lo, exec_lo, s10
	v_add_nc_u32_e32 v13, -1, v42
	s_delay_alu instid0(VALU_DEP_1) | instskip(NEXT) | instid1(VALU_DEP_1)
	v_cmp_gt_i32_e64 s3, 0, v13
	v_cndmask_b32_e64 v13, v13, v42, s3
	v_cmp_eq_u32_e64 s3, 0, v42
	s_delay_alu instid0(VALU_DEP_2)
	v_lshlrev_b32_e32 v13, 2, v13
	ds_bpermute_b32 v29, v13, v17
	ds_bpermute_b32 v30, v13, v14
	s_and_saveexec_b32 s10, vcc_lo
	s_cbranch_execz .LBB343_84
; %bb.42:
	v_mov_b32_e32 v16, 0
	ds_load_b64 v[13:14], v16 offset:24
	s_and_saveexec_b32 s11, s3
	s_cbranch_execz .LBB343_44
; %bb.43:
	s_add_i32 s12, s15, 32
	s_mov_b32 s13, 0
	s_delay_alu instid0(SALU_CYCLE_1) | instskip(NEXT) | instid1(SALU_CYCLE_1)
	s_lshl_b64 s[12:13], s[12:13], 4
	s_add_u32 s12, s8, s12
	s_addc_u32 s13, s9, s13
	s_delay_alu instid0(SALU_CYCLE_1)
	v_dual_mov_b32 v15, 1 :: v_dual_mov_b32 v18, s13
	v_mov_b32_e32 v17, s12
	s_waitcnt lgkmcnt(0)
	;;#ASMSTART
	global_store_dwordx4 v[17:18], v[13:16] off	
s_waitcnt vmcnt(0)
	;;#ASMEND
.LBB343_44:
	s_or_b32 exec_lo, exec_lo, s11
	v_xad_u32 v25, v42, -1, s15
	s_mov_b32 s12, 0
	s_mov_b32 s11, exec_lo
	s_delay_alu instid0(VALU_DEP_1) | instskip(NEXT) | instid1(VALU_DEP_1)
	v_add_nc_u32_e32 v15, 32, v25
	v_lshlrev_b64 v[15:16], 4, v[15:16]
	s_delay_alu instid0(VALU_DEP_1) | instskip(NEXT) | instid1(VALU_DEP_2)
	v_add_co_u32 v15, vcc_lo, s8, v15
	v_add_co_ci_u32_e32 v16, vcc_lo, s9, v16, vcc_lo
	;;#ASMSTART
	global_load_dwordx4 v[17:20], v[15:16] off glc	
s_waitcnt vmcnt(0)
	;;#ASMEND
	v_and_b32_e32 v20, 0xff, v18
	v_and_b32_e32 v26, 0xff00, v18
	;; [unrolled: 1-line block ×3, first 2 shown]
	v_or3_b32 v17, v17, 0, 0
	v_and_b32_e32 v18, 0xff000000, v18
	s_delay_alu instid0(VALU_DEP_4) | instskip(SKIP_1) | instid1(VALU_DEP_4)
	v_or3_b32 v20, 0, v20, v26
	v_and_b32_e32 v26, 0xff, v19
	v_or3_b32 v17, v17, 0, 0
	s_delay_alu instid0(VALU_DEP_3) | instskip(NEXT) | instid1(VALU_DEP_3)
	v_or3_b32 v18, v20, v27, v18
	v_cmpx_eq_u16_e32 0, v26
	s_cbranch_execz .LBB343_50
; %bb.45:
	s_mov_b32 s13, 1
	.p2align	6
.LBB343_46:                             ; =>This Loop Header: Depth=1
                                        ;     Child Loop BB343_47 Depth 2
	s_delay_alu instid0(SALU_CYCLE_1)
	s_max_u32 s17, s13, 1
.LBB343_47:                             ;   Parent Loop BB343_46 Depth=1
                                        ; =>  This Inner Loop Header: Depth=2
	s_delay_alu instid0(SALU_CYCLE_1)
	s_add_i32 s17, s17, -1
	s_sleep 1
	s_cmp_eq_u32 s17, 0
	s_cbranch_scc0 .LBB343_47
; %bb.48:                               ;   in Loop: Header=BB343_46 Depth=1
	;;#ASMSTART
	global_load_dwordx4 v[17:20], v[15:16] off glc	
s_waitcnt vmcnt(0)
	;;#ASMEND
	v_and_b32_e32 v20, 0xff, v19
	s_cmp_lt_u32 s13, 32
	s_cselect_b32 s17, -1, 0
	s_delay_alu instid0(SALU_CYCLE_1) | instskip(NEXT) | instid1(VALU_DEP_1)
	s_cmp_lg_u32 s17, 0
	v_cmp_ne_u16_e32 vcc_lo, 0, v20
	s_addc_u32 s13, s13, 0
	s_or_b32 s12, vcc_lo, s12
	s_delay_alu instid0(SALU_CYCLE_1)
	s_and_not1_b32 exec_lo, exec_lo, s12
	s_cbranch_execnz .LBB343_46
; %bb.49:
	s_or_b32 exec_lo, exec_lo, s12
.LBB343_50:
	s_delay_alu instid0(SALU_CYCLE_1)
	s_or_b32 exec_lo, exec_lo, s11
	v_cmp_ne_u32_e32 vcc_lo, 31, v42
	v_and_b32_e32 v16, 0xff, v19
	v_lshlrev_b32_e64 v46, v42, -1
	s_mov_b32 s11, exec_lo
	v_add_co_ci_u32_e32 v15, vcc_lo, 0, v42, vcc_lo
	s_delay_alu instid0(VALU_DEP_3) | instskip(NEXT) | instid1(VALU_DEP_2)
	v_cmp_eq_u16_e32 vcc_lo, 2, v16
	v_dual_mov_b32 v16, v17 :: v_dual_lshlrev_b32 v45, 2, v15
	v_and_or_b32 v15, vcc_lo, v46, 0x80000000
	ds_bpermute_b32 v26, v45, v17
	ds_bpermute_b32 v20, v45, v18
	v_ctz_i32_b32_e32 v15, v15
	s_delay_alu instid0(VALU_DEP_1)
	v_cmpx_lt_u32_e64 v42, v15
	s_cbranch_execz .LBB343_52
; %bb.51:
	s_waitcnt lgkmcnt(1)
	v_add_co_u32 v16, vcc_lo, v17, v26
	v_add_co_ci_u32_e32 v18, vcc_lo, 0, v18, vcc_lo
	s_delay_alu instid0(VALU_DEP_2) | instskip(SKIP_1) | instid1(VALU_DEP_2)
	v_add_co_u32 v17, vcc_lo, 0, v16
	s_waitcnt lgkmcnt(0)
	v_add_co_ci_u32_e32 v18, vcc_lo, v20, v18, vcc_lo
.LBB343_52:
	s_or_b32 exec_lo, exec_lo, s11
	v_cmp_gt_u32_e32 vcc_lo, 30, v42
	v_add_nc_u32_e32 v48, 2, v42
	s_mov_b32 s11, exec_lo
	s_waitcnt lgkmcnt(0)
	v_cndmask_b32_e64 v20, 0, 1, vcc_lo
	s_delay_alu instid0(VALU_DEP_1) | instskip(NEXT) | instid1(VALU_DEP_1)
	v_lshlrev_b32_e32 v20, 1, v20
	v_add_lshl_u32 v47, v20, v42, 2
	ds_bpermute_b32 v26, v47, v16
	ds_bpermute_b32 v20, v47, v18
	v_cmpx_le_u32_e64 v48, v15
	s_cbranch_execz .LBB343_54
; %bb.53:
	s_waitcnt lgkmcnt(1)
	v_add_co_u32 v16, vcc_lo, v17, v26
	v_add_co_ci_u32_e32 v18, vcc_lo, 0, v18, vcc_lo
	s_delay_alu instid0(VALU_DEP_2) | instskip(SKIP_1) | instid1(VALU_DEP_2)
	v_add_co_u32 v17, vcc_lo, 0, v16
	s_waitcnt lgkmcnt(0)
	v_add_co_ci_u32_e32 v18, vcc_lo, v20, v18, vcc_lo
.LBB343_54:
	s_or_b32 exec_lo, exec_lo, s11
	v_cmp_gt_u32_e32 vcc_lo, 28, v42
	v_add_nc_u32_e32 v50, 4, v42
	s_mov_b32 s11, exec_lo
	s_waitcnt lgkmcnt(0)
	v_cndmask_b32_e64 v20, 0, 1, vcc_lo
	s_delay_alu instid0(VALU_DEP_1) | instskip(NEXT) | instid1(VALU_DEP_1)
	v_lshlrev_b32_e32 v20, 2, v20
	v_add_lshl_u32 v49, v20, v42, 2
	ds_bpermute_b32 v26, v49, v16
	ds_bpermute_b32 v20, v49, v18
	v_cmpx_le_u32_e64 v50, v15
	;; [unrolled: 22-line block ×4, first 2 shown]
	s_cbranch_execz .LBB343_60
; %bb.59:
	s_waitcnt lgkmcnt(1)
	v_add_co_u32 v15, vcc_lo, v17, v20
	v_add_co_ci_u32_e32 v18, vcc_lo, 0, v18, vcc_lo
	s_delay_alu instid0(VALU_DEP_2) | instskip(SKIP_1) | instid1(VALU_DEP_2)
	v_add_co_u32 v17, vcc_lo, v15, 0
	s_waitcnt lgkmcnt(0)
	v_add_co_ci_u32_e32 v18, vcc_lo, v18, v16, vcc_lo
.LBB343_60:
	s_or_b32 exec_lo, exec_lo, s11
	v_mov_b32_e32 v26, 0
	s_branch .LBB343_62
.LBB343_61:                             ;   in Loop: Header=BB343_62 Depth=1
	s_or_b32 exec_lo, exec_lo, s11
	v_add_co_u32 v17, vcc_lo, v17, v15
	v_subrev_nc_u32_e32 v25, 32, v25
	v_add_co_ci_u32_e32 v18, vcc_lo, v18, v16, vcc_lo
.LBB343_62:                             ; =>This Loop Header: Depth=1
                                        ;     Child Loop BB343_65 Depth 2
                                        ;       Child Loop BB343_66 Depth 3
	v_and_b32_e32 v15, 0xff, v19
	s_delay_alu instid0(VALU_DEP_1) | instskip(SKIP_2) | instid1(VALU_DEP_1)
	v_cmp_ne_u16_e32 vcc_lo, 2, v15
	v_cndmask_b32_e64 v15, 0, 1, vcc_lo
	;;#ASMSTART
	;;#ASMEND
	v_cmp_ne_u32_e32 vcc_lo, 0, v15
	s_waitcnt lgkmcnt(0)
	v_dual_mov_b32 v15, v17 :: v_dual_mov_b32 v16, v18
	s_cmp_lg_u32 vcc_lo, exec_lo
	s_cbranch_scc1 .LBB343_79
; %bb.63:                               ;   in Loop: Header=BB343_62 Depth=1
	v_lshlrev_b64 v[17:18], 4, v[25:26]
	s_mov_b32 s11, exec_lo
	s_delay_alu instid0(VALU_DEP_1) | instskip(NEXT) | instid1(VALU_DEP_2)
	v_add_co_u32 v27, vcc_lo, s8, v17
	v_add_co_ci_u32_e32 v28, vcc_lo, s9, v18, vcc_lo
	;;#ASMSTART
	global_load_dwordx4 v[17:20], v[27:28] off glc	
s_waitcnt vmcnt(0)
	;;#ASMEND
	v_and_b32_e32 v20, 0xff, v18
	v_and_b32_e32 v55, 0xff00, v18
	;; [unrolled: 1-line block ×3, first 2 shown]
	v_or3_b32 v17, v17, 0, 0
	v_and_b32_e32 v18, 0xff000000, v18
	s_delay_alu instid0(VALU_DEP_4) | instskip(SKIP_1) | instid1(VALU_DEP_4)
	v_or3_b32 v20, 0, v20, v55
	v_and_b32_e32 v55, 0xff, v19
	v_or3_b32 v17, v17, 0, 0
	s_delay_alu instid0(VALU_DEP_3) | instskip(NEXT) | instid1(VALU_DEP_3)
	v_or3_b32 v18, v20, v56, v18
	v_cmpx_eq_u16_e32 0, v55
	s_cbranch_execz .LBB343_69
; %bb.64:                               ;   in Loop: Header=BB343_62 Depth=1
	s_mov_b32 s13, 1
	s_mov_b32 s12, 0
	.p2align	6
.LBB343_65:                             ;   Parent Loop BB343_62 Depth=1
                                        ; =>  This Loop Header: Depth=2
                                        ;       Child Loop BB343_66 Depth 3
	s_max_u32 s17, s13, 1
.LBB343_66:                             ;   Parent Loop BB343_62 Depth=1
                                        ;     Parent Loop BB343_65 Depth=2
                                        ; =>    This Inner Loop Header: Depth=3
	s_delay_alu instid0(SALU_CYCLE_1)
	s_add_i32 s17, s17, -1
	s_sleep 1
	s_cmp_eq_u32 s17, 0
	s_cbranch_scc0 .LBB343_66
; %bb.67:                               ;   in Loop: Header=BB343_65 Depth=2
	;;#ASMSTART
	global_load_dwordx4 v[17:20], v[27:28] off glc	
s_waitcnt vmcnt(0)
	;;#ASMEND
	v_and_b32_e32 v20, 0xff, v19
	s_cmp_lt_u32 s13, 32
	s_cselect_b32 s17, -1, 0
	s_delay_alu instid0(SALU_CYCLE_1) | instskip(NEXT) | instid1(VALU_DEP_1)
	s_cmp_lg_u32 s17, 0
	v_cmp_ne_u16_e32 vcc_lo, 0, v20
	s_addc_u32 s13, s13, 0
	s_or_b32 s12, vcc_lo, s12
	s_delay_alu instid0(SALU_CYCLE_1)
	s_and_not1_b32 exec_lo, exec_lo, s12
	s_cbranch_execnz .LBB343_65
; %bb.68:                               ;   in Loop: Header=BB343_62 Depth=1
	s_or_b32 exec_lo, exec_lo, s12
.LBB343_69:                             ;   in Loop: Header=BB343_62 Depth=1
	s_delay_alu instid0(SALU_CYCLE_1)
	s_or_b32 exec_lo, exec_lo, s11
	v_dual_mov_b32 v27, v17 :: v_dual_and_b32 v20, 0xff, v19
	ds_bpermute_b32 v55, v45, v17
	ds_bpermute_b32 v28, v45, v18
	s_mov_b32 s11, exec_lo
	v_cmp_eq_u16_e32 vcc_lo, 2, v20
	v_and_or_b32 v20, vcc_lo, v46, 0x80000000
	s_delay_alu instid0(VALU_DEP_1) | instskip(NEXT) | instid1(VALU_DEP_1)
	v_ctz_i32_b32_e32 v20, v20
	v_cmpx_lt_u32_e64 v42, v20
	s_cbranch_execz .LBB343_71
; %bb.70:                               ;   in Loop: Header=BB343_62 Depth=1
	s_waitcnt lgkmcnt(1)
	v_add_co_u32 v27, vcc_lo, v17, v55
	v_add_co_ci_u32_e32 v18, vcc_lo, 0, v18, vcc_lo
	s_delay_alu instid0(VALU_DEP_2) | instskip(SKIP_1) | instid1(VALU_DEP_2)
	v_add_co_u32 v17, vcc_lo, 0, v27
	s_waitcnt lgkmcnt(0)
	v_add_co_ci_u32_e32 v18, vcc_lo, v28, v18, vcc_lo
.LBB343_71:                             ;   in Loop: Header=BB343_62 Depth=1
	s_or_b32 exec_lo, exec_lo, s11
	s_waitcnt lgkmcnt(1)
	ds_bpermute_b32 v55, v47, v27
	s_waitcnt lgkmcnt(1)
	ds_bpermute_b32 v28, v47, v18
	s_mov_b32 s11, exec_lo
	v_cmpx_le_u32_e64 v48, v20
	s_cbranch_execz .LBB343_73
; %bb.72:                               ;   in Loop: Header=BB343_62 Depth=1
	s_waitcnt lgkmcnt(1)
	v_add_co_u32 v27, vcc_lo, v17, v55
	v_add_co_ci_u32_e32 v18, vcc_lo, 0, v18, vcc_lo
	s_delay_alu instid0(VALU_DEP_2) | instskip(SKIP_1) | instid1(VALU_DEP_2)
	v_add_co_u32 v17, vcc_lo, 0, v27
	s_waitcnt lgkmcnt(0)
	v_add_co_ci_u32_e32 v18, vcc_lo, v28, v18, vcc_lo
.LBB343_73:                             ;   in Loop: Header=BB343_62 Depth=1
	s_or_b32 exec_lo, exec_lo, s11
	s_waitcnt lgkmcnt(1)
	ds_bpermute_b32 v55, v49, v27
	s_waitcnt lgkmcnt(1)
	ds_bpermute_b32 v28, v49, v18
	s_mov_b32 s11, exec_lo
	v_cmpx_le_u32_e64 v50, v20
	;; [unrolled: 17-line block ×3, first 2 shown]
	s_cbranch_execz .LBB343_77
; %bb.76:                               ;   in Loop: Header=BB343_62 Depth=1
	s_waitcnt lgkmcnt(1)
	v_add_co_u32 v27, vcc_lo, v17, v55
	v_add_co_ci_u32_e32 v18, vcc_lo, 0, v18, vcc_lo
	s_delay_alu instid0(VALU_DEP_2) | instskip(SKIP_1) | instid1(VALU_DEP_2)
	v_add_co_u32 v17, vcc_lo, 0, v27
	s_waitcnt lgkmcnt(0)
	v_add_co_ci_u32_e32 v18, vcc_lo, v28, v18, vcc_lo
.LBB343_77:                             ;   in Loop: Header=BB343_62 Depth=1
	s_or_b32 exec_lo, exec_lo, s11
	s_waitcnt lgkmcnt(0)
	ds_bpermute_b32 v28, v53, v27
	ds_bpermute_b32 v27, v53, v18
	s_mov_b32 s11, exec_lo
	v_cmpx_le_u32_e64 v54, v20
	s_cbranch_execz .LBB343_61
; %bb.78:                               ;   in Loop: Header=BB343_62 Depth=1
	s_waitcnt lgkmcnt(1)
	v_add_co_u32 v17, vcc_lo, v17, v28
	v_add_co_ci_u32_e32 v18, vcc_lo, 0, v18, vcc_lo
	s_delay_alu instid0(VALU_DEP_2) | instskip(SKIP_1) | instid1(VALU_DEP_2)
	v_add_co_u32 v17, vcc_lo, v17, 0
	s_waitcnt lgkmcnt(0)
	v_add_co_ci_u32_e32 v18, vcc_lo, v18, v27, vcc_lo
	s_branch .LBB343_61
.LBB343_79:                             ;   in Loop: Header=BB343_62 Depth=1
                                        ; implicit-def: $vgpr17_vgpr18
	s_cbranch_execz .LBB343_62
; %bb.80:
	s_and_saveexec_b32 s11, s3
	s_cbranch_execz .LBB343_82
; %bb.81:
	s_add_i32 s12, s15, 32
	s_mov_b32 s13, 0
	v_add_co_u32 v17, vcc_lo, v15, v13
	s_lshl_b64 s[12:13], s[12:13], 4
	v_dual_mov_b32 v19, 2 :: v_dual_mov_b32 v20, 0
	s_add_u32 s12, s8, s12
	s_addc_u32 s13, s9, s13
	v_add_co_ci_u32_e32 v18, vcc_lo, v16, v14, vcc_lo
	v_dual_mov_b32 v26, s13 :: v_dual_mov_b32 v25, s12
	;;#ASMSTART
	global_store_dwordx4 v[25:26], v[17:20] off	
s_waitcnt vmcnt(0)
	;;#ASMEND
	ds_store_b128 v20, v[13:16] offset:6144
.LBB343_82:
	s_or_b32 exec_lo, exec_lo, s11
	v_cmp_eq_u32_e32 vcc_lo, 0, v0
	s_and_b32 exec_lo, exec_lo, vcc_lo
	s_cbranch_execz .LBB343_84
; %bb.83:
	v_mov_b32_e32 v13, 0
	ds_store_b64 v13, v[15:16] offset:24
.LBB343_84:
	s_or_b32 exec_lo, exec_lo, s10
	s_waitcnt lgkmcnt(1)
	v_cndmask_b32_e64 v16, v29, v23, s3
	v_cmp_ne_u32_e32 vcc_lo, 0, v0
	v_mov_b32_e32 v15, 0
	s_waitcnt lgkmcnt(0)
	s_barrier
	buffer_gl0_inv
	v_cndmask_b32_e32 v16, 0, v16, vcc_lo
	ds_load_b64 v[13:14], v15 offset:24
	v_cndmask_b32_e64 v17, v30, v24, s3
	s_waitcnt lgkmcnt(0)
	s_barrier
	buffer_gl0_inv
	v_cndmask_b32_e32 v17, 0, v17, vcc_lo
	v_add_co_u32 v29, vcc_lo, v13, v16
	s_delay_alu instid0(VALU_DEP_2) | instskip(SKIP_3) | instid1(VALU_DEP_2)
	v_add_co_ci_u32_e32 v30, vcc_lo, v14, v17, vcc_lo
	ds_load_b128 v[13:16], v15 offset:6144
	v_add_co_u32 v27, vcc_lo, v29, v41
	v_add_co_ci_u32_e32 v28, vcc_lo, 0, v30, vcc_lo
	v_add_co_u32 v25, vcc_lo, v27, v40
	s_delay_alu instid0(VALU_DEP_2) | instskip(NEXT) | instid1(VALU_DEP_2)
	v_add_co_ci_u32_e32 v26, vcc_lo, 0, v28, vcc_lo
	v_add_co_u32 v23, vcc_lo, v25, v39
	s_delay_alu instid0(VALU_DEP_2) | instskip(NEXT) | instid1(VALU_DEP_2)
	;; [unrolled: 3-line block ×3, first 2 shown]
	v_add_co_ci_u32_e32 v20, vcc_lo, 0, v24, vcc_lo
	v_add_co_u32 v17, vcc_lo, v19, v37
	s_delay_alu instid0(VALU_DEP_2)
	v_add_co_ci_u32_e32 v18, vcc_lo, 0, v20, vcc_lo
	s_load_b64 s[10:11], s[0:1], 0x30
.LBB343_85:
	s_waitcnt lgkmcnt(0)
	v_cmp_gt_u64_e32 vcc_lo, 0x81, v[13:14]
	s_mov_b32 s0, -1
	s_cbranch_vccnz .LBB343_113
.LBB343_86:
	s_and_b32 vcc_lo, exec_lo, s0
	s_cbranch_vccnz .LBB343_132
.LBB343_87:
	v_cmp_eq_u32_e32 vcc_lo, 0, v0
	s_and_b32 s0, vcc_lo, s14
	s_delay_alu instid0(SALU_CYCLE_1)
	s_and_saveexec_b32 s1, s0
	s_cbranch_execnz .LBB343_148
.LBB343_88:
	s_nop 0
	s_sendmsg sendmsg(MSG_DEALLOC_VGPRS)
	s_endpgm
.LBB343_89:
                                        ; kill: def $vgpr13_vgpr14 killed $sgpr0_sgpr1 killed $exec
                                        ; implicit-def: $vgpr17_vgpr18
                                        ; implicit-def: $vgpr19_vgpr20
                                        ; implicit-def: $vgpr23_vgpr24
                                        ; implicit-def: $vgpr25_vgpr26
                                        ; implicit-def: $vgpr27_vgpr28
                                        ; implicit-def: $vgpr29_vgpr30
                                        ; implicit-def: $vgpr15_vgpr16
	s_load_b64 s[10:11], s[0:1], 0x30
	s_and_b32 vcc_lo, exec_lo, s3
	s_cbranch_vccz .LBB343_85
; %bb.90:
	s_waitcnt lgkmcnt(0)
	v_dual_mov_b32 v14, 0 :: v_dual_mov_b32 v15, v21
	v_mov_b32_dpp v16, v21 row_shr:1 row_mask:0xf bank_mask:0xf
	s_delay_alu instid0(VALU_DEP_2)
	v_mov_b32_dpp v13, v14 row_shr:1 row_mask:0xf bank_mask:0xf
	s_and_saveexec_b32 s0, s2
; %bb.91:
	s_delay_alu instid0(VALU_DEP_2) | instskip(SKIP_1) | instid1(VALU_DEP_2)
	v_add_co_u32 v15, vcc_lo, v21, v16
	v_add_co_ci_u32_e32 v14, vcc_lo, 0, v22, vcc_lo
	v_add_co_u32 v21, vcc_lo, 0, v15
	s_delay_alu instid0(VALU_DEP_2) | instskip(NEXT) | instid1(VALU_DEP_1)
	v_add_co_ci_u32_e32 v22, vcc_lo, v13, v14, vcc_lo
	v_mov_b32_e32 v14, v22
; %bb.92:
	s_or_b32 exec_lo, exec_lo, s0
	v_mov_b32_dpp v13, v15 row_shr:2 row_mask:0xf bank_mask:0xf
	s_delay_alu instid0(VALU_DEP_2)
	v_mov_b32_dpp v16, v14 row_shr:2 row_mask:0xf bank_mask:0xf
	s_mov_b32 s0, exec_lo
	v_cmpx_lt_u32_e32 1, v44
; %bb.93:
	s_delay_alu instid0(VALU_DEP_3) | instskip(SKIP_1) | instid1(VALU_DEP_2)
	v_add_co_u32 v15, vcc_lo, v21, v13
	v_add_co_ci_u32_e32 v14, vcc_lo, 0, v22, vcc_lo
	v_add_co_u32 v13, vcc_lo, 0, v15
	s_delay_alu instid0(VALU_DEP_2) | instskip(NEXT) | instid1(VALU_DEP_1)
	v_add_co_ci_u32_e32 v14, vcc_lo, v16, v14, vcc_lo
	v_dual_mov_b32 v22, v14 :: v_dual_mov_b32 v21, v13
; %bb.94:
	s_or_b32 exec_lo, exec_lo, s0
	v_mov_b32_dpp v13, v15 row_shr:4 row_mask:0xf bank_mask:0xf
	v_mov_b32_dpp v16, v14 row_shr:4 row_mask:0xf bank_mask:0xf
	s_mov_b32 s0, exec_lo
	v_cmpx_lt_u32_e32 3, v44
; %bb.95:
	s_delay_alu instid0(VALU_DEP_3) | instskip(SKIP_1) | instid1(VALU_DEP_2)
	v_add_co_u32 v15, vcc_lo, v21, v13
	v_add_co_ci_u32_e32 v14, vcc_lo, 0, v22, vcc_lo
	v_add_co_u32 v13, vcc_lo, 0, v15
	s_delay_alu instid0(VALU_DEP_2) | instskip(NEXT) | instid1(VALU_DEP_1)
	v_add_co_ci_u32_e32 v14, vcc_lo, v16, v14, vcc_lo
	v_dual_mov_b32 v22, v14 :: v_dual_mov_b32 v21, v13
; %bb.96:
	s_or_b32 exec_lo, exec_lo, s0
	v_mov_b32_dpp v16, v15 row_shr:8 row_mask:0xf bank_mask:0xf
	v_mov_b32_dpp v13, v14 row_shr:8 row_mask:0xf bank_mask:0xf
	s_mov_b32 s0, exec_lo
	v_cmpx_lt_u32_e32 7, v44
; %bb.97:
	s_delay_alu instid0(VALU_DEP_3) | instskip(SKIP_1) | instid1(VALU_DEP_2)
	v_add_co_u32 v15, vcc_lo, v21, v16
	v_add_co_ci_u32_e32 v14, vcc_lo, 0, v22, vcc_lo
	v_add_co_u32 v21, vcc_lo, 0, v15
	s_delay_alu instid0(VALU_DEP_2) | instskip(NEXT) | instid1(VALU_DEP_1)
	v_add_co_ci_u32_e32 v22, vcc_lo, v13, v14, vcc_lo
	v_mov_b32_e32 v14, v22
; %bb.98:
	s_or_b32 exec_lo, exec_lo, s0
	ds_swizzle_b32 v15, v15 offset:swizzle(BROADCAST,32,15)
	ds_swizzle_b32 v13, v14 offset:swizzle(BROADCAST,32,15)
	v_and_b32_e32 v14, 16, v42
	s_mov_b32 s0, exec_lo
	s_delay_alu instid0(VALU_DEP_1)
	v_cmpx_ne_u32_e32 0, v14
	s_cbranch_execz .LBB343_100
; %bb.99:
	s_waitcnt lgkmcnt(1)
	v_add_co_u32 v14, vcc_lo, v21, v15
	v_add_co_ci_u32_e32 v15, vcc_lo, 0, v22, vcc_lo
	s_delay_alu instid0(VALU_DEP_2) | instskip(SKIP_1) | instid1(VALU_DEP_2)
	v_add_co_u32 v21, vcc_lo, v14, 0
	s_waitcnt lgkmcnt(0)
	v_add_co_ci_u32_e32 v22, vcc_lo, v15, v13, vcc_lo
.LBB343_100:
	s_or_b32 exec_lo, exec_lo, s0
	s_waitcnt lgkmcnt(0)
	v_or_b32_e32 v13, 31, v0
	v_lshrrev_b32_e32 v15, 5, v0
	s_mov_b32 s0, exec_lo
	s_delay_alu instid0(VALU_DEP_2)
	v_cmpx_eq_u32_e64 v13, v0
	s_cbranch_execz .LBB343_102
; %bb.101:
	s_delay_alu instid0(VALU_DEP_2)
	v_lshlrev_b32_e32 v13, 3, v15
	ds_store_b64 v13, v[21:22]
.LBB343_102:
	s_or_b32 exec_lo, exec_lo, s0
	s_delay_alu instid0(SALU_CYCLE_1)
	s_mov_b32 s0, exec_lo
	s_waitcnt lgkmcnt(0)
	s_barrier
	buffer_gl0_inv
	v_cmpx_gt_u32_e32 4, v0
	s_cbranch_execz .LBB343_108
; %bb.103:
	v_lshlrev_b32_e32 v13, 1, v0
	s_mov_b32 s1, exec_lo
	s_delay_alu instid0(VALU_DEP_1)
	v_add_nc_u32_e32 v16, v43, v13
	ds_load_b64 v[13:14], v16
	s_waitcnt lgkmcnt(0)
	v_dual_mov_b32 v18, v13 :: v_dual_and_b32 v17, 3, v42
	v_mov_b32_dpp v20, v13 row_shr:1 row_mask:0xf bank_mask:0xf
	v_mov_b32_dpp v19, v14 row_shr:1 row_mask:0xf bank_mask:0xf
	s_delay_alu instid0(VALU_DEP_3)
	v_cmpx_ne_u32_e32 0, v17
; %bb.104:
	s_delay_alu instid0(VALU_DEP_3) | instskip(SKIP_1) | instid1(VALU_DEP_2)
	v_add_co_u32 v18, vcc_lo, v13, v20
	v_add_co_ci_u32_e32 v14, vcc_lo, 0, v14, vcc_lo
	v_add_co_u32 v13, vcc_lo, 0, v18
	s_delay_alu instid0(VALU_DEP_2)
	v_add_co_ci_u32_e32 v14, vcc_lo, v19, v14, vcc_lo
; %bb.105:
	s_or_b32 exec_lo, exec_lo, s1
	v_mov_b32_dpp v19, v18 row_shr:2 row_mask:0xf bank_mask:0xf
	s_delay_alu instid0(VALU_DEP_2)
	v_mov_b32_dpp v18, v14 row_shr:2 row_mask:0xf bank_mask:0xf
	s_mov_b32 s1, exec_lo
	v_cmpx_lt_u32_e32 1, v17
; %bb.106:
	s_delay_alu instid0(VALU_DEP_3) | instskip(SKIP_1) | instid1(VALU_DEP_2)
	v_add_co_u32 v13, vcc_lo, v13, v19
	v_add_co_ci_u32_e32 v14, vcc_lo, 0, v14, vcc_lo
	v_add_co_u32 v13, vcc_lo, v13, 0
	s_delay_alu instid0(VALU_DEP_2)
	v_add_co_ci_u32_e32 v14, vcc_lo, v14, v18, vcc_lo
; %bb.107:
	s_or_b32 exec_lo, exec_lo, s1
	ds_store_b64 v16, v[13:14]
.LBB343_108:
	s_or_b32 exec_lo, exec_lo, s0
	v_mov_b32_e32 v17, 0
	v_mov_b32_e32 v18, 0
	s_mov_b32 s0, exec_lo
	s_waitcnt lgkmcnt(0)
	s_barrier
	buffer_gl0_inv
	v_cmpx_lt_u32_e32 31, v0
	s_cbranch_execz .LBB343_110
; %bb.109:
	v_lshl_add_u32 v13, v15, 3, -8
	ds_load_b64 v[17:18], v13
.LBB343_110:
	s_or_b32 exec_lo, exec_lo, s0
	v_dual_mov_b32 v16, 0 :: v_dual_add_nc_u32 v13, -1, v42
	s_delay_alu instid0(VALU_DEP_1) | instskip(SKIP_4) | instid1(VALU_DEP_3)
	v_cmp_gt_i32_e32 vcc_lo, 0, v13
	v_cndmask_b32_e32 v13, v13, v42, vcc_lo
	s_waitcnt lgkmcnt(0)
	v_add_co_u32 v14, vcc_lo, v17, v21
	v_add_co_ci_u32_e32 v15, vcc_lo, v18, v22, vcc_lo
	v_lshlrev_b32_e32 v13, 2, v13
	v_cmp_eq_u32_e32 vcc_lo, 0, v0
	ds_bpermute_b32 v19, v13, v14
	ds_bpermute_b32 v20, v13, v15
	ds_load_b64 v[13:14], v16 offset:24
	s_and_saveexec_b32 s0, vcc_lo
	s_cbranch_execz .LBB343_112
; %bb.111:
	s_add_u32 s2, s8, 0x200
	s_addc_u32 s3, s9, 0
	s_delay_alu instid0(SALU_CYCLE_1)
	v_dual_mov_b32 v15, 2 :: v_dual_mov_b32 v22, s3
	v_mov_b32_e32 v21, s2
	s_waitcnt lgkmcnt(0)
	;;#ASMSTART
	global_store_dwordx4 v[21:22], v[13:16] off	
s_waitcnt vmcnt(0)
	;;#ASMEND
.LBB343_112:
	s_or_b32 exec_lo, exec_lo, s0
	v_cmp_eq_u32_e64 s0, 0, v42
	s_waitcnt lgkmcnt(0)
	s_barrier
	buffer_gl0_inv
	v_cndmask_b32_e64 v15, v19, v17, s0
	v_cndmask_b32_e64 v16, v20, v18, s0
	s_delay_alu instid0(VALU_DEP_2) | instskip(NEXT) | instid1(VALU_DEP_2)
	v_cndmask_b32_e64 v29, v15, 0, vcc_lo
	v_cndmask_b32_e64 v30, v16, 0, vcc_lo
	v_mov_b32_e32 v15, 0
	v_mov_b32_e32 v16, 0
	s_delay_alu instid0(VALU_DEP_4) | instskip(NEXT) | instid1(VALU_DEP_4)
	v_add_co_u32 v27, vcc_lo, v29, v41
	v_add_co_ci_u32_e32 v28, vcc_lo, 0, v30, vcc_lo
	s_delay_alu instid0(VALU_DEP_2) | instskip(NEXT) | instid1(VALU_DEP_2)
	v_add_co_u32 v25, vcc_lo, v27, v40
	v_add_co_ci_u32_e32 v26, vcc_lo, 0, v28, vcc_lo
	s_delay_alu instid0(VALU_DEP_2) | instskip(NEXT) | instid1(VALU_DEP_2)
	;; [unrolled: 3-line block ×4, first 2 shown]
	v_add_co_u32 v17, vcc_lo, v19, v37
	v_add_co_ci_u32_e32 v18, vcc_lo, 0, v20, vcc_lo
	v_cmp_gt_u64_e32 vcc_lo, 0x81, v[13:14]
	s_mov_b32 s0, -1
	s_cbranch_vccz .LBB343_86
.LBB343_113:
	v_add_co_u32 v21, vcc_lo, v15, v13
	v_add_co_ci_u32_e32 v22, vcc_lo, v16, v14, vcc_lo
	s_delay_alu instid0(VALU_DEP_1) | instskip(SKIP_1) | instid1(SALU_CYCLE_1)
	v_cmp_lt_u64_e32 vcc_lo, v[29:30], v[21:22]
	s_or_b32 s1, s16, vcc_lo
	s_and_saveexec_b32 s0, s1
	s_cbranch_execz .LBB343_116
; %bb.114:
	v_and_b32_e32 v37, 1, v36
	s_delay_alu instid0(VALU_DEP_1)
	v_cmp_eq_u32_e32 vcc_lo, 1, v37
	s_and_b32 exec_lo, exec_lo, vcc_lo
	s_cbranch_execz .LBB343_116
; %bb.115:
	v_lshlrev_b64 v[37:38], 3, v[29:30]
	s_lshl_b64 s[2:3], s[6:7], 3
	s_delay_alu instid0(SALU_CYCLE_1) | instskip(SKIP_1) | instid1(VALU_DEP_1)
	s_add_u32 s1, s10, s2
	s_addc_u32 s2, s11, s3
	v_add_co_u32 v37, vcc_lo, s1, v37
	s_delay_alu instid0(VALU_DEP_2)
	v_add_co_ci_u32_e32 v38, vcc_lo, s2, v38, vcc_lo
	global_store_b64 v[37:38], v[9:10], off
.LBB343_116:
	s_or_b32 exec_lo, exec_lo, s0
	v_cmp_lt_u64_e32 vcc_lo, v[27:28], v[21:22]
	s_or_b32 s1, s16, vcc_lo
	s_delay_alu instid0(SALU_CYCLE_1)
	s_and_saveexec_b32 s0, s1
	s_cbranch_execz .LBB343_119
; %bb.117:
	v_and_b32_e32 v30, 1, v34
	s_delay_alu instid0(VALU_DEP_1)
	v_cmp_eq_u32_e32 vcc_lo, 1, v30
	s_and_b32 exec_lo, exec_lo, vcc_lo
	s_cbranch_execz .LBB343_119
; %bb.118:
	v_lshlrev_b64 v[37:38], 3, v[27:28]
	s_lshl_b64 s[2:3], s[6:7], 3
	s_delay_alu instid0(SALU_CYCLE_1) | instskip(SKIP_1) | instid1(VALU_DEP_1)
	s_add_u32 s1, s10, s2
	s_addc_u32 s2, s11, s3
	v_add_co_u32 v37, vcc_lo, s1, v37
	s_delay_alu instid0(VALU_DEP_2)
	v_add_co_ci_u32_e32 v38, vcc_lo, s2, v38, vcc_lo
	global_store_b64 v[37:38], v[11:12], off
.LBB343_119:
	s_or_b32 exec_lo, exec_lo, s0
	v_cmp_lt_u64_e32 vcc_lo, v[25:26], v[21:22]
	s_or_b32 s1, s16, vcc_lo
	s_delay_alu instid0(SALU_CYCLE_1)
	;; [unrolled: 23-line block ×5, first 2 shown]
	s_and_saveexec_b32 s0, s1
	s_cbranch_execz .LBB343_131
; %bb.129:
	v_and_b32_e32 v20, 1, v32
	s_delay_alu instid0(VALU_DEP_1)
	v_cmp_eq_u32_e32 vcc_lo, 1, v20
	s_and_b32 exec_lo, exec_lo, vcc_lo
	s_cbranch_execz .LBB343_131
; %bb.130:
	v_lshlrev_b64 v[20:21], 3, v[17:18]
	s_lshl_b64 s[2:3], s[6:7], 3
	s_delay_alu instid0(SALU_CYCLE_1) | instskip(SKIP_1) | instid1(VALU_DEP_1)
	s_add_u32 s1, s10, s2
	s_addc_u32 s2, s11, s3
	v_add_co_u32 v20, vcc_lo, s1, v20
	s_delay_alu instid0(VALU_DEP_2)
	v_add_co_ci_u32_e32 v21, vcc_lo, s2, v21, vcc_lo
	global_store_b64 v[20:21], v[3:4], off
.LBB343_131:
	s_or_b32 exec_lo, exec_lo, s0
	s_branch .LBB343_87
.LBB343_132:
	v_and_b32_e32 v18, 1, v36
	s_mov_b32 s0, exec_lo
	s_delay_alu instid0(VALU_DEP_1)
	v_cmpx_eq_u32_e32 1, v18
	s_cbranch_execz .LBB343_134
; %bb.133:
	v_sub_nc_u32_e32 v18, v29, v15
	s_delay_alu instid0(VALU_DEP_1)
	v_lshlrev_b32_e32 v18, 3, v18
	ds_store_b64 v18, v[9:10]
.LBB343_134:
	s_or_b32 exec_lo, exec_lo, s0
	v_and_b32_e32 v9, 1, v34
	s_mov_b32 s0, exec_lo
	s_delay_alu instid0(VALU_DEP_1)
	v_cmpx_eq_u32_e32 1, v9
	s_cbranch_execz .LBB343_136
; %bb.135:
	v_sub_nc_u32_e32 v9, v27, v15
	s_delay_alu instid0(VALU_DEP_1)
	v_lshlrev_b32_e32 v9, 3, v9
	ds_store_b64 v9, v[11:12]
.LBB343_136:
	s_or_b32 exec_lo, exec_lo, s0
	v_and_b32_e32 v9, 1, v33
	s_mov_b32 s0, exec_lo
	s_delay_alu instid0(VALU_DEP_1)
	v_cmpx_eq_u32_e32 1, v9
	s_cbranch_execz .LBB343_138
; %bb.137:
	v_sub_nc_u32_e32 v9, v25, v15
	s_delay_alu instid0(VALU_DEP_1)
	v_lshlrev_b32_e32 v9, 3, v9
	ds_store_b64 v9, v[5:6]
.LBB343_138:
	s_or_b32 exec_lo, exec_lo, s0
	v_and_b32_e32 v5, 1, v35
	s_mov_b32 s0, exec_lo
	s_delay_alu instid0(VALU_DEP_1)
	v_cmpx_eq_u32_e32 1, v5
	s_cbranch_execz .LBB343_140
; %bb.139:
	v_sub_nc_u32_e32 v5, v23, v15
	s_delay_alu instid0(VALU_DEP_1)
	v_lshlrev_b32_e32 v5, 3, v5
	ds_store_b64 v5, v[7:8]
.LBB343_140:
	s_or_b32 exec_lo, exec_lo, s0
	v_and_b32_e32 v5, 1, v31
	s_mov_b32 s0, exec_lo
	s_delay_alu instid0(VALU_DEP_1)
	v_cmpx_eq_u32_e32 1, v5
	s_cbranch_execz .LBB343_142
; %bb.141:
	v_sub_nc_u32_e32 v5, v19, v15
	s_delay_alu instid0(VALU_DEP_1)
	v_lshlrev_b32_e32 v5, 3, v5
	ds_store_b64 v5, v[1:2]
.LBB343_142:
	s_or_b32 exec_lo, exec_lo, s0
	v_and_b32_e32 v1, 1, v32
	s_mov_b32 s0, exec_lo
	s_delay_alu instid0(VALU_DEP_1)
	v_cmpx_eq_u32_e32 1, v1
	s_cbranch_execz .LBB343_144
; %bb.143:
	v_sub_nc_u32_e32 v1, v17, v15
	s_delay_alu instid0(VALU_DEP_1)
	v_lshlrev_b32_e32 v1, 3, v1
	ds_store_b64 v1, v[3:4]
.LBB343_144:
	s_or_b32 exec_lo, exec_lo, s0
	v_mov_b32_e32 v3, 0
	s_mov_b32 s1, exec_lo
	s_waitcnt lgkmcnt(0)
	s_waitcnt_vscnt null, 0x0
	s_barrier
	buffer_gl0_inv
	v_mov_b32_e32 v1, v3
	s_delay_alu instid0(VALU_DEP_1)
	v_cmpx_gt_u64_e64 v[13:14], v[0:1]
	s_cbranch_execz .LBB343_147
; %bb.145:
	v_lshlrev_b64 v[4:5], 3, v[15:16]
	s_lshl_b64 s[2:3], s[6:7], 3
	v_or_b32_e32 v2, 0x80, v0
	s_delay_alu instid0(VALU_DEP_2) | instskip(NEXT) | instid1(VALU_DEP_3)
	v_add_co_u32 v4, vcc_lo, s10, v4
	v_add_co_ci_u32_e32 v5, vcc_lo, s11, v5, vcc_lo
	s_delay_alu instid0(VALU_DEP_2) | instskip(NEXT) | instid1(VALU_DEP_2)
	v_add_co_u32 v6, vcc_lo, v4, s2
	v_add_co_ci_u32_e32 v7, vcc_lo, s3, v5, vcc_lo
	v_dual_mov_b32 v5, v1 :: v_dual_mov_b32 v4, v0
	s_mov_b32 s2, 0
	.p2align	6
.LBB343_146:                            ; =>This Inner Loop Header: Depth=1
	s_delay_alu instid0(VALU_DEP_1) | instskip(NEXT) | instid1(VALU_DEP_2)
	v_lshlrev_b32_e32 v1, 3, v4
	v_lshlrev_b64 v[10:11], 3, v[4:5]
	v_dual_mov_b32 v5, v3 :: v_dual_mov_b32 v4, v2
	v_cmp_le_u64_e32 vcc_lo, v[13:14], v[2:3]
	v_add_nc_u32_e32 v2, 0x80, v2
	ds_load_b64 v[8:9], v1
	v_add_co_u32 v10, s0, v6, v10
	s_delay_alu instid0(VALU_DEP_1)
	v_add_co_ci_u32_e64 v11, s0, v7, v11, s0
	s_or_b32 s2, vcc_lo, s2
	s_waitcnt lgkmcnt(0)
	global_store_b64 v[10:11], v[8:9], off
	s_and_not1_b32 exec_lo, exec_lo, s2
	s_cbranch_execnz .LBB343_146
.LBB343_147:
	s_or_b32 exec_lo, exec_lo, s1
	v_cmp_eq_u32_e32 vcc_lo, 0, v0
	s_and_b32 s0, vcc_lo, s14
	s_delay_alu instid0(SALU_CYCLE_1)
	s_and_saveexec_b32 s1, s0
	s_cbranch_execz .LBB343_88
.LBB343_148:
	v_add_co_u32 v0, vcc_lo, v15, v13
	v_add_co_ci_u32_e32 v1, vcc_lo, v16, v14, vcc_lo
	v_mov_b32_e32 v2, 0
	s_delay_alu instid0(VALU_DEP_3) | instskip(NEXT) | instid1(VALU_DEP_3)
	v_add_co_u32 v0, vcc_lo, v0, s6
	v_add_co_ci_u32_e32 v1, vcc_lo, s7, v1, vcc_lo
	global_store_b64 v2, v[0:1], s[4:5]
	s_nop 0
	s_sendmsg sendmsg(MSG_DEALLOC_VGPRS)
	s_endpgm
	.section	.rodata,"a",@progbits
	.p2align	6, 0x0
	.amdhsa_kernel _ZN7rocprim17ROCPRIM_400000_NS6detail17trampoline_kernelINS0_14default_configENS1_25partition_config_selectorILNS1_17partition_subalgoE5ElNS0_10empty_typeEbEEZZNS1_14partition_implILS5_5ELb0ES3_mN6hipcub16HIPCUB_304000_NS21CountingInputIteratorIllEEPS6_NSA_22TransformInputIteratorIb7NonZeroIdEPdlEENS0_5tupleIJPlS6_EEENSJ_IJSD_SD_EEES6_SK_JS6_EEE10hipError_tPvRmT3_T4_T5_T6_T7_T9_mT8_P12ihipStream_tbDpT10_ENKUlT_T0_E_clISt17integral_constantIbLb1EES15_IbLb0EEEEDaS11_S12_EUlS11_E_NS1_11comp_targetILNS1_3genE9ELNS1_11target_archE1100ELNS1_3gpuE3ELNS1_3repE0EEENS1_30default_config_static_selectorELNS0_4arch9wavefront6targetE0EEEvT1_
		.amdhsa_group_segment_fixed_size 6160
		.amdhsa_private_segment_fixed_size 0
		.amdhsa_kernarg_size 120
		.amdhsa_user_sgpr_count 15
		.amdhsa_user_sgpr_dispatch_ptr 0
		.amdhsa_user_sgpr_queue_ptr 0
		.amdhsa_user_sgpr_kernarg_segment_ptr 1
		.amdhsa_user_sgpr_dispatch_id 0
		.amdhsa_user_sgpr_private_segment_size 0
		.amdhsa_wavefront_size32 1
		.amdhsa_uses_dynamic_stack 0
		.amdhsa_enable_private_segment 0
		.amdhsa_system_sgpr_workgroup_id_x 1
		.amdhsa_system_sgpr_workgroup_id_y 0
		.amdhsa_system_sgpr_workgroup_id_z 0
		.amdhsa_system_sgpr_workgroup_info 0
		.amdhsa_system_vgpr_workitem_id 0
		.amdhsa_next_free_vgpr 57
		.amdhsa_next_free_sgpr 21
		.amdhsa_reserve_vcc 1
		.amdhsa_float_round_mode_32 0
		.amdhsa_float_round_mode_16_64 0
		.amdhsa_float_denorm_mode_32 3
		.amdhsa_float_denorm_mode_16_64 3
		.amdhsa_dx10_clamp 1
		.amdhsa_ieee_mode 1
		.amdhsa_fp16_overflow 0
		.amdhsa_workgroup_processor_mode 1
		.amdhsa_memory_ordered 1
		.amdhsa_forward_progress 0
		.amdhsa_shared_vgpr_count 0
		.amdhsa_exception_fp_ieee_invalid_op 0
		.amdhsa_exception_fp_denorm_src 0
		.amdhsa_exception_fp_ieee_div_zero 0
		.amdhsa_exception_fp_ieee_overflow 0
		.amdhsa_exception_fp_ieee_underflow 0
		.amdhsa_exception_fp_ieee_inexact 0
		.amdhsa_exception_int_div_zero 0
	.end_amdhsa_kernel
	.section	.text._ZN7rocprim17ROCPRIM_400000_NS6detail17trampoline_kernelINS0_14default_configENS1_25partition_config_selectorILNS1_17partition_subalgoE5ElNS0_10empty_typeEbEEZZNS1_14partition_implILS5_5ELb0ES3_mN6hipcub16HIPCUB_304000_NS21CountingInputIteratorIllEEPS6_NSA_22TransformInputIteratorIb7NonZeroIdEPdlEENS0_5tupleIJPlS6_EEENSJ_IJSD_SD_EEES6_SK_JS6_EEE10hipError_tPvRmT3_T4_T5_T6_T7_T9_mT8_P12ihipStream_tbDpT10_ENKUlT_T0_E_clISt17integral_constantIbLb1EES15_IbLb0EEEEDaS11_S12_EUlS11_E_NS1_11comp_targetILNS1_3genE9ELNS1_11target_archE1100ELNS1_3gpuE3ELNS1_3repE0EEENS1_30default_config_static_selectorELNS0_4arch9wavefront6targetE0EEEvT1_,"axG",@progbits,_ZN7rocprim17ROCPRIM_400000_NS6detail17trampoline_kernelINS0_14default_configENS1_25partition_config_selectorILNS1_17partition_subalgoE5ElNS0_10empty_typeEbEEZZNS1_14partition_implILS5_5ELb0ES3_mN6hipcub16HIPCUB_304000_NS21CountingInputIteratorIllEEPS6_NSA_22TransformInputIteratorIb7NonZeroIdEPdlEENS0_5tupleIJPlS6_EEENSJ_IJSD_SD_EEES6_SK_JS6_EEE10hipError_tPvRmT3_T4_T5_T6_T7_T9_mT8_P12ihipStream_tbDpT10_ENKUlT_T0_E_clISt17integral_constantIbLb1EES15_IbLb0EEEEDaS11_S12_EUlS11_E_NS1_11comp_targetILNS1_3genE9ELNS1_11target_archE1100ELNS1_3gpuE3ELNS1_3repE0EEENS1_30default_config_static_selectorELNS0_4arch9wavefront6targetE0EEEvT1_,comdat
.Lfunc_end343:
	.size	_ZN7rocprim17ROCPRIM_400000_NS6detail17trampoline_kernelINS0_14default_configENS1_25partition_config_selectorILNS1_17partition_subalgoE5ElNS0_10empty_typeEbEEZZNS1_14partition_implILS5_5ELb0ES3_mN6hipcub16HIPCUB_304000_NS21CountingInputIteratorIllEEPS6_NSA_22TransformInputIteratorIb7NonZeroIdEPdlEENS0_5tupleIJPlS6_EEENSJ_IJSD_SD_EEES6_SK_JS6_EEE10hipError_tPvRmT3_T4_T5_T6_T7_T9_mT8_P12ihipStream_tbDpT10_ENKUlT_T0_E_clISt17integral_constantIbLb1EES15_IbLb0EEEEDaS11_S12_EUlS11_E_NS1_11comp_targetILNS1_3genE9ELNS1_11target_archE1100ELNS1_3gpuE3ELNS1_3repE0EEENS1_30default_config_static_selectorELNS0_4arch9wavefront6targetE0EEEvT1_, .Lfunc_end343-_ZN7rocprim17ROCPRIM_400000_NS6detail17trampoline_kernelINS0_14default_configENS1_25partition_config_selectorILNS1_17partition_subalgoE5ElNS0_10empty_typeEbEEZZNS1_14partition_implILS5_5ELb0ES3_mN6hipcub16HIPCUB_304000_NS21CountingInputIteratorIllEEPS6_NSA_22TransformInputIteratorIb7NonZeroIdEPdlEENS0_5tupleIJPlS6_EEENSJ_IJSD_SD_EEES6_SK_JS6_EEE10hipError_tPvRmT3_T4_T5_T6_T7_T9_mT8_P12ihipStream_tbDpT10_ENKUlT_T0_E_clISt17integral_constantIbLb1EES15_IbLb0EEEEDaS11_S12_EUlS11_E_NS1_11comp_targetILNS1_3genE9ELNS1_11target_archE1100ELNS1_3gpuE3ELNS1_3repE0EEENS1_30default_config_static_selectorELNS0_4arch9wavefront6targetE0EEEvT1_
                                        ; -- End function
	.section	.AMDGPU.csdata,"",@progbits
; Kernel info:
; codeLenInByte = 6524
; NumSgprs: 23
; NumVgprs: 57
; ScratchSize: 0
; MemoryBound: 0
; FloatMode: 240
; IeeeMode: 1
; LDSByteSize: 6160 bytes/workgroup (compile time only)
; SGPRBlocks: 2
; VGPRBlocks: 7
; NumSGPRsForWavesPerEU: 23
; NumVGPRsForWavesPerEU: 57
; Occupancy: 16
; WaveLimiterHint : 1
; COMPUTE_PGM_RSRC2:SCRATCH_EN: 0
; COMPUTE_PGM_RSRC2:USER_SGPR: 15
; COMPUTE_PGM_RSRC2:TRAP_HANDLER: 0
; COMPUTE_PGM_RSRC2:TGID_X_EN: 1
; COMPUTE_PGM_RSRC2:TGID_Y_EN: 0
; COMPUTE_PGM_RSRC2:TGID_Z_EN: 0
; COMPUTE_PGM_RSRC2:TIDIG_COMP_CNT: 0
	.section	.text._ZN7rocprim17ROCPRIM_400000_NS6detail17trampoline_kernelINS0_14default_configENS1_25partition_config_selectorILNS1_17partition_subalgoE5ElNS0_10empty_typeEbEEZZNS1_14partition_implILS5_5ELb0ES3_mN6hipcub16HIPCUB_304000_NS21CountingInputIteratorIllEEPS6_NSA_22TransformInputIteratorIb7NonZeroIdEPdlEENS0_5tupleIJPlS6_EEENSJ_IJSD_SD_EEES6_SK_JS6_EEE10hipError_tPvRmT3_T4_T5_T6_T7_T9_mT8_P12ihipStream_tbDpT10_ENKUlT_T0_E_clISt17integral_constantIbLb1EES15_IbLb0EEEEDaS11_S12_EUlS11_E_NS1_11comp_targetILNS1_3genE8ELNS1_11target_archE1030ELNS1_3gpuE2ELNS1_3repE0EEENS1_30default_config_static_selectorELNS0_4arch9wavefront6targetE0EEEvT1_,"axG",@progbits,_ZN7rocprim17ROCPRIM_400000_NS6detail17trampoline_kernelINS0_14default_configENS1_25partition_config_selectorILNS1_17partition_subalgoE5ElNS0_10empty_typeEbEEZZNS1_14partition_implILS5_5ELb0ES3_mN6hipcub16HIPCUB_304000_NS21CountingInputIteratorIllEEPS6_NSA_22TransformInputIteratorIb7NonZeroIdEPdlEENS0_5tupleIJPlS6_EEENSJ_IJSD_SD_EEES6_SK_JS6_EEE10hipError_tPvRmT3_T4_T5_T6_T7_T9_mT8_P12ihipStream_tbDpT10_ENKUlT_T0_E_clISt17integral_constantIbLb1EES15_IbLb0EEEEDaS11_S12_EUlS11_E_NS1_11comp_targetILNS1_3genE8ELNS1_11target_archE1030ELNS1_3gpuE2ELNS1_3repE0EEENS1_30default_config_static_selectorELNS0_4arch9wavefront6targetE0EEEvT1_,comdat
	.protected	_ZN7rocprim17ROCPRIM_400000_NS6detail17trampoline_kernelINS0_14default_configENS1_25partition_config_selectorILNS1_17partition_subalgoE5ElNS0_10empty_typeEbEEZZNS1_14partition_implILS5_5ELb0ES3_mN6hipcub16HIPCUB_304000_NS21CountingInputIteratorIllEEPS6_NSA_22TransformInputIteratorIb7NonZeroIdEPdlEENS0_5tupleIJPlS6_EEENSJ_IJSD_SD_EEES6_SK_JS6_EEE10hipError_tPvRmT3_T4_T5_T6_T7_T9_mT8_P12ihipStream_tbDpT10_ENKUlT_T0_E_clISt17integral_constantIbLb1EES15_IbLb0EEEEDaS11_S12_EUlS11_E_NS1_11comp_targetILNS1_3genE8ELNS1_11target_archE1030ELNS1_3gpuE2ELNS1_3repE0EEENS1_30default_config_static_selectorELNS0_4arch9wavefront6targetE0EEEvT1_ ; -- Begin function _ZN7rocprim17ROCPRIM_400000_NS6detail17trampoline_kernelINS0_14default_configENS1_25partition_config_selectorILNS1_17partition_subalgoE5ElNS0_10empty_typeEbEEZZNS1_14partition_implILS5_5ELb0ES3_mN6hipcub16HIPCUB_304000_NS21CountingInputIteratorIllEEPS6_NSA_22TransformInputIteratorIb7NonZeroIdEPdlEENS0_5tupleIJPlS6_EEENSJ_IJSD_SD_EEES6_SK_JS6_EEE10hipError_tPvRmT3_T4_T5_T6_T7_T9_mT8_P12ihipStream_tbDpT10_ENKUlT_T0_E_clISt17integral_constantIbLb1EES15_IbLb0EEEEDaS11_S12_EUlS11_E_NS1_11comp_targetILNS1_3genE8ELNS1_11target_archE1030ELNS1_3gpuE2ELNS1_3repE0EEENS1_30default_config_static_selectorELNS0_4arch9wavefront6targetE0EEEvT1_
	.globl	_ZN7rocprim17ROCPRIM_400000_NS6detail17trampoline_kernelINS0_14default_configENS1_25partition_config_selectorILNS1_17partition_subalgoE5ElNS0_10empty_typeEbEEZZNS1_14partition_implILS5_5ELb0ES3_mN6hipcub16HIPCUB_304000_NS21CountingInputIteratorIllEEPS6_NSA_22TransformInputIteratorIb7NonZeroIdEPdlEENS0_5tupleIJPlS6_EEENSJ_IJSD_SD_EEES6_SK_JS6_EEE10hipError_tPvRmT3_T4_T5_T6_T7_T9_mT8_P12ihipStream_tbDpT10_ENKUlT_T0_E_clISt17integral_constantIbLb1EES15_IbLb0EEEEDaS11_S12_EUlS11_E_NS1_11comp_targetILNS1_3genE8ELNS1_11target_archE1030ELNS1_3gpuE2ELNS1_3repE0EEENS1_30default_config_static_selectorELNS0_4arch9wavefront6targetE0EEEvT1_
	.p2align	8
	.type	_ZN7rocprim17ROCPRIM_400000_NS6detail17trampoline_kernelINS0_14default_configENS1_25partition_config_selectorILNS1_17partition_subalgoE5ElNS0_10empty_typeEbEEZZNS1_14partition_implILS5_5ELb0ES3_mN6hipcub16HIPCUB_304000_NS21CountingInputIteratorIllEEPS6_NSA_22TransformInputIteratorIb7NonZeroIdEPdlEENS0_5tupleIJPlS6_EEENSJ_IJSD_SD_EEES6_SK_JS6_EEE10hipError_tPvRmT3_T4_T5_T6_T7_T9_mT8_P12ihipStream_tbDpT10_ENKUlT_T0_E_clISt17integral_constantIbLb1EES15_IbLb0EEEEDaS11_S12_EUlS11_E_NS1_11comp_targetILNS1_3genE8ELNS1_11target_archE1030ELNS1_3gpuE2ELNS1_3repE0EEENS1_30default_config_static_selectorELNS0_4arch9wavefront6targetE0EEEvT1_,@function
_ZN7rocprim17ROCPRIM_400000_NS6detail17trampoline_kernelINS0_14default_configENS1_25partition_config_selectorILNS1_17partition_subalgoE5ElNS0_10empty_typeEbEEZZNS1_14partition_implILS5_5ELb0ES3_mN6hipcub16HIPCUB_304000_NS21CountingInputIteratorIllEEPS6_NSA_22TransformInputIteratorIb7NonZeroIdEPdlEENS0_5tupleIJPlS6_EEENSJ_IJSD_SD_EEES6_SK_JS6_EEE10hipError_tPvRmT3_T4_T5_T6_T7_T9_mT8_P12ihipStream_tbDpT10_ENKUlT_T0_E_clISt17integral_constantIbLb1EES15_IbLb0EEEEDaS11_S12_EUlS11_E_NS1_11comp_targetILNS1_3genE8ELNS1_11target_archE1030ELNS1_3gpuE2ELNS1_3repE0EEENS1_30default_config_static_selectorELNS0_4arch9wavefront6targetE0EEEvT1_: ; @_ZN7rocprim17ROCPRIM_400000_NS6detail17trampoline_kernelINS0_14default_configENS1_25partition_config_selectorILNS1_17partition_subalgoE5ElNS0_10empty_typeEbEEZZNS1_14partition_implILS5_5ELb0ES3_mN6hipcub16HIPCUB_304000_NS21CountingInputIteratorIllEEPS6_NSA_22TransformInputIteratorIb7NonZeroIdEPdlEENS0_5tupleIJPlS6_EEENSJ_IJSD_SD_EEES6_SK_JS6_EEE10hipError_tPvRmT3_T4_T5_T6_T7_T9_mT8_P12ihipStream_tbDpT10_ENKUlT_T0_E_clISt17integral_constantIbLb1EES15_IbLb0EEEEDaS11_S12_EUlS11_E_NS1_11comp_targetILNS1_3genE8ELNS1_11target_archE1030ELNS1_3gpuE2ELNS1_3repE0EEENS1_30default_config_static_selectorELNS0_4arch9wavefront6targetE0EEEvT1_
; %bb.0:
	.section	.rodata,"a",@progbits
	.p2align	6, 0x0
	.amdhsa_kernel _ZN7rocprim17ROCPRIM_400000_NS6detail17trampoline_kernelINS0_14default_configENS1_25partition_config_selectorILNS1_17partition_subalgoE5ElNS0_10empty_typeEbEEZZNS1_14partition_implILS5_5ELb0ES3_mN6hipcub16HIPCUB_304000_NS21CountingInputIteratorIllEEPS6_NSA_22TransformInputIteratorIb7NonZeroIdEPdlEENS0_5tupleIJPlS6_EEENSJ_IJSD_SD_EEES6_SK_JS6_EEE10hipError_tPvRmT3_T4_T5_T6_T7_T9_mT8_P12ihipStream_tbDpT10_ENKUlT_T0_E_clISt17integral_constantIbLb1EES15_IbLb0EEEEDaS11_S12_EUlS11_E_NS1_11comp_targetILNS1_3genE8ELNS1_11target_archE1030ELNS1_3gpuE2ELNS1_3repE0EEENS1_30default_config_static_selectorELNS0_4arch9wavefront6targetE0EEEvT1_
		.amdhsa_group_segment_fixed_size 0
		.amdhsa_private_segment_fixed_size 0
		.amdhsa_kernarg_size 120
		.amdhsa_user_sgpr_count 15
		.amdhsa_user_sgpr_dispatch_ptr 0
		.amdhsa_user_sgpr_queue_ptr 0
		.amdhsa_user_sgpr_kernarg_segment_ptr 1
		.amdhsa_user_sgpr_dispatch_id 0
		.amdhsa_user_sgpr_private_segment_size 0
		.amdhsa_wavefront_size32 1
		.amdhsa_uses_dynamic_stack 0
		.amdhsa_enable_private_segment 0
		.amdhsa_system_sgpr_workgroup_id_x 1
		.amdhsa_system_sgpr_workgroup_id_y 0
		.amdhsa_system_sgpr_workgroup_id_z 0
		.amdhsa_system_sgpr_workgroup_info 0
		.amdhsa_system_vgpr_workitem_id 0
		.amdhsa_next_free_vgpr 1
		.amdhsa_next_free_sgpr 1
		.amdhsa_reserve_vcc 0
		.amdhsa_float_round_mode_32 0
		.amdhsa_float_round_mode_16_64 0
		.amdhsa_float_denorm_mode_32 3
		.amdhsa_float_denorm_mode_16_64 3
		.amdhsa_dx10_clamp 1
		.amdhsa_ieee_mode 1
		.amdhsa_fp16_overflow 0
		.amdhsa_workgroup_processor_mode 1
		.amdhsa_memory_ordered 1
		.amdhsa_forward_progress 0
		.amdhsa_shared_vgpr_count 0
		.amdhsa_exception_fp_ieee_invalid_op 0
		.amdhsa_exception_fp_denorm_src 0
		.amdhsa_exception_fp_ieee_div_zero 0
		.amdhsa_exception_fp_ieee_overflow 0
		.amdhsa_exception_fp_ieee_underflow 0
		.amdhsa_exception_fp_ieee_inexact 0
		.amdhsa_exception_int_div_zero 0
	.end_amdhsa_kernel
	.section	.text._ZN7rocprim17ROCPRIM_400000_NS6detail17trampoline_kernelINS0_14default_configENS1_25partition_config_selectorILNS1_17partition_subalgoE5ElNS0_10empty_typeEbEEZZNS1_14partition_implILS5_5ELb0ES3_mN6hipcub16HIPCUB_304000_NS21CountingInputIteratorIllEEPS6_NSA_22TransformInputIteratorIb7NonZeroIdEPdlEENS0_5tupleIJPlS6_EEENSJ_IJSD_SD_EEES6_SK_JS6_EEE10hipError_tPvRmT3_T4_T5_T6_T7_T9_mT8_P12ihipStream_tbDpT10_ENKUlT_T0_E_clISt17integral_constantIbLb1EES15_IbLb0EEEEDaS11_S12_EUlS11_E_NS1_11comp_targetILNS1_3genE8ELNS1_11target_archE1030ELNS1_3gpuE2ELNS1_3repE0EEENS1_30default_config_static_selectorELNS0_4arch9wavefront6targetE0EEEvT1_,"axG",@progbits,_ZN7rocprim17ROCPRIM_400000_NS6detail17trampoline_kernelINS0_14default_configENS1_25partition_config_selectorILNS1_17partition_subalgoE5ElNS0_10empty_typeEbEEZZNS1_14partition_implILS5_5ELb0ES3_mN6hipcub16HIPCUB_304000_NS21CountingInputIteratorIllEEPS6_NSA_22TransformInputIteratorIb7NonZeroIdEPdlEENS0_5tupleIJPlS6_EEENSJ_IJSD_SD_EEES6_SK_JS6_EEE10hipError_tPvRmT3_T4_T5_T6_T7_T9_mT8_P12ihipStream_tbDpT10_ENKUlT_T0_E_clISt17integral_constantIbLb1EES15_IbLb0EEEEDaS11_S12_EUlS11_E_NS1_11comp_targetILNS1_3genE8ELNS1_11target_archE1030ELNS1_3gpuE2ELNS1_3repE0EEENS1_30default_config_static_selectorELNS0_4arch9wavefront6targetE0EEEvT1_,comdat
.Lfunc_end344:
	.size	_ZN7rocprim17ROCPRIM_400000_NS6detail17trampoline_kernelINS0_14default_configENS1_25partition_config_selectorILNS1_17partition_subalgoE5ElNS0_10empty_typeEbEEZZNS1_14partition_implILS5_5ELb0ES3_mN6hipcub16HIPCUB_304000_NS21CountingInputIteratorIllEEPS6_NSA_22TransformInputIteratorIb7NonZeroIdEPdlEENS0_5tupleIJPlS6_EEENSJ_IJSD_SD_EEES6_SK_JS6_EEE10hipError_tPvRmT3_T4_T5_T6_T7_T9_mT8_P12ihipStream_tbDpT10_ENKUlT_T0_E_clISt17integral_constantIbLb1EES15_IbLb0EEEEDaS11_S12_EUlS11_E_NS1_11comp_targetILNS1_3genE8ELNS1_11target_archE1030ELNS1_3gpuE2ELNS1_3repE0EEENS1_30default_config_static_selectorELNS0_4arch9wavefront6targetE0EEEvT1_, .Lfunc_end344-_ZN7rocprim17ROCPRIM_400000_NS6detail17trampoline_kernelINS0_14default_configENS1_25partition_config_selectorILNS1_17partition_subalgoE5ElNS0_10empty_typeEbEEZZNS1_14partition_implILS5_5ELb0ES3_mN6hipcub16HIPCUB_304000_NS21CountingInputIteratorIllEEPS6_NSA_22TransformInputIteratorIb7NonZeroIdEPdlEENS0_5tupleIJPlS6_EEENSJ_IJSD_SD_EEES6_SK_JS6_EEE10hipError_tPvRmT3_T4_T5_T6_T7_T9_mT8_P12ihipStream_tbDpT10_ENKUlT_T0_E_clISt17integral_constantIbLb1EES15_IbLb0EEEEDaS11_S12_EUlS11_E_NS1_11comp_targetILNS1_3genE8ELNS1_11target_archE1030ELNS1_3gpuE2ELNS1_3repE0EEENS1_30default_config_static_selectorELNS0_4arch9wavefront6targetE0EEEvT1_
                                        ; -- End function
	.section	.AMDGPU.csdata,"",@progbits
; Kernel info:
; codeLenInByte = 0
; NumSgprs: 0
; NumVgprs: 0
; ScratchSize: 0
; MemoryBound: 0
; FloatMode: 240
; IeeeMode: 1
; LDSByteSize: 0 bytes/workgroup (compile time only)
; SGPRBlocks: 0
; VGPRBlocks: 0
; NumSGPRsForWavesPerEU: 1
; NumVGPRsForWavesPerEU: 1
; Occupancy: 16
; WaveLimiterHint : 0
; COMPUTE_PGM_RSRC2:SCRATCH_EN: 0
; COMPUTE_PGM_RSRC2:USER_SGPR: 15
; COMPUTE_PGM_RSRC2:TRAP_HANDLER: 0
; COMPUTE_PGM_RSRC2:TGID_X_EN: 1
; COMPUTE_PGM_RSRC2:TGID_Y_EN: 0
; COMPUTE_PGM_RSRC2:TGID_Z_EN: 0
; COMPUTE_PGM_RSRC2:TIDIG_COMP_CNT: 0
	.section	.text._ZN7rocprim17ROCPRIM_400000_NS6detail17trampoline_kernelINS0_14default_configENS1_25partition_config_selectorILNS1_17partition_subalgoE5ElNS0_10empty_typeEbEEZZNS1_14partition_implILS5_5ELb0ES3_mN6hipcub16HIPCUB_304000_NS21CountingInputIteratorIllEEPS6_NSA_22TransformInputIteratorIb7NonZeroIdEPdlEENS0_5tupleIJPlS6_EEENSJ_IJSD_SD_EEES6_SK_JS6_EEE10hipError_tPvRmT3_T4_T5_T6_T7_T9_mT8_P12ihipStream_tbDpT10_ENKUlT_T0_E_clISt17integral_constantIbLb0EES15_IbLb1EEEEDaS11_S12_EUlS11_E_NS1_11comp_targetILNS1_3genE0ELNS1_11target_archE4294967295ELNS1_3gpuE0ELNS1_3repE0EEENS1_30default_config_static_selectorELNS0_4arch9wavefront6targetE0EEEvT1_,"axG",@progbits,_ZN7rocprim17ROCPRIM_400000_NS6detail17trampoline_kernelINS0_14default_configENS1_25partition_config_selectorILNS1_17partition_subalgoE5ElNS0_10empty_typeEbEEZZNS1_14partition_implILS5_5ELb0ES3_mN6hipcub16HIPCUB_304000_NS21CountingInputIteratorIllEEPS6_NSA_22TransformInputIteratorIb7NonZeroIdEPdlEENS0_5tupleIJPlS6_EEENSJ_IJSD_SD_EEES6_SK_JS6_EEE10hipError_tPvRmT3_T4_T5_T6_T7_T9_mT8_P12ihipStream_tbDpT10_ENKUlT_T0_E_clISt17integral_constantIbLb0EES15_IbLb1EEEEDaS11_S12_EUlS11_E_NS1_11comp_targetILNS1_3genE0ELNS1_11target_archE4294967295ELNS1_3gpuE0ELNS1_3repE0EEENS1_30default_config_static_selectorELNS0_4arch9wavefront6targetE0EEEvT1_,comdat
	.protected	_ZN7rocprim17ROCPRIM_400000_NS6detail17trampoline_kernelINS0_14default_configENS1_25partition_config_selectorILNS1_17partition_subalgoE5ElNS0_10empty_typeEbEEZZNS1_14partition_implILS5_5ELb0ES3_mN6hipcub16HIPCUB_304000_NS21CountingInputIteratorIllEEPS6_NSA_22TransformInputIteratorIb7NonZeroIdEPdlEENS0_5tupleIJPlS6_EEENSJ_IJSD_SD_EEES6_SK_JS6_EEE10hipError_tPvRmT3_T4_T5_T6_T7_T9_mT8_P12ihipStream_tbDpT10_ENKUlT_T0_E_clISt17integral_constantIbLb0EES15_IbLb1EEEEDaS11_S12_EUlS11_E_NS1_11comp_targetILNS1_3genE0ELNS1_11target_archE4294967295ELNS1_3gpuE0ELNS1_3repE0EEENS1_30default_config_static_selectorELNS0_4arch9wavefront6targetE0EEEvT1_ ; -- Begin function _ZN7rocprim17ROCPRIM_400000_NS6detail17trampoline_kernelINS0_14default_configENS1_25partition_config_selectorILNS1_17partition_subalgoE5ElNS0_10empty_typeEbEEZZNS1_14partition_implILS5_5ELb0ES3_mN6hipcub16HIPCUB_304000_NS21CountingInputIteratorIllEEPS6_NSA_22TransformInputIteratorIb7NonZeroIdEPdlEENS0_5tupleIJPlS6_EEENSJ_IJSD_SD_EEES6_SK_JS6_EEE10hipError_tPvRmT3_T4_T5_T6_T7_T9_mT8_P12ihipStream_tbDpT10_ENKUlT_T0_E_clISt17integral_constantIbLb0EES15_IbLb1EEEEDaS11_S12_EUlS11_E_NS1_11comp_targetILNS1_3genE0ELNS1_11target_archE4294967295ELNS1_3gpuE0ELNS1_3repE0EEENS1_30default_config_static_selectorELNS0_4arch9wavefront6targetE0EEEvT1_
	.globl	_ZN7rocprim17ROCPRIM_400000_NS6detail17trampoline_kernelINS0_14default_configENS1_25partition_config_selectorILNS1_17partition_subalgoE5ElNS0_10empty_typeEbEEZZNS1_14partition_implILS5_5ELb0ES3_mN6hipcub16HIPCUB_304000_NS21CountingInputIteratorIllEEPS6_NSA_22TransformInputIteratorIb7NonZeroIdEPdlEENS0_5tupleIJPlS6_EEENSJ_IJSD_SD_EEES6_SK_JS6_EEE10hipError_tPvRmT3_T4_T5_T6_T7_T9_mT8_P12ihipStream_tbDpT10_ENKUlT_T0_E_clISt17integral_constantIbLb0EES15_IbLb1EEEEDaS11_S12_EUlS11_E_NS1_11comp_targetILNS1_3genE0ELNS1_11target_archE4294967295ELNS1_3gpuE0ELNS1_3repE0EEENS1_30default_config_static_selectorELNS0_4arch9wavefront6targetE0EEEvT1_
	.p2align	8
	.type	_ZN7rocprim17ROCPRIM_400000_NS6detail17trampoline_kernelINS0_14default_configENS1_25partition_config_selectorILNS1_17partition_subalgoE5ElNS0_10empty_typeEbEEZZNS1_14partition_implILS5_5ELb0ES3_mN6hipcub16HIPCUB_304000_NS21CountingInputIteratorIllEEPS6_NSA_22TransformInputIteratorIb7NonZeroIdEPdlEENS0_5tupleIJPlS6_EEENSJ_IJSD_SD_EEES6_SK_JS6_EEE10hipError_tPvRmT3_T4_T5_T6_T7_T9_mT8_P12ihipStream_tbDpT10_ENKUlT_T0_E_clISt17integral_constantIbLb0EES15_IbLb1EEEEDaS11_S12_EUlS11_E_NS1_11comp_targetILNS1_3genE0ELNS1_11target_archE4294967295ELNS1_3gpuE0ELNS1_3repE0EEENS1_30default_config_static_selectorELNS0_4arch9wavefront6targetE0EEEvT1_,@function
_ZN7rocprim17ROCPRIM_400000_NS6detail17trampoline_kernelINS0_14default_configENS1_25partition_config_selectorILNS1_17partition_subalgoE5ElNS0_10empty_typeEbEEZZNS1_14partition_implILS5_5ELb0ES3_mN6hipcub16HIPCUB_304000_NS21CountingInputIteratorIllEEPS6_NSA_22TransformInputIteratorIb7NonZeroIdEPdlEENS0_5tupleIJPlS6_EEENSJ_IJSD_SD_EEES6_SK_JS6_EEE10hipError_tPvRmT3_T4_T5_T6_T7_T9_mT8_P12ihipStream_tbDpT10_ENKUlT_T0_E_clISt17integral_constantIbLb0EES15_IbLb1EEEEDaS11_S12_EUlS11_E_NS1_11comp_targetILNS1_3genE0ELNS1_11target_archE4294967295ELNS1_3gpuE0ELNS1_3repE0EEENS1_30default_config_static_selectorELNS0_4arch9wavefront6targetE0EEEvT1_: ; @_ZN7rocprim17ROCPRIM_400000_NS6detail17trampoline_kernelINS0_14default_configENS1_25partition_config_selectorILNS1_17partition_subalgoE5ElNS0_10empty_typeEbEEZZNS1_14partition_implILS5_5ELb0ES3_mN6hipcub16HIPCUB_304000_NS21CountingInputIteratorIllEEPS6_NSA_22TransformInputIteratorIb7NonZeroIdEPdlEENS0_5tupleIJPlS6_EEENSJ_IJSD_SD_EEES6_SK_JS6_EEE10hipError_tPvRmT3_T4_T5_T6_T7_T9_mT8_P12ihipStream_tbDpT10_ENKUlT_T0_E_clISt17integral_constantIbLb0EES15_IbLb1EEEEDaS11_S12_EUlS11_E_NS1_11comp_targetILNS1_3genE0ELNS1_11target_archE4294967295ELNS1_3gpuE0ELNS1_3repE0EEENS1_30default_config_static_selectorELNS0_4arch9wavefront6targetE0EEEvT1_
; %bb.0:
	.section	.rodata,"a",@progbits
	.p2align	6, 0x0
	.amdhsa_kernel _ZN7rocprim17ROCPRIM_400000_NS6detail17trampoline_kernelINS0_14default_configENS1_25partition_config_selectorILNS1_17partition_subalgoE5ElNS0_10empty_typeEbEEZZNS1_14partition_implILS5_5ELb0ES3_mN6hipcub16HIPCUB_304000_NS21CountingInputIteratorIllEEPS6_NSA_22TransformInputIteratorIb7NonZeroIdEPdlEENS0_5tupleIJPlS6_EEENSJ_IJSD_SD_EEES6_SK_JS6_EEE10hipError_tPvRmT3_T4_T5_T6_T7_T9_mT8_P12ihipStream_tbDpT10_ENKUlT_T0_E_clISt17integral_constantIbLb0EES15_IbLb1EEEEDaS11_S12_EUlS11_E_NS1_11comp_targetILNS1_3genE0ELNS1_11target_archE4294967295ELNS1_3gpuE0ELNS1_3repE0EEENS1_30default_config_static_selectorELNS0_4arch9wavefront6targetE0EEEvT1_
		.amdhsa_group_segment_fixed_size 0
		.amdhsa_private_segment_fixed_size 0
		.amdhsa_kernarg_size 136
		.amdhsa_user_sgpr_count 15
		.amdhsa_user_sgpr_dispatch_ptr 0
		.amdhsa_user_sgpr_queue_ptr 0
		.amdhsa_user_sgpr_kernarg_segment_ptr 1
		.amdhsa_user_sgpr_dispatch_id 0
		.amdhsa_user_sgpr_private_segment_size 0
		.amdhsa_wavefront_size32 1
		.amdhsa_uses_dynamic_stack 0
		.amdhsa_enable_private_segment 0
		.amdhsa_system_sgpr_workgroup_id_x 1
		.amdhsa_system_sgpr_workgroup_id_y 0
		.amdhsa_system_sgpr_workgroup_id_z 0
		.amdhsa_system_sgpr_workgroup_info 0
		.amdhsa_system_vgpr_workitem_id 0
		.amdhsa_next_free_vgpr 1
		.amdhsa_next_free_sgpr 1
		.amdhsa_reserve_vcc 0
		.amdhsa_float_round_mode_32 0
		.amdhsa_float_round_mode_16_64 0
		.amdhsa_float_denorm_mode_32 3
		.amdhsa_float_denorm_mode_16_64 3
		.amdhsa_dx10_clamp 1
		.amdhsa_ieee_mode 1
		.amdhsa_fp16_overflow 0
		.amdhsa_workgroup_processor_mode 1
		.amdhsa_memory_ordered 1
		.amdhsa_forward_progress 0
		.amdhsa_shared_vgpr_count 0
		.amdhsa_exception_fp_ieee_invalid_op 0
		.amdhsa_exception_fp_denorm_src 0
		.amdhsa_exception_fp_ieee_div_zero 0
		.amdhsa_exception_fp_ieee_overflow 0
		.amdhsa_exception_fp_ieee_underflow 0
		.amdhsa_exception_fp_ieee_inexact 0
		.amdhsa_exception_int_div_zero 0
	.end_amdhsa_kernel
	.section	.text._ZN7rocprim17ROCPRIM_400000_NS6detail17trampoline_kernelINS0_14default_configENS1_25partition_config_selectorILNS1_17partition_subalgoE5ElNS0_10empty_typeEbEEZZNS1_14partition_implILS5_5ELb0ES3_mN6hipcub16HIPCUB_304000_NS21CountingInputIteratorIllEEPS6_NSA_22TransformInputIteratorIb7NonZeroIdEPdlEENS0_5tupleIJPlS6_EEENSJ_IJSD_SD_EEES6_SK_JS6_EEE10hipError_tPvRmT3_T4_T5_T6_T7_T9_mT8_P12ihipStream_tbDpT10_ENKUlT_T0_E_clISt17integral_constantIbLb0EES15_IbLb1EEEEDaS11_S12_EUlS11_E_NS1_11comp_targetILNS1_3genE0ELNS1_11target_archE4294967295ELNS1_3gpuE0ELNS1_3repE0EEENS1_30default_config_static_selectorELNS0_4arch9wavefront6targetE0EEEvT1_,"axG",@progbits,_ZN7rocprim17ROCPRIM_400000_NS6detail17trampoline_kernelINS0_14default_configENS1_25partition_config_selectorILNS1_17partition_subalgoE5ElNS0_10empty_typeEbEEZZNS1_14partition_implILS5_5ELb0ES3_mN6hipcub16HIPCUB_304000_NS21CountingInputIteratorIllEEPS6_NSA_22TransformInputIteratorIb7NonZeroIdEPdlEENS0_5tupleIJPlS6_EEENSJ_IJSD_SD_EEES6_SK_JS6_EEE10hipError_tPvRmT3_T4_T5_T6_T7_T9_mT8_P12ihipStream_tbDpT10_ENKUlT_T0_E_clISt17integral_constantIbLb0EES15_IbLb1EEEEDaS11_S12_EUlS11_E_NS1_11comp_targetILNS1_3genE0ELNS1_11target_archE4294967295ELNS1_3gpuE0ELNS1_3repE0EEENS1_30default_config_static_selectorELNS0_4arch9wavefront6targetE0EEEvT1_,comdat
.Lfunc_end345:
	.size	_ZN7rocprim17ROCPRIM_400000_NS6detail17trampoline_kernelINS0_14default_configENS1_25partition_config_selectorILNS1_17partition_subalgoE5ElNS0_10empty_typeEbEEZZNS1_14partition_implILS5_5ELb0ES3_mN6hipcub16HIPCUB_304000_NS21CountingInputIteratorIllEEPS6_NSA_22TransformInputIteratorIb7NonZeroIdEPdlEENS0_5tupleIJPlS6_EEENSJ_IJSD_SD_EEES6_SK_JS6_EEE10hipError_tPvRmT3_T4_T5_T6_T7_T9_mT8_P12ihipStream_tbDpT10_ENKUlT_T0_E_clISt17integral_constantIbLb0EES15_IbLb1EEEEDaS11_S12_EUlS11_E_NS1_11comp_targetILNS1_3genE0ELNS1_11target_archE4294967295ELNS1_3gpuE0ELNS1_3repE0EEENS1_30default_config_static_selectorELNS0_4arch9wavefront6targetE0EEEvT1_, .Lfunc_end345-_ZN7rocprim17ROCPRIM_400000_NS6detail17trampoline_kernelINS0_14default_configENS1_25partition_config_selectorILNS1_17partition_subalgoE5ElNS0_10empty_typeEbEEZZNS1_14partition_implILS5_5ELb0ES3_mN6hipcub16HIPCUB_304000_NS21CountingInputIteratorIllEEPS6_NSA_22TransformInputIteratorIb7NonZeroIdEPdlEENS0_5tupleIJPlS6_EEENSJ_IJSD_SD_EEES6_SK_JS6_EEE10hipError_tPvRmT3_T4_T5_T6_T7_T9_mT8_P12ihipStream_tbDpT10_ENKUlT_T0_E_clISt17integral_constantIbLb0EES15_IbLb1EEEEDaS11_S12_EUlS11_E_NS1_11comp_targetILNS1_3genE0ELNS1_11target_archE4294967295ELNS1_3gpuE0ELNS1_3repE0EEENS1_30default_config_static_selectorELNS0_4arch9wavefront6targetE0EEEvT1_
                                        ; -- End function
	.section	.AMDGPU.csdata,"",@progbits
; Kernel info:
; codeLenInByte = 0
; NumSgprs: 0
; NumVgprs: 0
; ScratchSize: 0
; MemoryBound: 0
; FloatMode: 240
; IeeeMode: 1
; LDSByteSize: 0 bytes/workgroup (compile time only)
; SGPRBlocks: 0
; VGPRBlocks: 0
; NumSGPRsForWavesPerEU: 1
; NumVGPRsForWavesPerEU: 1
; Occupancy: 16
; WaveLimiterHint : 0
; COMPUTE_PGM_RSRC2:SCRATCH_EN: 0
; COMPUTE_PGM_RSRC2:USER_SGPR: 15
; COMPUTE_PGM_RSRC2:TRAP_HANDLER: 0
; COMPUTE_PGM_RSRC2:TGID_X_EN: 1
; COMPUTE_PGM_RSRC2:TGID_Y_EN: 0
; COMPUTE_PGM_RSRC2:TGID_Z_EN: 0
; COMPUTE_PGM_RSRC2:TIDIG_COMP_CNT: 0
	.section	.text._ZN7rocprim17ROCPRIM_400000_NS6detail17trampoline_kernelINS0_14default_configENS1_25partition_config_selectorILNS1_17partition_subalgoE5ElNS0_10empty_typeEbEEZZNS1_14partition_implILS5_5ELb0ES3_mN6hipcub16HIPCUB_304000_NS21CountingInputIteratorIllEEPS6_NSA_22TransformInputIteratorIb7NonZeroIdEPdlEENS0_5tupleIJPlS6_EEENSJ_IJSD_SD_EEES6_SK_JS6_EEE10hipError_tPvRmT3_T4_T5_T6_T7_T9_mT8_P12ihipStream_tbDpT10_ENKUlT_T0_E_clISt17integral_constantIbLb0EES15_IbLb1EEEEDaS11_S12_EUlS11_E_NS1_11comp_targetILNS1_3genE5ELNS1_11target_archE942ELNS1_3gpuE9ELNS1_3repE0EEENS1_30default_config_static_selectorELNS0_4arch9wavefront6targetE0EEEvT1_,"axG",@progbits,_ZN7rocprim17ROCPRIM_400000_NS6detail17trampoline_kernelINS0_14default_configENS1_25partition_config_selectorILNS1_17partition_subalgoE5ElNS0_10empty_typeEbEEZZNS1_14partition_implILS5_5ELb0ES3_mN6hipcub16HIPCUB_304000_NS21CountingInputIteratorIllEEPS6_NSA_22TransformInputIteratorIb7NonZeroIdEPdlEENS0_5tupleIJPlS6_EEENSJ_IJSD_SD_EEES6_SK_JS6_EEE10hipError_tPvRmT3_T4_T5_T6_T7_T9_mT8_P12ihipStream_tbDpT10_ENKUlT_T0_E_clISt17integral_constantIbLb0EES15_IbLb1EEEEDaS11_S12_EUlS11_E_NS1_11comp_targetILNS1_3genE5ELNS1_11target_archE942ELNS1_3gpuE9ELNS1_3repE0EEENS1_30default_config_static_selectorELNS0_4arch9wavefront6targetE0EEEvT1_,comdat
	.protected	_ZN7rocprim17ROCPRIM_400000_NS6detail17trampoline_kernelINS0_14default_configENS1_25partition_config_selectorILNS1_17partition_subalgoE5ElNS0_10empty_typeEbEEZZNS1_14partition_implILS5_5ELb0ES3_mN6hipcub16HIPCUB_304000_NS21CountingInputIteratorIllEEPS6_NSA_22TransformInputIteratorIb7NonZeroIdEPdlEENS0_5tupleIJPlS6_EEENSJ_IJSD_SD_EEES6_SK_JS6_EEE10hipError_tPvRmT3_T4_T5_T6_T7_T9_mT8_P12ihipStream_tbDpT10_ENKUlT_T0_E_clISt17integral_constantIbLb0EES15_IbLb1EEEEDaS11_S12_EUlS11_E_NS1_11comp_targetILNS1_3genE5ELNS1_11target_archE942ELNS1_3gpuE9ELNS1_3repE0EEENS1_30default_config_static_selectorELNS0_4arch9wavefront6targetE0EEEvT1_ ; -- Begin function _ZN7rocprim17ROCPRIM_400000_NS6detail17trampoline_kernelINS0_14default_configENS1_25partition_config_selectorILNS1_17partition_subalgoE5ElNS0_10empty_typeEbEEZZNS1_14partition_implILS5_5ELb0ES3_mN6hipcub16HIPCUB_304000_NS21CountingInputIteratorIllEEPS6_NSA_22TransformInputIteratorIb7NonZeroIdEPdlEENS0_5tupleIJPlS6_EEENSJ_IJSD_SD_EEES6_SK_JS6_EEE10hipError_tPvRmT3_T4_T5_T6_T7_T9_mT8_P12ihipStream_tbDpT10_ENKUlT_T0_E_clISt17integral_constantIbLb0EES15_IbLb1EEEEDaS11_S12_EUlS11_E_NS1_11comp_targetILNS1_3genE5ELNS1_11target_archE942ELNS1_3gpuE9ELNS1_3repE0EEENS1_30default_config_static_selectorELNS0_4arch9wavefront6targetE0EEEvT1_
	.globl	_ZN7rocprim17ROCPRIM_400000_NS6detail17trampoline_kernelINS0_14default_configENS1_25partition_config_selectorILNS1_17partition_subalgoE5ElNS0_10empty_typeEbEEZZNS1_14partition_implILS5_5ELb0ES3_mN6hipcub16HIPCUB_304000_NS21CountingInputIteratorIllEEPS6_NSA_22TransformInputIteratorIb7NonZeroIdEPdlEENS0_5tupleIJPlS6_EEENSJ_IJSD_SD_EEES6_SK_JS6_EEE10hipError_tPvRmT3_T4_T5_T6_T7_T9_mT8_P12ihipStream_tbDpT10_ENKUlT_T0_E_clISt17integral_constantIbLb0EES15_IbLb1EEEEDaS11_S12_EUlS11_E_NS1_11comp_targetILNS1_3genE5ELNS1_11target_archE942ELNS1_3gpuE9ELNS1_3repE0EEENS1_30default_config_static_selectorELNS0_4arch9wavefront6targetE0EEEvT1_
	.p2align	8
	.type	_ZN7rocprim17ROCPRIM_400000_NS6detail17trampoline_kernelINS0_14default_configENS1_25partition_config_selectorILNS1_17partition_subalgoE5ElNS0_10empty_typeEbEEZZNS1_14partition_implILS5_5ELb0ES3_mN6hipcub16HIPCUB_304000_NS21CountingInputIteratorIllEEPS6_NSA_22TransformInputIteratorIb7NonZeroIdEPdlEENS0_5tupleIJPlS6_EEENSJ_IJSD_SD_EEES6_SK_JS6_EEE10hipError_tPvRmT3_T4_T5_T6_T7_T9_mT8_P12ihipStream_tbDpT10_ENKUlT_T0_E_clISt17integral_constantIbLb0EES15_IbLb1EEEEDaS11_S12_EUlS11_E_NS1_11comp_targetILNS1_3genE5ELNS1_11target_archE942ELNS1_3gpuE9ELNS1_3repE0EEENS1_30default_config_static_selectorELNS0_4arch9wavefront6targetE0EEEvT1_,@function
_ZN7rocprim17ROCPRIM_400000_NS6detail17trampoline_kernelINS0_14default_configENS1_25partition_config_selectorILNS1_17partition_subalgoE5ElNS0_10empty_typeEbEEZZNS1_14partition_implILS5_5ELb0ES3_mN6hipcub16HIPCUB_304000_NS21CountingInputIteratorIllEEPS6_NSA_22TransformInputIteratorIb7NonZeroIdEPdlEENS0_5tupleIJPlS6_EEENSJ_IJSD_SD_EEES6_SK_JS6_EEE10hipError_tPvRmT3_T4_T5_T6_T7_T9_mT8_P12ihipStream_tbDpT10_ENKUlT_T0_E_clISt17integral_constantIbLb0EES15_IbLb1EEEEDaS11_S12_EUlS11_E_NS1_11comp_targetILNS1_3genE5ELNS1_11target_archE942ELNS1_3gpuE9ELNS1_3repE0EEENS1_30default_config_static_selectorELNS0_4arch9wavefront6targetE0EEEvT1_: ; @_ZN7rocprim17ROCPRIM_400000_NS6detail17trampoline_kernelINS0_14default_configENS1_25partition_config_selectorILNS1_17partition_subalgoE5ElNS0_10empty_typeEbEEZZNS1_14partition_implILS5_5ELb0ES3_mN6hipcub16HIPCUB_304000_NS21CountingInputIteratorIllEEPS6_NSA_22TransformInputIteratorIb7NonZeroIdEPdlEENS0_5tupleIJPlS6_EEENSJ_IJSD_SD_EEES6_SK_JS6_EEE10hipError_tPvRmT3_T4_T5_T6_T7_T9_mT8_P12ihipStream_tbDpT10_ENKUlT_T0_E_clISt17integral_constantIbLb0EES15_IbLb1EEEEDaS11_S12_EUlS11_E_NS1_11comp_targetILNS1_3genE5ELNS1_11target_archE942ELNS1_3gpuE9ELNS1_3repE0EEENS1_30default_config_static_selectorELNS0_4arch9wavefront6targetE0EEEvT1_
; %bb.0:
	.section	.rodata,"a",@progbits
	.p2align	6, 0x0
	.amdhsa_kernel _ZN7rocprim17ROCPRIM_400000_NS6detail17trampoline_kernelINS0_14default_configENS1_25partition_config_selectorILNS1_17partition_subalgoE5ElNS0_10empty_typeEbEEZZNS1_14partition_implILS5_5ELb0ES3_mN6hipcub16HIPCUB_304000_NS21CountingInputIteratorIllEEPS6_NSA_22TransformInputIteratorIb7NonZeroIdEPdlEENS0_5tupleIJPlS6_EEENSJ_IJSD_SD_EEES6_SK_JS6_EEE10hipError_tPvRmT3_T4_T5_T6_T7_T9_mT8_P12ihipStream_tbDpT10_ENKUlT_T0_E_clISt17integral_constantIbLb0EES15_IbLb1EEEEDaS11_S12_EUlS11_E_NS1_11comp_targetILNS1_3genE5ELNS1_11target_archE942ELNS1_3gpuE9ELNS1_3repE0EEENS1_30default_config_static_selectorELNS0_4arch9wavefront6targetE0EEEvT1_
		.amdhsa_group_segment_fixed_size 0
		.amdhsa_private_segment_fixed_size 0
		.amdhsa_kernarg_size 136
		.amdhsa_user_sgpr_count 15
		.amdhsa_user_sgpr_dispatch_ptr 0
		.amdhsa_user_sgpr_queue_ptr 0
		.amdhsa_user_sgpr_kernarg_segment_ptr 1
		.amdhsa_user_sgpr_dispatch_id 0
		.amdhsa_user_sgpr_private_segment_size 0
		.amdhsa_wavefront_size32 1
		.amdhsa_uses_dynamic_stack 0
		.amdhsa_enable_private_segment 0
		.amdhsa_system_sgpr_workgroup_id_x 1
		.amdhsa_system_sgpr_workgroup_id_y 0
		.amdhsa_system_sgpr_workgroup_id_z 0
		.amdhsa_system_sgpr_workgroup_info 0
		.amdhsa_system_vgpr_workitem_id 0
		.amdhsa_next_free_vgpr 1
		.amdhsa_next_free_sgpr 1
		.amdhsa_reserve_vcc 0
		.amdhsa_float_round_mode_32 0
		.amdhsa_float_round_mode_16_64 0
		.amdhsa_float_denorm_mode_32 3
		.amdhsa_float_denorm_mode_16_64 3
		.amdhsa_dx10_clamp 1
		.amdhsa_ieee_mode 1
		.amdhsa_fp16_overflow 0
		.amdhsa_workgroup_processor_mode 1
		.amdhsa_memory_ordered 1
		.amdhsa_forward_progress 0
		.amdhsa_shared_vgpr_count 0
		.amdhsa_exception_fp_ieee_invalid_op 0
		.amdhsa_exception_fp_denorm_src 0
		.amdhsa_exception_fp_ieee_div_zero 0
		.amdhsa_exception_fp_ieee_overflow 0
		.amdhsa_exception_fp_ieee_underflow 0
		.amdhsa_exception_fp_ieee_inexact 0
		.amdhsa_exception_int_div_zero 0
	.end_amdhsa_kernel
	.section	.text._ZN7rocprim17ROCPRIM_400000_NS6detail17trampoline_kernelINS0_14default_configENS1_25partition_config_selectorILNS1_17partition_subalgoE5ElNS0_10empty_typeEbEEZZNS1_14partition_implILS5_5ELb0ES3_mN6hipcub16HIPCUB_304000_NS21CountingInputIteratorIllEEPS6_NSA_22TransformInputIteratorIb7NonZeroIdEPdlEENS0_5tupleIJPlS6_EEENSJ_IJSD_SD_EEES6_SK_JS6_EEE10hipError_tPvRmT3_T4_T5_T6_T7_T9_mT8_P12ihipStream_tbDpT10_ENKUlT_T0_E_clISt17integral_constantIbLb0EES15_IbLb1EEEEDaS11_S12_EUlS11_E_NS1_11comp_targetILNS1_3genE5ELNS1_11target_archE942ELNS1_3gpuE9ELNS1_3repE0EEENS1_30default_config_static_selectorELNS0_4arch9wavefront6targetE0EEEvT1_,"axG",@progbits,_ZN7rocprim17ROCPRIM_400000_NS6detail17trampoline_kernelINS0_14default_configENS1_25partition_config_selectorILNS1_17partition_subalgoE5ElNS0_10empty_typeEbEEZZNS1_14partition_implILS5_5ELb0ES3_mN6hipcub16HIPCUB_304000_NS21CountingInputIteratorIllEEPS6_NSA_22TransformInputIteratorIb7NonZeroIdEPdlEENS0_5tupleIJPlS6_EEENSJ_IJSD_SD_EEES6_SK_JS6_EEE10hipError_tPvRmT3_T4_T5_T6_T7_T9_mT8_P12ihipStream_tbDpT10_ENKUlT_T0_E_clISt17integral_constantIbLb0EES15_IbLb1EEEEDaS11_S12_EUlS11_E_NS1_11comp_targetILNS1_3genE5ELNS1_11target_archE942ELNS1_3gpuE9ELNS1_3repE0EEENS1_30default_config_static_selectorELNS0_4arch9wavefront6targetE0EEEvT1_,comdat
.Lfunc_end346:
	.size	_ZN7rocprim17ROCPRIM_400000_NS6detail17trampoline_kernelINS0_14default_configENS1_25partition_config_selectorILNS1_17partition_subalgoE5ElNS0_10empty_typeEbEEZZNS1_14partition_implILS5_5ELb0ES3_mN6hipcub16HIPCUB_304000_NS21CountingInputIteratorIllEEPS6_NSA_22TransformInputIteratorIb7NonZeroIdEPdlEENS0_5tupleIJPlS6_EEENSJ_IJSD_SD_EEES6_SK_JS6_EEE10hipError_tPvRmT3_T4_T5_T6_T7_T9_mT8_P12ihipStream_tbDpT10_ENKUlT_T0_E_clISt17integral_constantIbLb0EES15_IbLb1EEEEDaS11_S12_EUlS11_E_NS1_11comp_targetILNS1_3genE5ELNS1_11target_archE942ELNS1_3gpuE9ELNS1_3repE0EEENS1_30default_config_static_selectorELNS0_4arch9wavefront6targetE0EEEvT1_, .Lfunc_end346-_ZN7rocprim17ROCPRIM_400000_NS6detail17trampoline_kernelINS0_14default_configENS1_25partition_config_selectorILNS1_17partition_subalgoE5ElNS0_10empty_typeEbEEZZNS1_14partition_implILS5_5ELb0ES3_mN6hipcub16HIPCUB_304000_NS21CountingInputIteratorIllEEPS6_NSA_22TransformInputIteratorIb7NonZeroIdEPdlEENS0_5tupleIJPlS6_EEENSJ_IJSD_SD_EEES6_SK_JS6_EEE10hipError_tPvRmT3_T4_T5_T6_T7_T9_mT8_P12ihipStream_tbDpT10_ENKUlT_T0_E_clISt17integral_constantIbLb0EES15_IbLb1EEEEDaS11_S12_EUlS11_E_NS1_11comp_targetILNS1_3genE5ELNS1_11target_archE942ELNS1_3gpuE9ELNS1_3repE0EEENS1_30default_config_static_selectorELNS0_4arch9wavefront6targetE0EEEvT1_
                                        ; -- End function
	.section	.AMDGPU.csdata,"",@progbits
; Kernel info:
; codeLenInByte = 0
; NumSgprs: 0
; NumVgprs: 0
; ScratchSize: 0
; MemoryBound: 0
; FloatMode: 240
; IeeeMode: 1
; LDSByteSize: 0 bytes/workgroup (compile time only)
; SGPRBlocks: 0
; VGPRBlocks: 0
; NumSGPRsForWavesPerEU: 1
; NumVGPRsForWavesPerEU: 1
; Occupancy: 16
; WaveLimiterHint : 0
; COMPUTE_PGM_RSRC2:SCRATCH_EN: 0
; COMPUTE_PGM_RSRC2:USER_SGPR: 15
; COMPUTE_PGM_RSRC2:TRAP_HANDLER: 0
; COMPUTE_PGM_RSRC2:TGID_X_EN: 1
; COMPUTE_PGM_RSRC2:TGID_Y_EN: 0
; COMPUTE_PGM_RSRC2:TGID_Z_EN: 0
; COMPUTE_PGM_RSRC2:TIDIG_COMP_CNT: 0
	.section	.text._ZN7rocprim17ROCPRIM_400000_NS6detail17trampoline_kernelINS0_14default_configENS1_25partition_config_selectorILNS1_17partition_subalgoE5ElNS0_10empty_typeEbEEZZNS1_14partition_implILS5_5ELb0ES3_mN6hipcub16HIPCUB_304000_NS21CountingInputIteratorIllEEPS6_NSA_22TransformInputIteratorIb7NonZeroIdEPdlEENS0_5tupleIJPlS6_EEENSJ_IJSD_SD_EEES6_SK_JS6_EEE10hipError_tPvRmT3_T4_T5_T6_T7_T9_mT8_P12ihipStream_tbDpT10_ENKUlT_T0_E_clISt17integral_constantIbLb0EES15_IbLb1EEEEDaS11_S12_EUlS11_E_NS1_11comp_targetILNS1_3genE4ELNS1_11target_archE910ELNS1_3gpuE8ELNS1_3repE0EEENS1_30default_config_static_selectorELNS0_4arch9wavefront6targetE0EEEvT1_,"axG",@progbits,_ZN7rocprim17ROCPRIM_400000_NS6detail17trampoline_kernelINS0_14default_configENS1_25partition_config_selectorILNS1_17partition_subalgoE5ElNS0_10empty_typeEbEEZZNS1_14partition_implILS5_5ELb0ES3_mN6hipcub16HIPCUB_304000_NS21CountingInputIteratorIllEEPS6_NSA_22TransformInputIteratorIb7NonZeroIdEPdlEENS0_5tupleIJPlS6_EEENSJ_IJSD_SD_EEES6_SK_JS6_EEE10hipError_tPvRmT3_T4_T5_T6_T7_T9_mT8_P12ihipStream_tbDpT10_ENKUlT_T0_E_clISt17integral_constantIbLb0EES15_IbLb1EEEEDaS11_S12_EUlS11_E_NS1_11comp_targetILNS1_3genE4ELNS1_11target_archE910ELNS1_3gpuE8ELNS1_3repE0EEENS1_30default_config_static_selectorELNS0_4arch9wavefront6targetE0EEEvT1_,comdat
	.protected	_ZN7rocprim17ROCPRIM_400000_NS6detail17trampoline_kernelINS0_14default_configENS1_25partition_config_selectorILNS1_17partition_subalgoE5ElNS0_10empty_typeEbEEZZNS1_14partition_implILS5_5ELb0ES3_mN6hipcub16HIPCUB_304000_NS21CountingInputIteratorIllEEPS6_NSA_22TransformInputIteratorIb7NonZeroIdEPdlEENS0_5tupleIJPlS6_EEENSJ_IJSD_SD_EEES6_SK_JS6_EEE10hipError_tPvRmT3_T4_T5_T6_T7_T9_mT8_P12ihipStream_tbDpT10_ENKUlT_T0_E_clISt17integral_constantIbLb0EES15_IbLb1EEEEDaS11_S12_EUlS11_E_NS1_11comp_targetILNS1_3genE4ELNS1_11target_archE910ELNS1_3gpuE8ELNS1_3repE0EEENS1_30default_config_static_selectorELNS0_4arch9wavefront6targetE0EEEvT1_ ; -- Begin function _ZN7rocprim17ROCPRIM_400000_NS6detail17trampoline_kernelINS0_14default_configENS1_25partition_config_selectorILNS1_17partition_subalgoE5ElNS0_10empty_typeEbEEZZNS1_14partition_implILS5_5ELb0ES3_mN6hipcub16HIPCUB_304000_NS21CountingInputIteratorIllEEPS6_NSA_22TransformInputIteratorIb7NonZeroIdEPdlEENS0_5tupleIJPlS6_EEENSJ_IJSD_SD_EEES6_SK_JS6_EEE10hipError_tPvRmT3_T4_T5_T6_T7_T9_mT8_P12ihipStream_tbDpT10_ENKUlT_T0_E_clISt17integral_constantIbLb0EES15_IbLb1EEEEDaS11_S12_EUlS11_E_NS1_11comp_targetILNS1_3genE4ELNS1_11target_archE910ELNS1_3gpuE8ELNS1_3repE0EEENS1_30default_config_static_selectorELNS0_4arch9wavefront6targetE0EEEvT1_
	.globl	_ZN7rocprim17ROCPRIM_400000_NS6detail17trampoline_kernelINS0_14default_configENS1_25partition_config_selectorILNS1_17partition_subalgoE5ElNS0_10empty_typeEbEEZZNS1_14partition_implILS5_5ELb0ES3_mN6hipcub16HIPCUB_304000_NS21CountingInputIteratorIllEEPS6_NSA_22TransformInputIteratorIb7NonZeroIdEPdlEENS0_5tupleIJPlS6_EEENSJ_IJSD_SD_EEES6_SK_JS6_EEE10hipError_tPvRmT3_T4_T5_T6_T7_T9_mT8_P12ihipStream_tbDpT10_ENKUlT_T0_E_clISt17integral_constantIbLb0EES15_IbLb1EEEEDaS11_S12_EUlS11_E_NS1_11comp_targetILNS1_3genE4ELNS1_11target_archE910ELNS1_3gpuE8ELNS1_3repE0EEENS1_30default_config_static_selectorELNS0_4arch9wavefront6targetE0EEEvT1_
	.p2align	8
	.type	_ZN7rocprim17ROCPRIM_400000_NS6detail17trampoline_kernelINS0_14default_configENS1_25partition_config_selectorILNS1_17partition_subalgoE5ElNS0_10empty_typeEbEEZZNS1_14partition_implILS5_5ELb0ES3_mN6hipcub16HIPCUB_304000_NS21CountingInputIteratorIllEEPS6_NSA_22TransformInputIteratorIb7NonZeroIdEPdlEENS0_5tupleIJPlS6_EEENSJ_IJSD_SD_EEES6_SK_JS6_EEE10hipError_tPvRmT3_T4_T5_T6_T7_T9_mT8_P12ihipStream_tbDpT10_ENKUlT_T0_E_clISt17integral_constantIbLb0EES15_IbLb1EEEEDaS11_S12_EUlS11_E_NS1_11comp_targetILNS1_3genE4ELNS1_11target_archE910ELNS1_3gpuE8ELNS1_3repE0EEENS1_30default_config_static_selectorELNS0_4arch9wavefront6targetE0EEEvT1_,@function
_ZN7rocprim17ROCPRIM_400000_NS6detail17trampoline_kernelINS0_14default_configENS1_25partition_config_selectorILNS1_17partition_subalgoE5ElNS0_10empty_typeEbEEZZNS1_14partition_implILS5_5ELb0ES3_mN6hipcub16HIPCUB_304000_NS21CountingInputIteratorIllEEPS6_NSA_22TransformInputIteratorIb7NonZeroIdEPdlEENS0_5tupleIJPlS6_EEENSJ_IJSD_SD_EEES6_SK_JS6_EEE10hipError_tPvRmT3_T4_T5_T6_T7_T9_mT8_P12ihipStream_tbDpT10_ENKUlT_T0_E_clISt17integral_constantIbLb0EES15_IbLb1EEEEDaS11_S12_EUlS11_E_NS1_11comp_targetILNS1_3genE4ELNS1_11target_archE910ELNS1_3gpuE8ELNS1_3repE0EEENS1_30default_config_static_selectorELNS0_4arch9wavefront6targetE0EEEvT1_: ; @_ZN7rocprim17ROCPRIM_400000_NS6detail17trampoline_kernelINS0_14default_configENS1_25partition_config_selectorILNS1_17partition_subalgoE5ElNS0_10empty_typeEbEEZZNS1_14partition_implILS5_5ELb0ES3_mN6hipcub16HIPCUB_304000_NS21CountingInputIteratorIllEEPS6_NSA_22TransformInputIteratorIb7NonZeroIdEPdlEENS0_5tupleIJPlS6_EEENSJ_IJSD_SD_EEES6_SK_JS6_EEE10hipError_tPvRmT3_T4_T5_T6_T7_T9_mT8_P12ihipStream_tbDpT10_ENKUlT_T0_E_clISt17integral_constantIbLb0EES15_IbLb1EEEEDaS11_S12_EUlS11_E_NS1_11comp_targetILNS1_3genE4ELNS1_11target_archE910ELNS1_3gpuE8ELNS1_3repE0EEENS1_30default_config_static_selectorELNS0_4arch9wavefront6targetE0EEEvT1_
; %bb.0:
	.section	.rodata,"a",@progbits
	.p2align	6, 0x0
	.amdhsa_kernel _ZN7rocprim17ROCPRIM_400000_NS6detail17trampoline_kernelINS0_14default_configENS1_25partition_config_selectorILNS1_17partition_subalgoE5ElNS0_10empty_typeEbEEZZNS1_14partition_implILS5_5ELb0ES3_mN6hipcub16HIPCUB_304000_NS21CountingInputIteratorIllEEPS6_NSA_22TransformInputIteratorIb7NonZeroIdEPdlEENS0_5tupleIJPlS6_EEENSJ_IJSD_SD_EEES6_SK_JS6_EEE10hipError_tPvRmT3_T4_T5_T6_T7_T9_mT8_P12ihipStream_tbDpT10_ENKUlT_T0_E_clISt17integral_constantIbLb0EES15_IbLb1EEEEDaS11_S12_EUlS11_E_NS1_11comp_targetILNS1_3genE4ELNS1_11target_archE910ELNS1_3gpuE8ELNS1_3repE0EEENS1_30default_config_static_selectorELNS0_4arch9wavefront6targetE0EEEvT1_
		.amdhsa_group_segment_fixed_size 0
		.amdhsa_private_segment_fixed_size 0
		.amdhsa_kernarg_size 136
		.amdhsa_user_sgpr_count 15
		.amdhsa_user_sgpr_dispatch_ptr 0
		.amdhsa_user_sgpr_queue_ptr 0
		.amdhsa_user_sgpr_kernarg_segment_ptr 1
		.amdhsa_user_sgpr_dispatch_id 0
		.amdhsa_user_sgpr_private_segment_size 0
		.amdhsa_wavefront_size32 1
		.amdhsa_uses_dynamic_stack 0
		.amdhsa_enable_private_segment 0
		.amdhsa_system_sgpr_workgroup_id_x 1
		.amdhsa_system_sgpr_workgroup_id_y 0
		.amdhsa_system_sgpr_workgroup_id_z 0
		.amdhsa_system_sgpr_workgroup_info 0
		.amdhsa_system_vgpr_workitem_id 0
		.amdhsa_next_free_vgpr 1
		.amdhsa_next_free_sgpr 1
		.amdhsa_reserve_vcc 0
		.amdhsa_float_round_mode_32 0
		.amdhsa_float_round_mode_16_64 0
		.amdhsa_float_denorm_mode_32 3
		.amdhsa_float_denorm_mode_16_64 3
		.amdhsa_dx10_clamp 1
		.amdhsa_ieee_mode 1
		.amdhsa_fp16_overflow 0
		.amdhsa_workgroup_processor_mode 1
		.amdhsa_memory_ordered 1
		.amdhsa_forward_progress 0
		.amdhsa_shared_vgpr_count 0
		.amdhsa_exception_fp_ieee_invalid_op 0
		.amdhsa_exception_fp_denorm_src 0
		.amdhsa_exception_fp_ieee_div_zero 0
		.amdhsa_exception_fp_ieee_overflow 0
		.amdhsa_exception_fp_ieee_underflow 0
		.amdhsa_exception_fp_ieee_inexact 0
		.amdhsa_exception_int_div_zero 0
	.end_amdhsa_kernel
	.section	.text._ZN7rocprim17ROCPRIM_400000_NS6detail17trampoline_kernelINS0_14default_configENS1_25partition_config_selectorILNS1_17partition_subalgoE5ElNS0_10empty_typeEbEEZZNS1_14partition_implILS5_5ELb0ES3_mN6hipcub16HIPCUB_304000_NS21CountingInputIteratorIllEEPS6_NSA_22TransformInputIteratorIb7NonZeroIdEPdlEENS0_5tupleIJPlS6_EEENSJ_IJSD_SD_EEES6_SK_JS6_EEE10hipError_tPvRmT3_T4_T5_T6_T7_T9_mT8_P12ihipStream_tbDpT10_ENKUlT_T0_E_clISt17integral_constantIbLb0EES15_IbLb1EEEEDaS11_S12_EUlS11_E_NS1_11comp_targetILNS1_3genE4ELNS1_11target_archE910ELNS1_3gpuE8ELNS1_3repE0EEENS1_30default_config_static_selectorELNS0_4arch9wavefront6targetE0EEEvT1_,"axG",@progbits,_ZN7rocprim17ROCPRIM_400000_NS6detail17trampoline_kernelINS0_14default_configENS1_25partition_config_selectorILNS1_17partition_subalgoE5ElNS0_10empty_typeEbEEZZNS1_14partition_implILS5_5ELb0ES3_mN6hipcub16HIPCUB_304000_NS21CountingInputIteratorIllEEPS6_NSA_22TransformInputIteratorIb7NonZeroIdEPdlEENS0_5tupleIJPlS6_EEENSJ_IJSD_SD_EEES6_SK_JS6_EEE10hipError_tPvRmT3_T4_T5_T6_T7_T9_mT8_P12ihipStream_tbDpT10_ENKUlT_T0_E_clISt17integral_constantIbLb0EES15_IbLb1EEEEDaS11_S12_EUlS11_E_NS1_11comp_targetILNS1_3genE4ELNS1_11target_archE910ELNS1_3gpuE8ELNS1_3repE0EEENS1_30default_config_static_selectorELNS0_4arch9wavefront6targetE0EEEvT1_,comdat
.Lfunc_end347:
	.size	_ZN7rocprim17ROCPRIM_400000_NS6detail17trampoline_kernelINS0_14default_configENS1_25partition_config_selectorILNS1_17partition_subalgoE5ElNS0_10empty_typeEbEEZZNS1_14partition_implILS5_5ELb0ES3_mN6hipcub16HIPCUB_304000_NS21CountingInputIteratorIllEEPS6_NSA_22TransformInputIteratorIb7NonZeroIdEPdlEENS0_5tupleIJPlS6_EEENSJ_IJSD_SD_EEES6_SK_JS6_EEE10hipError_tPvRmT3_T4_T5_T6_T7_T9_mT8_P12ihipStream_tbDpT10_ENKUlT_T0_E_clISt17integral_constantIbLb0EES15_IbLb1EEEEDaS11_S12_EUlS11_E_NS1_11comp_targetILNS1_3genE4ELNS1_11target_archE910ELNS1_3gpuE8ELNS1_3repE0EEENS1_30default_config_static_selectorELNS0_4arch9wavefront6targetE0EEEvT1_, .Lfunc_end347-_ZN7rocprim17ROCPRIM_400000_NS6detail17trampoline_kernelINS0_14default_configENS1_25partition_config_selectorILNS1_17partition_subalgoE5ElNS0_10empty_typeEbEEZZNS1_14partition_implILS5_5ELb0ES3_mN6hipcub16HIPCUB_304000_NS21CountingInputIteratorIllEEPS6_NSA_22TransformInputIteratorIb7NonZeroIdEPdlEENS0_5tupleIJPlS6_EEENSJ_IJSD_SD_EEES6_SK_JS6_EEE10hipError_tPvRmT3_T4_T5_T6_T7_T9_mT8_P12ihipStream_tbDpT10_ENKUlT_T0_E_clISt17integral_constantIbLb0EES15_IbLb1EEEEDaS11_S12_EUlS11_E_NS1_11comp_targetILNS1_3genE4ELNS1_11target_archE910ELNS1_3gpuE8ELNS1_3repE0EEENS1_30default_config_static_selectorELNS0_4arch9wavefront6targetE0EEEvT1_
                                        ; -- End function
	.section	.AMDGPU.csdata,"",@progbits
; Kernel info:
; codeLenInByte = 0
; NumSgprs: 0
; NumVgprs: 0
; ScratchSize: 0
; MemoryBound: 0
; FloatMode: 240
; IeeeMode: 1
; LDSByteSize: 0 bytes/workgroup (compile time only)
; SGPRBlocks: 0
; VGPRBlocks: 0
; NumSGPRsForWavesPerEU: 1
; NumVGPRsForWavesPerEU: 1
; Occupancy: 15
; WaveLimiterHint : 0
; COMPUTE_PGM_RSRC2:SCRATCH_EN: 0
; COMPUTE_PGM_RSRC2:USER_SGPR: 15
; COMPUTE_PGM_RSRC2:TRAP_HANDLER: 0
; COMPUTE_PGM_RSRC2:TGID_X_EN: 1
; COMPUTE_PGM_RSRC2:TGID_Y_EN: 0
; COMPUTE_PGM_RSRC2:TGID_Z_EN: 0
; COMPUTE_PGM_RSRC2:TIDIG_COMP_CNT: 0
	.section	.text._ZN7rocprim17ROCPRIM_400000_NS6detail17trampoline_kernelINS0_14default_configENS1_25partition_config_selectorILNS1_17partition_subalgoE5ElNS0_10empty_typeEbEEZZNS1_14partition_implILS5_5ELb0ES3_mN6hipcub16HIPCUB_304000_NS21CountingInputIteratorIllEEPS6_NSA_22TransformInputIteratorIb7NonZeroIdEPdlEENS0_5tupleIJPlS6_EEENSJ_IJSD_SD_EEES6_SK_JS6_EEE10hipError_tPvRmT3_T4_T5_T6_T7_T9_mT8_P12ihipStream_tbDpT10_ENKUlT_T0_E_clISt17integral_constantIbLb0EES15_IbLb1EEEEDaS11_S12_EUlS11_E_NS1_11comp_targetILNS1_3genE3ELNS1_11target_archE908ELNS1_3gpuE7ELNS1_3repE0EEENS1_30default_config_static_selectorELNS0_4arch9wavefront6targetE0EEEvT1_,"axG",@progbits,_ZN7rocprim17ROCPRIM_400000_NS6detail17trampoline_kernelINS0_14default_configENS1_25partition_config_selectorILNS1_17partition_subalgoE5ElNS0_10empty_typeEbEEZZNS1_14partition_implILS5_5ELb0ES3_mN6hipcub16HIPCUB_304000_NS21CountingInputIteratorIllEEPS6_NSA_22TransformInputIteratorIb7NonZeroIdEPdlEENS0_5tupleIJPlS6_EEENSJ_IJSD_SD_EEES6_SK_JS6_EEE10hipError_tPvRmT3_T4_T5_T6_T7_T9_mT8_P12ihipStream_tbDpT10_ENKUlT_T0_E_clISt17integral_constantIbLb0EES15_IbLb1EEEEDaS11_S12_EUlS11_E_NS1_11comp_targetILNS1_3genE3ELNS1_11target_archE908ELNS1_3gpuE7ELNS1_3repE0EEENS1_30default_config_static_selectorELNS0_4arch9wavefront6targetE0EEEvT1_,comdat
	.protected	_ZN7rocprim17ROCPRIM_400000_NS6detail17trampoline_kernelINS0_14default_configENS1_25partition_config_selectorILNS1_17partition_subalgoE5ElNS0_10empty_typeEbEEZZNS1_14partition_implILS5_5ELb0ES3_mN6hipcub16HIPCUB_304000_NS21CountingInputIteratorIllEEPS6_NSA_22TransformInputIteratorIb7NonZeroIdEPdlEENS0_5tupleIJPlS6_EEENSJ_IJSD_SD_EEES6_SK_JS6_EEE10hipError_tPvRmT3_T4_T5_T6_T7_T9_mT8_P12ihipStream_tbDpT10_ENKUlT_T0_E_clISt17integral_constantIbLb0EES15_IbLb1EEEEDaS11_S12_EUlS11_E_NS1_11comp_targetILNS1_3genE3ELNS1_11target_archE908ELNS1_3gpuE7ELNS1_3repE0EEENS1_30default_config_static_selectorELNS0_4arch9wavefront6targetE0EEEvT1_ ; -- Begin function _ZN7rocprim17ROCPRIM_400000_NS6detail17trampoline_kernelINS0_14default_configENS1_25partition_config_selectorILNS1_17partition_subalgoE5ElNS0_10empty_typeEbEEZZNS1_14partition_implILS5_5ELb0ES3_mN6hipcub16HIPCUB_304000_NS21CountingInputIteratorIllEEPS6_NSA_22TransformInputIteratorIb7NonZeroIdEPdlEENS0_5tupleIJPlS6_EEENSJ_IJSD_SD_EEES6_SK_JS6_EEE10hipError_tPvRmT3_T4_T5_T6_T7_T9_mT8_P12ihipStream_tbDpT10_ENKUlT_T0_E_clISt17integral_constantIbLb0EES15_IbLb1EEEEDaS11_S12_EUlS11_E_NS1_11comp_targetILNS1_3genE3ELNS1_11target_archE908ELNS1_3gpuE7ELNS1_3repE0EEENS1_30default_config_static_selectorELNS0_4arch9wavefront6targetE0EEEvT1_
	.globl	_ZN7rocprim17ROCPRIM_400000_NS6detail17trampoline_kernelINS0_14default_configENS1_25partition_config_selectorILNS1_17partition_subalgoE5ElNS0_10empty_typeEbEEZZNS1_14partition_implILS5_5ELb0ES3_mN6hipcub16HIPCUB_304000_NS21CountingInputIteratorIllEEPS6_NSA_22TransformInputIteratorIb7NonZeroIdEPdlEENS0_5tupleIJPlS6_EEENSJ_IJSD_SD_EEES6_SK_JS6_EEE10hipError_tPvRmT3_T4_T5_T6_T7_T9_mT8_P12ihipStream_tbDpT10_ENKUlT_T0_E_clISt17integral_constantIbLb0EES15_IbLb1EEEEDaS11_S12_EUlS11_E_NS1_11comp_targetILNS1_3genE3ELNS1_11target_archE908ELNS1_3gpuE7ELNS1_3repE0EEENS1_30default_config_static_selectorELNS0_4arch9wavefront6targetE0EEEvT1_
	.p2align	8
	.type	_ZN7rocprim17ROCPRIM_400000_NS6detail17trampoline_kernelINS0_14default_configENS1_25partition_config_selectorILNS1_17partition_subalgoE5ElNS0_10empty_typeEbEEZZNS1_14partition_implILS5_5ELb0ES3_mN6hipcub16HIPCUB_304000_NS21CountingInputIteratorIllEEPS6_NSA_22TransformInputIteratorIb7NonZeroIdEPdlEENS0_5tupleIJPlS6_EEENSJ_IJSD_SD_EEES6_SK_JS6_EEE10hipError_tPvRmT3_T4_T5_T6_T7_T9_mT8_P12ihipStream_tbDpT10_ENKUlT_T0_E_clISt17integral_constantIbLb0EES15_IbLb1EEEEDaS11_S12_EUlS11_E_NS1_11comp_targetILNS1_3genE3ELNS1_11target_archE908ELNS1_3gpuE7ELNS1_3repE0EEENS1_30default_config_static_selectorELNS0_4arch9wavefront6targetE0EEEvT1_,@function
_ZN7rocprim17ROCPRIM_400000_NS6detail17trampoline_kernelINS0_14default_configENS1_25partition_config_selectorILNS1_17partition_subalgoE5ElNS0_10empty_typeEbEEZZNS1_14partition_implILS5_5ELb0ES3_mN6hipcub16HIPCUB_304000_NS21CountingInputIteratorIllEEPS6_NSA_22TransformInputIteratorIb7NonZeroIdEPdlEENS0_5tupleIJPlS6_EEENSJ_IJSD_SD_EEES6_SK_JS6_EEE10hipError_tPvRmT3_T4_T5_T6_T7_T9_mT8_P12ihipStream_tbDpT10_ENKUlT_T0_E_clISt17integral_constantIbLb0EES15_IbLb1EEEEDaS11_S12_EUlS11_E_NS1_11comp_targetILNS1_3genE3ELNS1_11target_archE908ELNS1_3gpuE7ELNS1_3repE0EEENS1_30default_config_static_selectorELNS0_4arch9wavefront6targetE0EEEvT1_: ; @_ZN7rocprim17ROCPRIM_400000_NS6detail17trampoline_kernelINS0_14default_configENS1_25partition_config_selectorILNS1_17partition_subalgoE5ElNS0_10empty_typeEbEEZZNS1_14partition_implILS5_5ELb0ES3_mN6hipcub16HIPCUB_304000_NS21CountingInputIteratorIllEEPS6_NSA_22TransformInputIteratorIb7NonZeroIdEPdlEENS0_5tupleIJPlS6_EEENSJ_IJSD_SD_EEES6_SK_JS6_EEE10hipError_tPvRmT3_T4_T5_T6_T7_T9_mT8_P12ihipStream_tbDpT10_ENKUlT_T0_E_clISt17integral_constantIbLb0EES15_IbLb1EEEEDaS11_S12_EUlS11_E_NS1_11comp_targetILNS1_3genE3ELNS1_11target_archE908ELNS1_3gpuE7ELNS1_3repE0EEENS1_30default_config_static_selectorELNS0_4arch9wavefront6targetE0EEEvT1_
; %bb.0:
	.section	.rodata,"a",@progbits
	.p2align	6, 0x0
	.amdhsa_kernel _ZN7rocprim17ROCPRIM_400000_NS6detail17trampoline_kernelINS0_14default_configENS1_25partition_config_selectorILNS1_17partition_subalgoE5ElNS0_10empty_typeEbEEZZNS1_14partition_implILS5_5ELb0ES3_mN6hipcub16HIPCUB_304000_NS21CountingInputIteratorIllEEPS6_NSA_22TransformInputIteratorIb7NonZeroIdEPdlEENS0_5tupleIJPlS6_EEENSJ_IJSD_SD_EEES6_SK_JS6_EEE10hipError_tPvRmT3_T4_T5_T6_T7_T9_mT8_P12ihipStream_tbDpT10_ENKUlT_T0_E_clISt17integral_constantIbLb0EES15_IbLb1EEEEDaS11_S12_EUlS11_E_NS1_11comp_targetILNS1_3genE3ELNS1_11target_archE908ELNS1_3gpuE7ELNS1_3repE0EEENS1_30default_config_static_selectorELNS0_4arch9wavefront6targetE0EEEvT1_
		.amdhsa_group_segment_fixed_size 0
		.amdhsa_private_segment_fixed_size 0
		.amdhsa_kernarg_size 136
		.amdhsa_user_sgpr_count 15
		.amdhsa_user_sgpr_dispatch_ptr 0
		.amdhsa_user_sgpr_queue_ptr 0
		.amdhsa_user_sgpr_kernarg_segment_ptr 1
		.amdhsa_user_sgpr_dispatch_id 0
		.amdhsa_user_sgpr_private_segment_size 0
		.amdhsa_wavefront_size32 1
		.amdhsa_uses_dynamic_stack 0
		.amdhsa_enable_private_segment 0
		.amdhsa_system_sgpr_workgroup_id_x 1
		.amdhsa_system_sgpr_workgroup_id_y 0
		.amdhsa_system_sgpr_workgroup_id_z 0
		.amdhsa_system_sgpr_workgroup_info 0
		.amdhsa_system_vgpr_workitem_id 0
		.amdhsa_next_free_vgpr 1
		.amdhsa_next_free_sgpr 1
		.amdhsa_reserve_vcc 0
		.amdhsa_float_round_mode_32 0
		.amdhsa_float_round_mode_16_64 0
		.amdhsa_float_denorm_mode_32 3
		.amdhsa_float_denorm_mode_16_64 3
		.amdhsa_dx10_clamp 1
		.amdhsa_ieee_mode 1
		.amdhsa_fp16_overflow 0
		.amdhsa_workgroup_processor_mode 1
		.amdhsa_memory_ordered 1
		.amdhsa_forward_progress 0
		.amdhsa_shared_vgpr_count 0
		.amdhsa_exception_fp_ieee_invalid_op 0
		.amdhsa_exception_fp_denorm_src 0
		.amdhsa_exception_fp_ieee_div_zero 0
		.amdhsa_exception_fp_ieee_overflow 0
		.amdhsa_exception_fp_ieee_underflow 0
		.amdhsa_exception_fp_ieee_inexact 0
		.amdhsa_exception_int_div_zero 0
	.end_amdhsa_kernel
	.section	.text._ZN7rocprim17ROCPRIM_400000_NS6detail17trampoline_kernelINS0_14default_configENS1_25partition_config_selectorILNS1_17partition_subalgoE5ElNS0_10empty_typeEbEEZZNS1_14partition_implILS5_5ELb0ES3_mN6hipcub16HIPCUB_304000_NS21CountingInputIteratorIllEEPS6_NSA_22TransformInputIteratorIb7NonZeroIdEPdlEENS0_5tupleIJPlS6_EEENSJ_IJSD_SD_EEES6_SK_JS6_EEE10hipError_tPvRmT3_T4_T5_T6_T7_T9_mT8_P12ihipStream_tbDpT10_ENKUlT_T0_E_clISt17integral_constantIbLb0EES15_IbLb1EEEEDaS11_S12_EUlS11_E_NS1_11comp_targetILNS1_3genE3ELNS1_11target_archE908ELNS1_3gpuE7ELNS1_3repE0EEENS1_30default_config_static_selectorELNS0_4arch9wavefront6targetE0EEEvT1_,"axG",@progbits,_ZN7rocprim17ROCPRIM_400000_NS6detail17trampoline_kernelINS0_14default_configENS1_25partition_config_selectorILNS1_17partition_subalgoE5ElNS0_10empty_typeEbEEZZNS1_14partition_implILS5_5ELb0ES3_mN6hipcub16HIPCUB_304000_NS21CountingInputIteratorIllEEPS6_NSA_22TransformInputIteratorIb7NonZeroIdEPdlEENS0_5tupleIJPlS6_EEENSJ_IJSD_SD_EEES6_SK_JS6_EEE10hipError_tPvRmT3_T4_T5_T6_T7_T9_mT8_P12ihipStream_tbDpT10_ENKUlT_T0_E_clISt17integral_constantIbLb0EES15_IbLb1EEEEDaS11_S12_EUlS11_E_NS1_11comp_targetILNS1_3genE3ELNS1_11target_archE908ELNS1_3gpuE7ELNS1_3repE0EEENS1_30default_config_static_selectorELNS0_4arch9wavefront6targetE0EEEvT1_,comdat
.Lfunc_end348:
	.size	_ZN7rocprim17ROCPRIM_400000_NS6detail17trampoline_kernelINS0_14default_configENS1_25partition_config_selectorILNS1_17partition_subalgoE5ElNS0_10empty_typeEbEEZZNS1_14partition_implILS5_5ELb0ES3_mN6hipcub16HIPCUB_304000_NS21CountingInputIteratorIllEEPS6_NSA_22TransformInputIteratorIb7NonZeroIdEPdlEENS0_5tupleIJPlS6_EEENSJ_IJSD_SD_EEES6_SK_JS6_EEE10hipError_tPvRmT3_T4_T5_T6_T7_T9_mT8_P12ihipStream_tbDpT10_ENKUlT_T0_E_clISt17integral_constantIbLb0EES15_IbLb1EEEEDaS11_S12_EUlS11_E_NS1_11comp_targetILNS1_3genE3ELNS1_11target_archE908ELNS1_3gpuE7ELNS1_3repE0EEENS1_30default_config_static_selectorELNS0_4arch9wavefront6targetE0EEEvT1_, .Lfunc_end348-_ZN7rocprim17ROCPRIM_400000_NS6detail17trampoline_kernelINS0_14default_configENS1_25partition_config_selectorILNS1_17partition_subalgoE5ElNS0_10empty_typeEbEEZZNS1_14partition_implILS5_5ELb0ES3_mN6hipcub16HIPCUB_304000_NS21CountingInputIteratorIllEEPS6_NSA_22TransformInputIteratorIb7NonZeroIdEPdlEENS0_5tupleIJPlS6_EEENSJ_IJSD_SD_EEES6_SK_JS6_EEE10hipError_tPvRmT3_T4_T5_T6_T7_T9_mT8_P12ihipStream_tbDpT10_ENKUlT_T0_E_clISt17integral_constantIbLb0EES15_IbLb1EEEEDaS11_S12_EUlS11_E_NS1_11comp_targetILNS1_3genE3ELNS1_11target_archE908ELNS1_3gpuE7ELNS1_3repE0EEENS1_30default_config_static_selectorELNS0_4arch9wavefront6targetE0EEEvT1_
                                        ; -- End function
	.section	.AMDGPU.csdata,"",@progbits
; Kernel info:
; codeLenInByte = 0
; NumSgprs: 0
; NumVgprs: 0
; ScratchSize: 0
; MemoryBound: 0
; FloatMode: 240
; IeeeMode: 1
; LDSByteSize: 0 bytes/workgroup (compile time only)
; SGPRBlocks: 0
; VGPRBlocks: 0
; NumSGPRsForWavesPerEU: 1
; NumVGPRsForWavesPerEU: 1
; Occupancy: 16
; WaveLimiterHint : 0
; COMPUTE_PGM_RSRC2:SCRATCH_EN: 0
; COMPUTE_PGM_RSRC2:USER_SGPR: 15
; COMPUTE_PGM_RSRC2:TRAP_HANDLER: 0
; COMPUTE_PGM_RSRC2:TGID_X_EN: 1
; COMPUTE_PGM_RSRC2:TGID_Y_EN: 0
; COMPUTE_PGM_RSRC2:TGID_Z_EN: 0
; COMPUTE_PGM_RSRC2:TIDIG_COMP_CNT: 0
	.section	.text._ZN7rocprim17ROCPRIM_400000_NS6detail17trampoline_kernelINS0_14default_configENS1_25partition_config_selectorILNS1_17partition_subalgoE5ElNS0_10empty_typeEbEEZZNS1_14partition_implILS5_5ELb0ES3_mN6hipcub16HIPCUB_304000_NS21CountingInputIteratorIllEEPS6_NSA_22TransformInputIteratorIb7NonZeroIdEPdlEENS0_5tupleIJPlS6_EEENSJ_IJSD_SD_EEES6_SK_JS6_EEE10hipError_tPvRmT3_T4_T5_T6_T7_T9_mT8_P12ihipStream_tbDpT10_ENKUlT_T0_E_clISt17integral_constantIbLb0EES15_IbLb1EEEEDaS11_S12_EUlS11_E_NS1_11comp_targetILNS1_3genE2ELNS1_11target_archE906ELNS1_3gpuE6ELNS1_3repE0EEENS1_30default_config_static_selectorELNS0_4arch9wavefront6targetE0EEEvT1_,"axG",@progbits,_ZN7rocprim17ROCPRIM_400000_NS6detail17trampoline_kernelINS0_14default_configENS1_25partition_config_selectorILNS1_17partition_subalgoE5ElNS0_10empty_typeEbEEZZNS1_14partition_implILS5_5ELb0ES3_mN6hipcub16HIPCUB_304000_NS21CountingInputIteratorIllEEPS6_NSA_22TransformInputIteratorIb7NonZeroIdEPdlEENS0_5tupleIJPlS6_EEENSJ_IJSD_SD_EEES6_SK_JS6_EEE10hipError_tPvRmT3_T4_T5_T6_T7_T9_mT8_P12ihipStream_tbDpT10_ENKUlT_T0_E_clISt17integral_constantIbLb0EES15_IbLb1EEEEDaS11_S12_EUlS11_E_NS1_11comp_targetILNS1_3genE2ELNS1_11target_archE906ELNS1_3gpuE6ELNS1_3repE0EEENS1_30default_config_static_selectorELNS0_4arch9wavefront6targetE0EEEvT1_,comdat
	.protected	_ZN7rocprim17ROCPRIM_400000_NS6detail17trampoline_kernelINS0_14default_configENS1_25partition_config_selectorILNS1_17partition_subalgoE5ElNS0_10empty_typeEbEEZZNS1_14partition_implILS5_5ELb0ES3_mN6hipcub16HIPCUB_304000_NS21CountingInputIteratorIllEEPS6_NSA_22TransformInputIteratorIb7NonZeroIdEPdlEENS0_5tupleIJPlS6_EEENSJ_IJSD_SD_EEES6_SK_JS6_EEE10hipError_tPvRmT3_T4_T5_T6_T7_T9_mT8_P12ihipStream_tbDpT10_ENKUlT_T0_E_clISt17integral_constantIbLb0EES15_IbLb1EEEEDaS11_S12_EUlS11_E_NS1_11comp_targetILNS1_3genE2ELNS1_11target_archE906ELNS1_3gpuE6ELNS1_3repE0EEENS1_30default_config_static_selectorELNS0_4arch9wavefront6targetE0EEEvT1_ ; -- Begin function _ZN7rocprim17ROCPRIM_400000_NS6detail17trampoline_kernelINS0_14default_configENS1_25partition_config_selectorILNS1_17partition_subalgoE5ElNS0_10empty_typeEbEEZZNS1_14partition_implILS5_5ELb0ES3_mN6hipcub16HIPCUB_304000_NS21CountingInputIteratorIllEEPS6_NSA_22TransformInputIteratorIb7NonZeroIdEPdlEENS0_5tupleIJPlS6_EEENSJ_IJSD_SD_EEES6_SK_JS6_EEE10hipError_tPvRmT3_T4_T5_T6_T7_T9_mT8_P12ihipStream_tbDpT10_ENKUlT_T0_E_clISt17integral_constantIbLb0EES15_IbLb1EEEEDaS11_S12_EUlS11_E_NS1_11comp_targetILNS1_3genE2ELNS1_11target_archE906ELNS1_3gpuE6ELNS1_3repE0EEENS1_30default_config_static_selectorELNS0_4arch9wavefront6targetE0EEEvT1_
	.globl	_ZN7rocprim17ROCPRIM_400000_NS6detail17trampoline_kernelINS0_14default_configENS1_25partition_config_selectorILNS1_17partition_subalgoE5ElNS0_10empty_typeEbEEZZNS1_14partition_implILS5_5ELb0ES3_mN6hipcub16HIPCUB_304000_NS21CountingInputIteratorIllEEPS6_NSA_22TransformInputIteratorIb7NonZeroIdEPdlEENS0_5tupleIJPlS6_EEENSJ_IJSD_SD_EEES6_SK_JS6_EEE10hipError_tPvRmT3_T4_T5_T6_T7_T9_mT8_P12ihipStream_tbDpT10_ENKUlT_T0_E_clISt17integral_constantIbLb0EES15_IbLb1EEEEDaS11_S12_EUlS11_E_NS1_11comp_targetILNS1_3genE2ELNS1_11target_archE906ELNS1_3gpuE6ELNS1_3repE0EEENS1_30default_config_static_selectorELNS0_4arch9wavefront6targetE0EEEvT1_
	.p2align	8
	.type	_ZN7rocprim17ROCPRIM_400000_NS6detail17trampoline_kernelINS0_14default_configENS1_25partition_config_selectorILNS1_17partition_subalgoE5ElNS0_10empty_typeEbEEZZNS1_14partition_implILS5_5ELb0ES3_mN6hipcub16HIPCUB_304000_NS21CountingInputIteratorIllEEPS6_NSA_22TransformInputIteratorIb7NonZeroIdEPdlEENS0_5tupleIJPlS6_EEENSJ_IJSD_SD_EEES6_SK_JS6_EEE10hipError_tPvRmT3_T4_T5_T6_T7_T9_mT8_P12ihipStream_tbDpT10_ENKUlT_T0_E_clISt17integral_constantIbLb0EES15_IbLb1EEEEDaS11_S12_EUlS11_E_NS1_11comp_targetILNS1_3genE2ELNS1_11target_archE906ELNS1_3gpuE6ELNS1_3repE0EEENS1_30default_config_static_selectorELNS0_4arch9wavefront6targetE0EEEvT1_,@function
_ZN7rocprim17ROCPRIM_400000_NS6detail17trampoline_kernelINS0_14default_configENS1_25partition_config_selectorILNS1_17partition_subalgoE5ElNS0_10empty_typeEbEEZZNS1_14partition_implILS5_5ELb0ES3_mN6hipcub16HIPCUB_304000_NS21CountingInputIteratorIllEEPS6_NSA_22TransformInputIteratorIb7NonZeroIdEPdlEENS0_5tupleIJPlS6_EEENSJ_IJSD_SD_EEES6_SK_JS6_EEE10hipError_tPvRmT3_T4_T5_T6_T7_T9_mT8_P12ihipStream_tbDpT10_ENKUlT_T0_E_clISt17integral_constantIbLb0EES15_IbLb1EEEEDaS11_S12_EUlS11_E_NS1_11comp_targetILNS1_3genE2ELNS1_11target_archE906ELNS1_3gpuE6ELNS1_3repE0EEENS1_30default_config_static_selectorELNS0_4arch9wavefront6targetE0EEEvT1_: ; @_ZN7rocprim17ROCPRIM_400000_NS6detail17trampoline_kernelINS0_14default_configENS1_25partition_config_selectorILNS1_17partition_subalgoE5ElNS0_10empty_typeEbEEZZNS1_14partition_implILS5_5ELb0ES3_mN6hipcub16HIPCUB_304000_NS21CountingInputIteratorIllEEPS6_NSA_22TransformInputIteratorIb7NonZeroIdEPdlEENS0_5tupleIJPlS6_EEENSJ_IJSD_SD_EEES6_SK_JS6_EEE10hipError_tPvRmT3_T4_T5_T6_T7_T9_mT8_P12ihipStream_tbDpT10_ENKUlT_T0_E_clISt17integral_constantIbLb0EES15_IbLb1EEEEDaS11_S12_EUlS11_E_NS1_11comp_targetILNS1_3genE2ELNS1_11target_archE906ELNS1_3gpuE6ELNS1_3repE0EEENS1_30default_config_static_selectorELNS0_4arch9wavefront6targetE0EEEvT1_
; %bb.0:
	.section	.rodata,"a",@progbits
	.p2align	6, 0x0
	.amdhsa_kernel _ZN7rocprim17ROCPRIM_400000_NS6detail17trampoline_kernelINS0_14default_configENS1_25partition_config_selectorILNS1_17partition_subalgoE5ElNS0_10empty_typeEbEEZZNS1_14partition_implILS5_5ELb0ES3_mN6hipcub16HIPCUB_304000_NS21CountingInputIteratorIllEEPS6_NSA_22TransformInputIteratorIb7NonZeroIdEPdlEENS0_5tupleIJPlS6_EEENSJ_IJSD_SD_EEES6_SK_JS6_EEE10hipError_tPvRmT3_T4_T5_T6_T7_T9_mT8_P12ihipStream_tbDpT10_ENKUlT_T0_E_clISt17integral_constantIbLb0EES15_IbLb1EEEEDaS11_S12_EUlS11_E_NS1_11comp_targetILNS1_3genE2ELNS1_11target_archE906ELNS1_3gpuE6ELNS1_3repE0EEENS1_30default_config_static_selectorELNS0_4arch9wavefront6targetE0EEEvT1_
		.amdhsa_group_segment_fixed_size 0
		.amdhsa_private_segment_fixed_size 0
		.amdhsa_kernarg_size 136
		.amdhsa_user_sgpr_count 15
		.amdhsa_user_sgpr_dispatch_ptr 0
		.amdhsa_user_sgpr_queue_ptr 0
		.amdhsa_user_sgpr_kernarg_segment_ptr 1
		.amdhsa_user_sgpr_dispatch_id 0
		.amdhsa_user_sgpr_private_segment_size 0
		.amdhsa_wavefront_size32 1
		.amdhsa_uses_dynamic_stack 0
		.amdhsa_enable_private_segment 0
		.amdhsa_system_sgpr_workgroup_id_x 1
		.amdhsa_system_sgpr_workgroup_id_y 0
		.amdhsa_system_sgpr_workgroup_id_z 0
		.amdhsa_system_sgpr_workgroup_info 0
		.amdhsa_system_vgpr_workitem_id 0
		.amdhsa_next_free_vgpr 1
		.amdhsa_next_free_sgpr 1
		.amdhsa_reserve_vcc 0
		.amdhsa_float_round_mode_32 0
		.amdhsa_float_round_mode_16_64 0
		.amdhsa_float_denorm_mode_32 3
		.amdhsa_float_denorm_mode_16_64 3
		.amdhsa_dx10_clamp 1
		.amdhsa_ieee_mode 1
		.amdhsa_fp16_overflow 0
		.amdhsa_workgroup_processor_mode 1
		.amdhsa_memory_ordered 1
		.amdhsa_forward_progress 0
		.amdhsa_shared_vgpr_count 0
		.amdhsa_exception_fp_ieee_invalid_op 0
		.amdhsa_exception_fp_denorm_src 0
		.amdhsa_exception_fp_ieee_div_zero 0
		.amdhsa_exception_fp_ieee_overflow 0
		.amdhsa_exception_fp_ieee_underflow 0
		.amdhsa_exception_fp_ieee_inexact 0
		.amdhsa_exception_int_div_zero 0
	.end_amdhsa_kernel
	.section	.text._ZN7rocprim17ROCPRIM_400000_NS6detail17trampoline_kernelINS0_14default_configENS1_25partition_config_selectorILNS1_17partition_subalgoE5ElNS0_10empty_typeEbEEZZNS1_14partition_implILS5_5ELb0ES3_mN6hipcub16HIPCUB_304000_NS21CountingInputIteratorIllEEPS6_NSA_22TransformInputIteratorIb7NonZeroIdEPdlEENS0_5tupleIJPlS6_EEENSJ_IJSD_SD_EEES6_SK_JS6_EEE10hipError_tPvRmT3_T4_T5_T6_T7_T9_mT8_P12ihipStream_tbDpT10_ENKUlT_T0_E_clISt17integral_constantIbLb0EES15_IbLb1EEEEDaS11_S12_EUlS11_E_NS1_11comp_targetILNS1_3genE2ELNS1_11target_archE906ELNS1_3gpuE6ELNS1_3repE0EEENS1_30default_config_static_selectorELNS0_4arch9wavefront6targetE0EEEvT1_,"axG",@progbits,_ZN7rocprim17ROCPRIM_400000_NS6detail17trampoline_kernelINS0_14default_configENS1_25partition_config_selectorILNS1_17partition_subalgoE5ElNS0_10empty_typeEbEEZZNS1_14partition_implILS5_5ELb0ES3_mN6hipcub16HIPCUB_304000_NS21CountingInputIteratorIllEEPS6_NSA_22TransformInputIteratorIb7NonZeroIdEPdlEENS0_5tupleIJPlS6_EEENSJ_IJSD_SD_EEES6_SK_JS6_EEE10hipError_tPvRmT3_T4_T5_T6_T7_T9_mT8_P12ihipStream_tbDpT10_ENKUlT_T0_E_clISt17integral_constantIbLb0EES15_IbLb1EEEEDaS11_S12_EUlS11_E_NS1_11comp_targetILNS1_3genE2ELNS1_11target_archE906ELNS1_3gpuE6ELNS1_3repE0EEENS1_30default_config_static_selectorELNS0_4arch9wavefront6targetE0EEEvT1_,comdat
.Lfunc_end349:
	.size	_ZN7rocprim17ROCPRIM_400000_NS6detail17trampoline_kernelINS0_14default_configENS1_25partition_config_selectorILNS1_17partition_subalgoE5ElNS0_10empty_typeEbEEZZNS1_14partition_implILS5_5ELb0ES3_mN6hipcub16HIPCUB_304000_NS21CountingInputIteratorIllEEPS6_NSA_22TransformInputIteratorIb7NonZeroIdEPdlEENS0_5tupleIJPlS6_EEENSJ_IJSD_SD_EEES6_SK_JS6_EEE10hipError_tPvRmT3_T4_T5_T6_T7_T9_mT8_P12ihipStream_tbDpT10_ENKUlT_T0_E_clISt17integral_constantIbLb0EES15_IbLb1EEEEDaS11_S12_EUlS11_E_NS1_11comp_targetILNS1_3genE2ELNS1_11target_archE906ELNS1_3gpuE6ELNS1_3repE0EEENS1_30default_config_static_selectorELNS0_4arch9wavefront6targetE0EEEvT1_, .Lfunc_end349-_ZN7rocprim17ROCPRIM_400000_NS6detail17trampoline_kernelINS0_14default_configENS1_25partition_config_selectorILNS1_17partition_subalgoE5ElNS0_10empty_typeEbEEZZNS1_14partition_implILS5_5ELb0ES3_mN6hipcub16HIPCUB_304000_NS21CountingInputIteratorIllEEPS6_NSA_22TransformInputIteratorIb7NonZeroIdEPdlEENS0_5tupleIJPlS6_EEENSJ_IJSD_SD_EEES6_SK_JS6_EEE10hipError_tPvRmT3_T4_T5_T6_T7_T9_mT8_P12ihipStream_tbDpT10_ENKUlT_T0_E_clISt17integral_constantIbLb0EES15_IbLb1EEEEDaS11_S12_EUlS11_E_NS1_11comp_targetILNS1_3genE2ELNS1_11target_archE906ELNS1_3gpuE6ELNS1_3repE0EEENS1_30default_config_static_selectorELNS0_4arch9wavefront6targetE0EEEvT1_
                                        ; -- End function
	.section	.AMDGPU.csdata,"",@progbits
; Kernel info:
; codeLenInByte = 0
; NumSgprs: 0
; NumVgprs: 0
; ScratchSize: 0
; MemoryBound: 0
; FloatMode: 240
; IeeeMode: 1
; LDSByteSize: 0 bytes/workgroup (compile time only)
; SGPRBlocks: 0
; VGPRBlocks: 0
; NumSGPRsForWavesPerEU: 1
; NumVGPRsForWavesPerEU: 1
; Occupancy: 16
; WaveLimiterHint : 0
; COMPUTE_PGM_RSRC2:SCRATCH_EN: 0
; COMPUTE_PGM_RSRC2:USER_SGPR: 15
; COMPUTE_PGM_RSRC2:TRAP_HANDLER: 0
; COMPUTE_PGM_RSRC2:TGID_X_EN: 1
; COMPUTE_PGM_RSRC2:TGID_Y_EN: 0
; COMPUTE_PGM_RSRC2:TGID_Z_EN: 0
; COMPUTE_PGM_RSRC2:TIDIG_COMP_CNT: 0
	.section	.text._ZN7rocprim17ROCPRIM_400000_NS6detail17trampoline_kernelINS0_14default_configENS1_25partition_config_selectorILNS1_17partition_subalgoE5ElNS0_10empty_typeEbEEZZNS1_14partition_implILS5_5ELb0ES3_mN6hipcub16HIPCUB_304000_NS21CountingInputIteratorIllEEPS6_NSA_22TransformInputIteratorIb7NonZeroIdEPdlEENS0_5tupleIJPlS6_EEENSJ_IJSD_SD_EEES6_SK_JS6_EEE10hipError_tPvRmT3_T4_T5_T6_T7_T9_mT8_P12ihipStream_tbDpT10_ENKUlT_T0_E_clISt17integral_constantIbLb0EES15_IbLb1EEEEDaS11_S12_EUlS11_E_NS1_11comp_targetILNS1_3genE10ELNS1_11target_archE1200ELNS1_3gpuE4ELNS1_3repE0EEENS1_30default_config_static_selectorELNS0_4arch9wavefront6targetE0EEEvT1_,"axG",@progbits,_ZN7rocprim17ROCPRIM_400000_NS6detail17trampoline_kernelINS0_14default_configENS1_25partition_config_selectorILNS1_17partition_subalgoE5ElNS0_10empty_typeEbEEZZNS1_14partition_implILS5_5ELb0ES3_mN6hipcub16HIPCUB_304000_NS21CountingInputIteratorIllEEPS6_NSA_22TransformInputIteratorIb7NonZeroIdEPdlEENS0_5tupleIJPlS6_EEENSJ_IJSD_SD_EEES6_SK_JS6_EEE10hipError_tPvRmT3_T4_T5_T6_T7_T9_mT8_P12ihipStream_tbDpT10_ENKUlT_T0_E_clISt17integral_constantIbLb0EES15_IbLb1EEEEDaS11_S12_EUlS11_E_NS1_11comp_targetILNS1_3genE10ELNS1_11target_archE1200ELNS1_3gpuE4ELNS1_3repE0EEENS1_30default_config_static_selectorELNS0_4arch9wavefront6targetE0EEEvT1_,comdat
	.protected	_ZN7rocprim17ROCPRIM_400000_NS6detail17trampoline_kernelINS0_14default_configENS1_25partition_config_selectorILNS1_17partition_subalgoE5ElNS0_10empty_typeEbEEZZNS1_14partition_implILS5_5ELb0ES3_mN6hipcub16HIPCUB_304000_NS21CountingInputIteratorIllEEPS6_NSA_22TransformInputIteratorIb7NonZeroIdEPdlEENS0_5tupleIJPlS6_EEENSJ_IJSD_SD_EEES6_SK_JS6_EEE10hipError_tPvRmT3_T4_T5_T6_T7_T9_mT8_P12ihipStream_tbDpT10_ENKUlT_T0_E_clISt17integral_constantIbLb0EES15_IbLb1EEEEDaS11_S12_EUlS11_E_NS1_11comp_targetILNS1_3genE10ELNS1_11target_archE1200ELNS1_3gpuE4ELNS1_3repE0EEENS1_30default_config_static_selectorELNS0_4arch9wavefront6targetE0EEEvT1_ ; -- Begin function _ZN7rocprim17ROCPRIM_400000_NS6detail17trampoline_kernelINS0_14default_configENS1_25partition_config_selectorILNS1_17partition_subalgoE5ElNS0_10empty_typeEbEEZZNS1_14partition_implILS5_5ELb0ES3_mN6hipcub16HIPCUB_304000_NS21CountingInputIteratorIllEEPS6_NSA_22TransformInputIteratorIb7NonZeroIdEPdlEENS0_5tupleIJPlS6_EEENSJ_IJSD_SD_EEES6_SK_JS6_EEE10hipError_tPvRmT3_T4_T5_T6_T7_T9_mT8_P12ihipStream_tbDpT10_ENKUlT_T0_E_clISt17integral_constantIbLb0EES15_IbLb1EEEEDaS11_S12_EUlS11_E_NS1_11comp_targetILNS1_3genE10ELNS1_11target_archE1200ELNS1_3gpuE4ELNS1_3repE0EEENS1_30default_config_static_selectorELNS0_4arch9wavefront6targetE0EEEvT1_
	.globl	_ZN7rocprim17ROCPRIM_400000_NS6detail17trampoline_kernelINS0_14default_configENS1_25partition_config_selectorILNS1_17partition_subalgoE5ElNS0_10empty_typeEbEEZZNS1_14partition_implILS5_5ELb0ES3_mN6hipcub16HIPCUB_304000_NS21CountingInputIteratorIllEEPS6_NSA_22TransformInputIteratorIb7NonZeroIdEPdlEENS0_5tupleIJPlS6_EEENSJ_IJSD_SD_EEES6_SK_JS6_EEE10hipError_tPvRmT3_T4_T5_T6_T7_T9_mT8_P12ihipStream_tbDpT10_ENKUlT_T0_E_clISt17integral_constantIbLb0EES15_IbLb1EEEEDaS11_S12_EUlS11_E_NS1_11comp_targetILNS1_3genE10ELNS1_11target_archE1200ELNS1_3gpuE4ELNS1_3repE0EEENS1_30default_config_static_selectorELNS0_4arch9wavefront6targetE0EEEvT1_
	.p2align	8
	.type	_ZN7rocprim17ROCPRIM_400000_NS6detail17trampoline_kernelINS0_14default_configENS1_25partition_config_selectorILNS1_17partition_subalgoE5ElNS0_10empty_typeEbEEZZNS1_14partition_implILS5_5ELb0ES3_mN6hipcub16HIPCUB_304000_NS21CountingInputIteratorIllEEPS6_NSA_22TransformInputIteratorIb7NonZeroIdEPdlEENS0_5tupleIJPlS6_EEENSJ_IJSD_SD_EEES6_SK_JS6_EEE10hipError_tPvRmT3_T4_T5_T6_T7_T9_mT8_P12ihipStream_tbDpT10_ENKUlT_T0_E_clISt17integral_constantIbLb0EES15_IbLb1EEEEDaS11_S12_EUlS11_E_NS1_11comp_targetILNS1_3genE10ELNS1_11target_archE1200ELNS1_3gpuE4ELNS1_3repE0EEENS1_30default_config_static_selectorELNS0_4arch9wavefront6targetE0EEEvT1_,@function
_ZN7rocprim17ROCPRIM_400000_NS6detail17trampoline_kernelINS0_14default_configENS1_25partition_config_selectorILNS1_17partition_subalgoE5ElNS0_10empty_typeEbEEZZNS1_14partition_implILS5_5ELb0ES3_mN6hipcub16HIPCUB_304000_NS21CountingInputIteratorIllEEPS6_NSA_22TransformInputIteratorIb7NonZeroIdEPdlEENS0_5tupleIJPlS6_EEENSJ_IJSD_SD_EEES6_SK_JS6_EEE10hipError_tPvRmT3_T4_T5_T6_T7_T9_mT8_P12ihipStream_tbDpT10_ENKUlT_T0_E_clISt17integral_constantIbLb0EES15_IbLb1EEEEDaS11_S12_EUlS11_E_NS1_11comp_targetILNS1_3genE10ELNS1_11target_archE1200ELNS1_3gpuE4ELNS1_3repE0EEENS1_30default_config_static_selectorELNS0_4arch9wavefront6targetE0EEEvT1_: ; @_ZN7rocprim17ROCPRIM_400000_NS6detail17trampoline_kernelINS0_14default_configENS1_25partition_config_selectorILNS1_17partition_subalgoE5ElNS0_10empty_typeEbEEZZNS1_14partition_implILS5_5ELb0ES3_mN6hipcub16HIPCUB_304000_NS21CountingInputIteratorIllEEPS6_NSA_22TransformInputIteratorIb7NonZeroIdEPdlEENS0_5tupleIJPlS6_EEENSJ_IJSD_SD_EEES6_SK_JS6_EEE10hipError_tPvRmT3_T4_T5_T6_T7_T9_mT8_P12ihipStream_tbDpT10_ENKUlT_T0_E_clISt17integral_constantIbLb0EES15_IbLb1EEEEDaS11_S12_EUlS11_E_NS1_11comp_targetILNS1_3genE10ELNS1_11target_archE1200ELNS1_3gpuE4ELNS1_3repE0EEENS1_30default_config_static_selectorELNS0_4arch9wavefront6targetE0EEEvT1_
; %bb.0:
	.section	.rodata,"a",@progbits
	.p2align	6, 0x0
	.amdhsa_kernel _ZN7rocprim17ROCPRIM_400000_NS6detail17trampoline_kernelINS0_14default_configENS1_25partition_config_selectorILNS1_17partition_subalgoE5ElNS0_10empty_typeEbEEZZNS1_14partition_implILS5_5ELb0ES3_mN6hipcub16HIPCUB_304000_NS21CountingInputIteratorIllEEPS6_NSA_22TransformInputIteratorIb7NonZeroIdEPdlEENS0_5tupleIJPlS6_EEENSJ_IJSD_SD_EEES6_SK_JS6_EEE10hipError_tPvRmT3_T4_T5_T6_T7_T9_mT8_P12ihipStream_tbDpT10_ENKUlT_T0_E_clISt17integral_constantIbLb0EES15_IbLb1EEEEDaS11_S12_EUlS11_E_NS1_11comp_targetILNS1_3genE10ELNS1_11target_archE1200ELNS1_3gpuE4ELNS1_3repE0EEENS1_30default_config_static_selectorELNS0_4arch9wavefront6targetE0EEEvT1_
		.amdhsa_group_segment_fixed_size 0
		.amdhsa_private_segment_fixed_size 0
		.amdhsa_kernarg_size 136
		.amdhsa_user_sgpr_count 15
		.amdhsa_user_sgpr_dispatch_ptr 0
		.amdhsa_user_sgpr_queue_ptr 0
		.amdhsa_user_sgpr_kernarg_segment_ptr 1
		.amdhsa_user_sgpr_dispatch_id 0
		.amdhsa_user_sgpr_private_segment_size 0
		.amdhsa_wavefront_size32 1
		.amdhsa_uses_dynamic_stack 0
		.amdhsa_enable_private_segment 0
		.amdhsa_system_sgpr_workgroup_id_x 1
		.amdhsa_system_sgpr_workgroup_id_y 0
		.amdhsa_system_sgpr_workgroup_id_z 0
		.amdhsa_system_sgpr_workgroup_info 0
		.amdhsa_system_vgpr_workitem_id 0
		.amdhsa_next_free_vgpr 1
		.amdhsa_next_free_sgpr 1
		.amdhsa_reserve_vcc 0
		.amdhsa_float_round_mode_32 0
		.amdhsa_float_round_mode_16_64 0
		.amdhsa_float_denorm_mode_32 3
		.amdhsa_float_denorm_mode_16_64 3
		.amdhsa_dx10_clamp 1
		.amdhsa_ieee_mode 1
		.amdhsa_fp16_overflow 0
		.amdhsa_workgroup_processor_mode 1
		.amdhsa_memory_ordered 1
		.amdhsa_forward_progress 0
		.amdhsa_shared_vgpr_count 0
		.amdhsa_exception_fp_ieee_invalid_op 0
		.amdhsa_exception_fp_denorm_src 0
		.amdhsa_exception_fp_ieee_div_zero 0
		.amdhsa_exception_fp_ieee_overflow 0
		.amdhsa_exception_fp_ieee_underflow 0
		.amdhsa_exception_fp_ieee_inexact 0
		.amdhsa_exception_int_div_zero 0
	.end_amdhsa_kernel
	.section	.text._ZN7rocprim17ROCPRIM_400000_NS6detail17trampoline_kernelINS0_14default_configENS1_25partition_config_selectorILNS1_17partition_subalgoE5ElNS0_10empty_typeEbEEZZNS1_14partition_implILS5_5ELb0ES3_mN6hipcub16HIPCUB_304000_NS21CountingInputIteratorIllEEPS6_NSA_22TransformInputIteratorIb7NonZeroIdEPdlEENS0_5tupleIJPlS6_EEENSJ_IJSD_SD_EEES6_SK_JS6_EEE10hipError_tPvRmT3_T4_T5_T6_T7_T9_mT8_P12ihipStream_tbDpT10_ENKUlT_T0_E_clISt17integral_constantIbLb0EES15_IbLb1EEEEDaS11_S12_EUlS11_E_NS1_11comp_targetILNS1_3genE10ELNS1_11target_archE1200ELNS1_3gpuE4ELNS1_3repE0EEENS1_30default_config_static_selectorELNS0_4arch9wavefront6targetE0EEEvT1_,"axG",@progbits,_ZN7rocprim17ROCPRIM_400000_NS6detail17trampoline_kernelINS0_14default_configENS1_25partition_config_selectorILNS1_17partition_subalgoE5ElNS0_10empty_typeEbEEZZNS1_14partition_implILS5_5ELb0ES3_mN6hipcub16HIPCUB_304000_NS21CountingInputIteratorIllEEPS6_NSA_22TransformInputIteratorIb7NonZeroIdEPdlEENS0_5tupleIJPlS6_EEENSJ_IJSD_SD_EEES6_SK_JS6_EEE10hipError_tPvRmT3_T4_T5_T6_T7_T9_mT8_P12ihipStream_tbDpT10_ENKUlT_T0_E_clISt17integral_constantIbLb0EES15_IbLb1EEEEDaS11_S12_EUlS11_E_NS1_11comp_targetILNS1_3genE10ELNS1_11target_archE1200ELNS1_3gpuE4ELNS1_3repE0EEENS1_30default_config_static_selectorELNS0_4arch9wavefront6targetE0EEEvT1_,comdat
.Lfunc_end350:
	.size	_ZN7rocprim17ROCPRIM_400000_NS6detail17trampoline_kernelINS0_14default_configENS1_25partition_config_selectorILNS1_17partition_subalgoE5ElNS0_10empty_typeEbEEZZNS1_14partition_implILS5_5ELb0ES3_mN6hipcub16HIPCUB_304000_NS21CountingInputIteratorIllEEPS6_NSA_22TransformInputIteratorIb7NonZeroIdEPdlEENS0_5tupleIJPlS6_EEENSJ_IJSD_SD_EEES6_SK_JS6_EEE10hipError_tPvRmT3_T4_T5_T6_T7_T9_mT8_P12ihipStream_tbDpT10_ENKUlT_T0_E_clISt17integral_constantIbLb0EES15_IbLb1EEEEDaS11_S12_EUlS11_E_NS1_11comp_targetILNS1_3genE10ELNS1_11target_archE1200ELNS1_3gpuE4ELNS1_3repE0EEENS1_30default_config_static_selectorELNS0_4arch9wavefront6targetE0EEEvT1_, .Lfunc_end350-_ZN7rocprim17ROCPRIM_400000_NS6detail17trampoline_kernelINS0_14default_configENS1_25partition_config_selectorILNS1_17partition_subalgoE5ElNS0_10empty_typeEbEEZZNS1_14partition_implILS5_5ELb0ES3_mN6hipcub16HIPCUB_304000_NS21CountingInputIteratorIllEEPS6_NSA_22TransformInputIteratorIb7NonZeroIdEPdlEENS0_5tupleIJPlS6_EEENSJ_IJSD_SD_EEES6_SK_JS6_EEE10hipError_tPvRmT3_T4_T5_T6_T7_T9_mT8_P12ihipStream_tbDpT10_ENKUlT_T0_E_clISt17integral_constantIbLb0EES15_IbLb1EEEEDaS11_S12_EUlS11_E_NS1_11comp_targetILNS1_3genE10ELNS1_11target_archE1200ELNS1_3gpuE4ELNS1_3repE0EEENS1_30default_config_static_selectorELNS0_4arch9wavefront6targetE0EEEvT1_
                                        ; -- End function
	.section	.AMDGPU.csdata,"",@progbits
; Kernel info:
; codeLenInByte = 0
; NumSgprs: 0
; NumVgprs: 0
; ScratchSize: 0
; MemoryBound: 0
; FloatMode: 240
; IeeeMode: 1
; LDSByteSize: 0 bytes/workgroup (compile time only)
; SGPRBlocks: 0
; VGPRBlocks: 0
; NumSGPRsForWavesPerEU: 1
; NumVGPRsForWavesPerEU: 1
; Occupancy: 16
; WaveLimiterHint : 0
; COMPUTE_PGM_RSRC2:SCRATCH_EN: 0
; COMPUTE_PGM_RSRC2:USER_SGPR: 15
; COMPUTE_PGM_RSRC2:TRAP_HANDLER: 0
; COMPUTE_PGM_RSRC2:TGID_X_EN: 1
; COMPUTE_PGM_RSRC2:TGID_Y_EN: 0
; COMPUTE_PGM_RSRC2:TGID_Z_EN: 0
; COMPUTE_PGM_RSRC2:TIDIG_COMP_CNT: 0
	.section	.text._ZN7rocprim17ROCPRIM_400000_NS6detail17trampoline_kernelINS0_14default_configENS1_25partition_config_selectorILNS1_17partition_subalgoE5ElNS0_10empty_typeEbEEZZNS1_14partition_implILS5_5ELb0ES3_mN6hipcub16HIPCUB_304000_NS21CountingInputIteratorIllEEPS6_NSA_22TransformInputIteratorIb7NonZeroIdEPdlEENS0_5tupleIJPlS6_EEENSJ_IJSD_SD_EEES6_SK_JS6_EEE10hipError_tPvRmT3_T4_T5_T6_T7_T9_mT8_P12ihipStream_tbDpT10_ENKUlT_T0_E_clISt17integral_constantIbLb0EES15_IbLb1EEEEDaS11_S12_EUlS11_E_NS1_11comp_targetILNS1_3genE9ELNS1_11target_archE1100ELNS1_3gpuE3ELNS1_3repE0EEENS1_30default_config_static_selectorELNS0_4arch9wavefront6targetE0EEEvT1_,"axG",@progbits,_ZN7rocprim17ROCPRIM_400000_NS6detail17trampoline_kernelINS0_14default_configENS1_25partition_config_selectorILNS1_17partition_subalgoE5ElNS0_10empty_typeEbEEZZNS1_14partition_implILS5_5ELb0ES3_mN6hipcub16HIPCUB_304000_NS21CountingInputIteratorIllEEPS6_NSA_22TransformInputIteratorIb7NonZeroIdEPdlEENS0_5tupleIJPlS6_EEENSJ_IJSD_SD_EEES6_SK_JS6_EEE10hipError_tPvRmT3_T4_T5_T6_T7_T9_mT8_P12ihipStream_tbDpT10_ENKUlT_T0_E_clISt17integral_constantIbLb0EES15_IbLb1EEEEDaS11_S12_EUlS11_E_NS1_11comp_targetILNS1_3genE9ELNS1_11target_archE1100ELNS1_3gpuE3ELNS1_3repE0EEENS1_30default_config_static_selectorELNS0_4arch9wavefront6targetE0EEEvT1_,comdat
	.protected	_ZN7rocprim17ROCPRIM_400000_NS6detail17trampoline_kernelINS0_14default_configENS1_25partition_config_selectorILNS1_17partition_subalgoE5ElNS0_10empty_typeEbEEZZNS1_14partition_implILS5_5ELb0ES3_mN6hipcub16HIPCUB_304000_NS21CountingInputIteratorIllEEPS6_NSA_22TransformInputIteratorIb7NonZeroIdEPdlEENS0_5tupleIJPlS6_EEENSJ_IJSD_SD_EEES6_SK_JS6_EEE10hipError_tPvRmT3_T4_T5_T6_T7_T9_mT8_P12ihipStream_tbDpT10_ENKUlT_T0_E_clISt17integral_constantIbLb0EES15_IbLb1EEEEDaS11_S12_EUlS11_E_NS1_11comp_targetILNS1_3genE9ELNS1_11target_archE1100ELNS1_3gpuE3ELNS1_3repE0EEENS1_30default_config_static_selectorELNS0_4arch9wavefront6targetE0EEEvT1_ ; -- Begin function _ZN7rocprim17ROCPRIM_400000_NS6detail17trampoline_kernelINS0_14default_configENS1_25partition_config_selectorILNS1_17partition_subalgoE5ElNS0_10empty_typeEbEEZZNS1_14partition_implILS5_5ELb0ES3_mN6hipcub16HIPCUB_304000_NS21CountingInputIteratorIllEEPS6_NSA_22TransformInputIteratorIb7NonZeroIdEPdlEENS0_5tupleIJPlS6_EEENSJ_IJSD_SD_EEES6_SK_JS6_EEE10hipError_tPvRmT3_T4_T5_T6_T7_T9_mT8_P12ihipStream_tbDpT10_ENKUlT_T0_E_clISt17integral_constantIbLb0EES15_IbLb1EEEEDaS11_S12_EUlS11_E_NS1_11comp_targetILNS1_3genE9ELNS1_11target_archE1100ELNS1_3gpuE3ELNS1_3repE0EEENS1_30default_config_static_selectorELNS0_4arch9wavefront6targetE0EEEvT1_
	.globl	_ZN7rocprim17ROCPRIM_400000_NS6detail17trampoline_kernelINS0_14default_configENS1_25partition_config_selectorILNS1_17partition_subalgoE5ElNS0_10empty_typeEbEEZZNS1_14partition_implILS5_5ELb0ES3_mN6hipcub16HIPCUB_304000_NS21CountingInputIteratorIllEEPS6_NSA_22TransformInputIteratorIb7NonZeroIdEPdlEENS0_5tupleIJPlS6_EEENSJ_IJSD_SD_EEES6_SK_JS6_EEE10hipError_tPvRmT3_T4_T5_T6_T7_T9_mT8_P12ihipStream_tbDpT10_ENKUlT_T0_E_clISt17integral_constantIbLb0EES15_IbLb1EEEEDaS11_S12_EUlS11_E_NS1_11comp_targetILNS1_3genE9ELNS1_11target_archE1100ELNS1_3gpuE3ELNS1_3repE0EEENS1_30default_config_static_selectorELNS0_4arch9wavefront6targetE0EEEvT1_
	.p2align	8
	.type	_ZN7rocprim17ROCPRIM_400000_NS6detail17trampoline_kernelINS0_14default_configENS1_25partition_config_selectorILNS1_17partition_subalgoE5ElNS0_10empty_typeEbEEZZNS1_14partition_implILS5_5ELb0ES3_mN6hipcub16HIPCUB_304000_NS21CountingInputIteratorIllEEPS6_NSA_22TransformInputIteratorIb7NonZeroIdEPdlEENS0_5tupleIJPlS6_EEENSJ_IJSD_SD_EEES6_SK_JS6_EEE10hipError_tPvRmT3_T4_T5_T6_T7_T9_mT8_P12ihipStream_tbDpT10_ENKUlT_T0_E_clISt17integral_constantIbLb0EES15_IbLb1EEEEDaS11_S12_EUlS11_E_NS1_11comp_targetILNS1_3genE9ELNS1_11target_archE1100ELNS1_3gpuE3ELNS1_3repE0EEENS1_30default_config_static_selectorELNS0_4arch9wavefront6targetE0EEEvT1_,@function
_ZN7rocprim17ROCPRIM_400000_NS6detail17trampoline_kernelINS0_14default_configENS1_25partition_config_selectorILNS1_17partition_subalgoE5ElNS0_10empty_typeEbEEZZNS1_14partition_implILS5_5ELb0ES3_mN6hipcub16HIPCUB_304000_NS21CountingInputIteratorIllEEPS6_NSA_22TransformInputIteratorIb7NonZeroIdEPdlEENS0_5tupleIJPlS6_EEENSJ_IJSD_SD_EEES6_SK_JS6_EEE10hipError_tPvRmT3_T4_T5_T6_T7_T9_mT8_P12ihipStream_tbDpT10_ENKUlT_T0_E_clISt17integral_constantIbLb0EES15_IbLb1EEEEDaS11_S12_EUlS11_E_NS1_11comp_targetILNS1_3genE9ELNS1_11target_archE1100ELNS1_3gpuE3ELNS1_3repE0EEENS1_30default_config_static_selectorELNS0_4arch9wavefront6targetE0EEEvT1_: ; @_ZN7rocprim17ROCPRIM_400000_NS6detail17trampoline_kernelINS0_14default_configENS1_25partition_config_selectorILNS1_17partition_subalgoE5ElNS0_10empty_typeEbEEZZNS1_14partition_implILS5_5ELb0ES3_mN6hipcub16HIPCUB_304000_NS21CountingInputIteratorIllEEPS6_NSA_22TransformInputIteratorIb7NonZeroIdEPdlEENS0_5tupleIJPlS6_EEENSJ_IJSD_SD_EEES6_SK_JS6_EEE10hipError_tPvRmT3_T4_T5_T6_T7_T9_mT8_P12ihipStream_tbDpT10_ENKUlT_T0_E_clISt17integral_constantIbLb0EES15_IbLb1EEEEDaS11_S12_EUlS11_E_NS1_11comp_targetILNS1_3genE9ELNS1_11target_archE1100ELNS1_3gpuE3ELNS1_3repE0EEENS1_30default_config_static_selectorELNS0_4arch9wavefront6targetE0EEEvT1_
; %bb.0:
	s_clause 0x4
	s_load_b64 s[18:19], s[0:1], 0x20
	s_load_b64 s[12:13], s[0:1], 0x30
	;; [unrolled: 1-line block ×3, first 2 shown]
	s_load_b128 s[4:7], s[0:1], 0x48
	s_load_b64 s[14:15], s[0:1], 0x68
	v_cmp_eq_u32_e64 s2, 0, v0
	s_delay_alu instid0(VALU_DEP_1)
	s_and_saveexec_b32 s3, s2
	s_cbranch_execz .LBB351_4
; %bb.1:
	s_mov_b32 s9, exec_lo
	s_mov_b32 s8, exec_lo
	v_mbcnt_lo_u32_b32 v1, s9, 0
                                        ; implicit-def: $vgpr2
	s_delay_alu instid0(VALU_DEP_1)
	v_cmpx_eq_u32_e32 0, v1
	s_cbranch_execz .LBB351_3
; %bb.2:
	s_load_b64 s[10:11], s[0:1], 0x78
	s_bcnt1_i32_b32 s9, s9
	s_delay_alu instid0(SALU_CYCLE_1)
	v_dual_mov_b32 v2, 0 :: v_dual_mov_b32 v3, s9
	s_waitcnt lgkmcnt(0)
	global_atomic_add_u32 v2, v2, v3, s[10:11] glc
.LBB351_3:
	s_or_b32 exec_lo, exec_lo, s8
	s_waitcnt vmcnt(0)
	v_readfirstlane_b32 s8, v2
	s_delay_alu instid0(VALU_DEP_1)
	v_dual_mov_b32 v2, 0 :: v_dual_add_nc_u32 v1, s8, v1
	ds_store_b32 v2, v1
.LBB351_4:
	s_or_b32 exec_lo, exec_lo, s3
	v_mov_b32_e32 v1, 0
	s_clause 0x1
	s_load_b128 s[8:11], s[0:1], 0x8
	s_load_b32 s0, s[0:1], 0x70
	s_waitcnt lgkmcnt(0)
	s_barrier
	buffer_gl0_inv
	ds_load_b32 v3, v1
	s_waitcnt lgkmcnt(0)
	s_barrier
	buffer_gl0_inv
	global_load_b64 v[1:2], v1, s[6:7]
	s_add_u32 s21, s10, s8
	s_mul_i32 s20, s0, 0x300
	s_addc_u32 s22, s11, s9
	s_add_i32 s3, s0, -1
	s_add_u32 s0, s10, s20
	v_readfirstlane_b32 s9, v3
	s_addc_u32 s1, s11, 0
	s_delay_alu instid0(SALU_CYCLE_1) | instskip(SKIP_1) | instid1(VALU_DEP_2)
	v_cmp_ge_u64_e64 s0, s[0:1], s[16:17]
	s_mov_b32 s17, -1
	s_cmp_eq_u32 s9, s3
	s_cselect_b32 s3, -1, 0
	s_delay_alu instid0(VALU_DEP_1) | instid1(SALU_CYCLE_1)
	s_and_b32 s1, s0, s3
	s_mul_i32 s0, s9, 0x300
	s_xor_b32 s8, s1, -1
	s_mov_b32 s1, 0
	s_and_b32 vcc_lo, exec_lo, s8
	s_waitcnt vmcnt(0)
	v_readfirstlane_b32 s6, v1
	v_readfirstlane_b32 s7, v2
	s_cbranch_vccz .LBB351_6
; %bb.5:
	s_add_u32 s17, s0, s21
	s_addc_u32 s23, 0, s22
	v_add_co_u32 v1, s17, s17, v0
	s_delay_alu instid0(VALU_DEP_1) | instskip(SKIP_1) | instid1(VALU_DEP_3)
	v_add_co_ci_u32_e64 v2, null, s23, 0, s17
	v_lshlrev_b32_e32 v13, 3, v0
	v_add_co_u32 v3, vcc_lo, 0x80, v1
	s_delay_alu instid0(VALU_DEP_3)
	v_add_co_ci_u32_e32 v4, vcc_lo, 0, v2, vcc_lo
	v_add_co_u32 v5, vcc_lo, 0x100, v1
	v_add_co_ci_u32_e32 v6, vcc_lo, 0, v2, vcc_lo
	v_add_co_u32 v7, vcc_lo, 0x180, v1
	;; [unrolled: 2-line block ×4, first 2 shown]
	v_add_co_ci_u32_e32 v12, vcc_lo, 0, v2, vcc_lo
	ds_store_2addr_stride64_b64 v13, v[1:2], v[3:4] offset1:2
	ds_store_2addr_stride64_b64 v13, v[5:6], v[7:8] offset0:4 offset1:6
	ds_store_2addr_stride64_b64 v13, v[9:10], v[11:12] offset0:8 offset1:10
	s_waitcnt lgkmcnt(0)
	s_mov_b32 s17, s1
	s_barrier
.LBB351_6:
	v_or_b32_e32 v17, 0x100, v0
	v_or_b32_e32 v16, 0x180, v0
	;; [unrolled: 1-line block ×4, first 2 shown]
	s_and_not1_b32 vcc_lo, exec_lo, s17
	s_cbranch_vccnz .LBB351_8
; %bb.7:
	v_or_b32_e32 v3, 0x80, v0
	s_add_u32 s17, s21, s0
	s_addc_u32 s21, s22, 0
	v_add_co_u32 v1, s22, s17, v0
	s_delay_alu instid0(VALU_DEP_1) | instskip(SKIP_1) | instid1(VALU_DEP_1)
	v_add_co_ci_u32_e64 v2, null, s21, 0, s22
	v_add_co_u32 v3, s22, s17, v3
	v_add_co_ci_u32_e64 v4, null, s21, 0, s22
	v_add_co_u32 v5, s22, s17, v17
	s_delay_alu instid0(VALU_DEP_1) | instskip(SKIP_1) | instid1(VALU_DEP_1)
	v_add_co_ci_u32_e64 v6, null, s21, 0, s22
	v_add_co_u32 v7, s22, s17, v16
	v_add_co_ci_u32_e64 v8, null, s21, 0, s22
	v_add_co_u32 v9, s22, s17, v14
	v_lshlrev_b32_e32 v15, 3, v0
	v_add_co_u32 v11, s17, s17, v13
	v_add_co_ci_u32_e64 v10, null, s21, 0, s22
	v_add_co_ci_u32_e64 v12, null, s21, 0, s17
	ds_store_2addr_stride64_b64 v15, v[1:2], v[3:4] offset1:2
	ds_store_2addr_stride64_b64 v15, v[5:6], v[7:8] offset0:4 offset1:6
	ds_store_2addr_stride64_b64 v15, v[9:10], v[11:12] offset0:8 offset1:10
	s_waitcnt lgkmcnt(0)
	s_barrier
.LBB351_8:
	v_mul_u32_u24_e32 v1, 6, v0
	buffer_gl0_inv
	s_lshl_b64 s[22:23], s[10:11], 3
	s_delay_alu instid0(SALU_CYCLE_1)
	s_add_u32 s11, s18, s22
	v_lshlrev_b32_e32 v15, 3, v1
	s_addc_u32 s17, s19, s23
	s_lshl_b64 s[0:1], s[0:1], 3
	ds_load_b128 v[9:12], v15
	ds_load_b128 v[5:8], v15 offset:16
	ds_load_b128 v[1:4], v15 offset:32
	s_add_u32 s0, s11, s0
	s_addc_u32 s1, s17, s1
	s_and_b32 vcc_lo, exec_lo, s8
	s_mov_b32 s11, -1
	s_waitcnt lgkmcnt(0)
	s_barrier
	buffer_gl0_inv
	s_cbranch_vccz .LBB351_10
; %bb.9:
	v_lshlrev_b32_e32 v26, 3, v0
	s_clause 0x1
	global_load_b64 v[18:19], v26, s[0:1]
	global_load_b64 v[20:21], v26, s[0:1] offset:1024
	v_add_co_u32 v22, s11, s0, v26
	s_delay_alu instid0(VALU_DEP_1) | instskip(SKIP_1) | instid1(VALU_DEP_2)
	v_add_co_ci_u32_e64 v23, null, s1, 0, s11
	s_mov_b32 s11, 0
	v_add_co_u32 v22, vcc_lo, 0x1000, v22
	s_delay_alu instid0(VALU_DEP_2)
	v_add_co_ci_u32_e32 v23, vcc_lo, 0, v23, vcc_lo
	s_clause 0x3
	global_load_b64 v[24:25], v26, s[0:1] offset:2048
	global_load_b64 v[26:27], v26, s[0:1] offset:3072
	global_load_b64 v[28:29], v[22:23], off
	global_load_b64 v[22:23], v[22:23], off offset:1024
	s_waitcnt vmcnt(5)
	v_cmp_neq_f64_e32 vcc_lo, 0, v[18:19]
	v_cndmask_b32_e64 v18, 0, 1, vcc_lo
	s_waitcnt vmcnt(4)
	v_cmp_neq_f64_e32 vcc_lo, 0, v[20:21]
	v_cndmask_b32_e64 v19, 0, 1, vcc_lo
	;; [unrolled: 3-line block ×6, first 2 shown]
	ds_store_b8 v0, v18
	ds_store_b8 v0, v19 offset:128
	ds_store_b8 v0, v20 offset:256
	;; [unrolled: 1-line block ×5, first 2 shown]
	s_waitcnt lgkmcnt(0)
	s_barrier
.LBB351_10:
	s_and_not1_b32 vcc_lo, exec_lo, s11
	s_cbranch_vccnz .LBB351_24
; %bb.11:
	s_add_i32 s20, s20, s10
	v_dual_mov_b32 v18, 0 :: v_dual_mov_b32 v19, 0
	s_sub_i32 s10, s16, s20
	s_mov_b32 s11, exec_lo
	s_addk_i32 s10, 0x300
	s_delay_alu instid0(SALU_CYCLE_1)
	v_cmpx_gt_u32_e64 s10, v0
	s_cbranch_execz .LBB351_13
; %bb.12:
	v_lshlrev_b32_e32 v19, 3, v0
	global_load_b64 v[19:20], v19, s[0:1]
	s_waitcnt vmcnt(0)
	v_cmp_neq_f64_e32 vcc_lo, 0, v[19:20]
	v_cndmask_b32_e64 v19, 0, 1, vcc_lo
.LBB351_13:
	s_or_b32 exec_lo, exec_lo, s11
	v_or_b32_e32 v20, 0x80, v0
	s_mov_b32 s11, exec_lo
	s_delay_alu instid0(VALU_DEP_1)
	v_cmpx_gt_u32_e64 s10, v20
	s_cbranch_execz .LBB351_15
; %bb.14:
	v_lshlrev_b32_e32 v18, 3, v0
	global_load_b64 v[20:21], v18, s[0:1] offset:1024
	s_waitcnt vmcnt(0)
	v_cmp_neq_f64_e32 vcc_lo, 0, v[20:21]
	v_cndmask_b32_e64 v18, 0, 1, vcc_lo
.LBB351_15:
	s_or_b32 exec_lo, exec_lo, s11
	v_cmp_gt_u32_e32 vcc_lo, s10, v17
	v_dual_mov_b32 v17, 0 :: v_dual_mov_b32 v20, 0
	s_and_saveexec_b32 s11, vcc_lo
	s_cbranch_execz .LBB351_17
; %bb.16:
	v_lshlrev_b32_e32 v20, 3, v0
	global_load_b64 v[20:21], v20, s[0:1] offset:2048
	s_waitcnt vmcnt(0)
	v_cmp_neq_f64_e32 vcc_lo, 0, v[20:21]
	v_cndmask_b32_e64 v20, 0, 1, vcc_lo
.LBB351_17:
	s_or_b32 exec_lo, exec_lo, s11
	s_delay_alu instid0(SALU_CYCLE_1)
	s_mov_b32 s11, exec_lo
	v_cmpx_gt_u32_e64 s10, v16
	s_cbranch_execz .LBB351_19
; %bb.18:
	v_lshlrev_b32_e32 v16, 3, v0
	global_load_b64 v[16:17], v16, s[0:1] offset:3072
	s_waitcnt vmcnt(0)
	v_cmp_neq_f64_e32 vcc_lo, 0, v[16:17]
	v_cndmask_b32_e64 v17, 0, 1, vcc_lo
.LBB351_19:
	s_or_b32 exec_lo, exec_lo, s11
	v_dual_mov_b32 v16, 0 :: v_dual_mov_b32 v21, 0
	s_mov_b32 s11, exec_lo
	v_cmpx_gt_u32_e64 s10, v14
	s_cbranch_execz .LBB351_21
; %bb.20:
	v_lshlrev_b32_e32 v14, 3, v14
	global_load_b64 v[21:22], v14, s[0:1]
	s_waitcnt vmcnt(0)
	v_cmp_neq_f64_e32 vcc_lo, 0, v[21:22]
	v_cndmask_b32_e64 v21, 0, 1, vcc_lo
.LBB351_21:
	s_or_b32 exec_lo, exec_lo, s11
	v_cmp_gt_u32_e32 vcc_lo, s10, v13
	s_and_saveexec_b32 s10, vcc_lo
	s_cbranch_execz .LBB351_23
; %bb.22:
	v_lshlrev_b32_e32 v13, 3, v13
	global_load_b64 v[13:14], v13, s[0:1]
	s_waitcnt vmcnt(0)
	v_cmp_neq_f64_e32 vcc_lo, 0, v[13:14]
	v_cndmask_b32_e64 v16, 0, 1, vcc_lo
.LBB351_23:
	s_or_b32 exec_lo, exec_lo, s10
	ds_store_b8 v0, v19
	ds_store_b8 v0, v18 offset:128
	ds_store_b8 v0, v20 offset:256
	;; [unrolled: 1-line block ×5, first 2 shown]
	s_waitcnt lgkmcnt(0)
	s_barrier
.LBB351_24:
	v_mad_i32_i24 v43, 0xffffffd6, v0, v15
	buffer_gl0_inv
	v_mbcnt_lo_u32_b32 v42, -1, 0
	s_cmp_lg_u32 s9, 0
	s_mov_b32 s1, -1
	ds_load_u16 v36, v43
	ds_load_u16 v33, v43 offset:2
	ds_load_u16 v31, v43 offset:4
	v_mov_b32_e32 v14, 0
	v_and_b32_e32 v44, 15, v42
	s_waitcnt lgkmcnt(0)
	s_barrier
	buffer_gl0_inv
	v_and_b32_e32 v41, 0xff, v36
	v_lshrrev_b16 v34, 8, v36
	v_lshrrev_b16 v35, 8, v33
	v_and_b32_e32 v39, 0xff, v33
	v_lshrrev_b16 v32, 8, v31
	v_and_b32_e32 v37, 0xff, v31
	v_and_b32_e32 v40, 0xffff, v34
	;; [unrolled: 1-line block ×3, first 2 shown]
	s_delay_alu instid0(VALU_DEP_4) | instskip(NEXT) | instid1(VALU_DEP_3)
	v_and_b32_e32 v16, 0xffff, v32
	v_add_co_u32 v13, s0, v40, v41
	s_delay_alu instid0(VALU_DEP_1) | instskip(SKIP_1) | instid1(VALU_DEP_3)
	v_add_co_ci_u32_e64 v15, null, 0, 0, s0
	v_cmp_ne_u32_e64 s0, 0, v44
	v_add_co_u32 v13, vcc_lo, v13, v39
	s_delay_alu instid0(VALU_DEP_3) | instskip(NEXT) | instid1(VALU_DEP_2)
	v_add_co_ci_u32_e32 v15, vcc_lo, 0, v15, vcc_lo
	v_add_co_u32 v13, vcc_lo, v13, v38
	s_delay_alu instid0(VALU_DEP_2) | instskip(NEXT) | instid1(VALU_DEP_2)
	v_add_co_ci_u32_e32 v15, vcc_lo, 0, v15, vcc_lo
	v_add_co_u32 v13, vcc_lo, v13, v37
	s_delay_alu instid0(VALU_DEP_2) | instskip(NEXT) | instid1(VALU_DEP_2)
	v_add_co_ci_u32_e32 v15, vcc_lo, 0, v15, vcc_lo
	v_add_co_u32 v21, vcc_lo, v13, v16
	s_delay_alu instid0(VALU_DEP_2)
	v_add_co_ci_u32_e32 v22, vcc_lo, 0, v15, vcc_lo
	s_cbranch_scc0 .LBB351_88
; %bb.25:
	s_delay_alu instid0(VALU_DEP_2)
	v_mov_b32_e32 v15, v21
	v_mov_b32_dpp v13, v21 row_shr:1 row_mask:0xf bank_mask:0xf
	v_mov_b32_dpp v18, v14 row_shr:1 row_mask:0xf bank_mask:0xf
	v_dual_mov_b32 v17, v21 :: v_dual_mov_b32 v16, v22
	s_and_saveexec_b32 s1, s0
; %bb.26:
	s_delay_alu instid0(VALU_DEP_3) | instskip(SKIP_1) | instid1(VALU_DEP_2)
	v_add_co_u32 v17, vcc_lo, v21, v13
	v_add_co_ci_u32_e32 v14, vcc_lo, 0, v22, vcc_lo
	v_add_co_u32 v13, vcc_lo, 0, v17
	s_delay_alu instid0(VALU_DEP_2) | instskip(NEXT) | instid1(VALU_DEP_1)
	v_add_co_ci_u32_e32 v14, vcc_lo, v18, v14, vcc_lo
	v_dual_mov_b32 v16, v14 :: v_dual_mov_b32 v15, v13
; %bb.27:
	s_or_b32 exec_lo, exec_lo, s1
	v_mov_b32_dpp v13, v17 row_shr:2 row_mask:0xf bank_mask:0xf
	v_mov_b32_dpp v18, v14 row_shr:2 row_mask:0xf bank_mask:0xf
	s_mov_b32 s1, exec_lo
	v_cmpx_lt_u32_e32 1, v44
; %bb.28:
	s_delay_alu instid0(VALU_DEP_3) | instskip(SKIP_1) | instid1(VALU_DEP_2)
	v_add_co_u32 v17, vcc_lo, v15, v13
	v_add_co_ci_u32_e32 v14, vcc_lo, 0, v16, vcc_lo
	v_add_co_u32 v13, vcc_lo, 0, v17
	s_delay_alu instid0(VALU_DEP_2) | instskip(NEXT) | instid1(VALU_DEP_1)
	v_add_co_ci_u32_e32 v14, vcc_lo, v18, v14, vcc_lo
	v_dual_mov_b32 v16, v14 :: v_dual_mov_b32 v15, v13
; %bb.29:
	s_or_b32 exec_lo, exec_lo, s1
	v_mov_b32_dpp v13, v17 row_shr:4 row_mask:0xf bank_mask:0xf
	v_mov_b32_dpp v18, v14 row_shr:4 row_mask:0xf bank_mask:0xf
	s_mov_b32 s1, exec_lo
	v_cmpx_lt_u32_e32 3, v44
	;; [unrolled: 14-line block ×3, first 2 shown]
; %bb.32:
	s_delay_alu instid0(VALU_DEP_3) | instskip(SKIP_1) | instid1(VALU_DEP_2)
	v_add_co_u32 v17, vcc_lo, v15, v18
	v_add_co_ci_u32_e32 v14, vcc_lo, 0, v16, vcc_lo
	v_add_co_u32 v15, vcc_lo, 0, v17
	s_delay_alu instid0(VALU_DEP_2) | instskip(NEXT) | instid1(VALU_DEP_1)
	v_add_co_ci_u32_e32 v16, vcc_lo, v13, v14, vcc_lo
	v_mov_b32_e32 v14, v16
; %bb.33:
	s_or_b32 exec_lo, exec_lo, s1
	ds_swizzle_b32 v13, v17 offset:swizzle(BROADCAST,32,15)
	ds_swizzle_b32 v18, v14 offset:swizzle(BROADCAST,32,15)
	v_and_b32_e32 v19, 16, v42
	s_mov_b32 s1, exec_lo
	s_delay_alu instid0(VALU_DEP_1)
	v_cmpx_ne_u32_e32 0, v19
	s_cbranch_execz .LBB351_35
; %bb.34:
	s_waitcnt lgkmcnt(1)
	v_add_co_u32 v17, vcc_lo, v15, v13
	v_add_co_ci_u32_e32 v14, vcc_lo, 0, v16, vcc_lo
	s_delay_alu instid0(VALU_DEP_2) | instskip(SKIP_1) | instid1(VALU_DEP_2)
	v_add_co_u32 v13, vcc_lo, 0, v17
	s_waitcnt lgkmcnt(0)
	v_add_co_ci_u32_e32 v14, vcc_lo, v18, v14, vcc_lo
	s_delay_alu instid0(VALU_DEP_1)
	v_dual_mov_b32 v16, v14 :: v_dual_mov_b32 v15, v13
.LBB351_35:
	s_or_b32 exec_lo, exec_lo, s1
	s_waitcnt lgkmcnt(0)
	v_or_b32_e32 v18, 31, v0
	v_lshrrev_b32_e32 v13, 5, v0
	s_mov_b32 s1, exec_lo
	s_delay_alu instid0(VALU_DEP_2)
	v_cmpx_eq_u32_e64 v18, v0
	s_cbranch_execz .LBB351_37
; %bb.36:
	s_delay_alu instid0(VALU_DEP_2)
	v_lshlrev_b32_e32 v18, 3, v13
	ds_store_b64 v18, v[15:16]
.LBB351_37:
	s_or_b32 exec_lo, exec_lo, s1
	s_delay_alu instid0(SALU_CYCLE_1)
	s_mov_b32 s1, exec_lo
	s_waitcnt lgkmcnt(0)
	s_barrier
	buffer_gl0_inv
	v_cmpx_gt_u32_e32 4, v0
	s_cbranch_execz .LBB351_43
; %bb.38:
	v_lshlrev_b32_e32 v18, 3, v0
	s_mov_b32 s10, exec_lo
	ds_load_b64 v[15:16], v18
	s_waitcnt lgkmcnt(0)
	v_dual_mov_b32 v20, v15 :: v_dual_and_b32 v19, 3, v42
	v_mov_b32_dpp v24, v15 row_shr:1 row_mask:0xf bank_mask:0xf
	v_mov_b32_dpp v23, v16 row_shr:1 row_mask:0xf bank_mask:0xf
	s_delay_alu instid0(VALU_DEP_3)
	v_cmpx_ne_u32_e32 0, v19
; %bb.39:
	s_delay_alu instid0(VALU_DEP_3) | instskip(SKIP_1) | instid1(VALU_DEP_2)
	v_add_co_u32 v20, vcc_lo, v15, v24
	v_add_co_ci_u32_e32 v16, vcc_lo, 0, v16, vcc_lo
	v_add_co_u32 v15, vcc_lo, 0, v20
	s_delay_alu instid0(VALU_DEP_2)
	v_add_co_ci_u32_e32 v16, vcc_lo, v23, v16, vcc_lo
; %bb.40:
	s_or_b32 exec_lo, exec_lo, s10
	v_mov_b32_dpp v23, v20 row_shr:2 row_mask:0xf bank_mask:0xf
	s_delay_alu instid0(VALU_DEP_2)
	v_mov_b32_dpp v20, v16 row_shr:2 row_mask:0xf bank_mask:0xf
	s_mov_b32 s10, exec_lo
	v_cmpx_lt_u32_e32 1, v19
; %bb.41:
	s_delay_alu instid0(VALU_DEP_3) | instskip(SKIP_1) | instid1(VALU_DEP_2)
	v_add_co_u32 v15, vcc_lo, v15, v23
	v_add_co_ci_u32_e32 v16, vcc_lo, 0, v16, vcc_lo
	v_add_co_u32 v15, vcc_lo, v15, 0
	s_delay_alu instid0(VALU_DEP_2)
	v_add_co_ci_u32_e32 v16, vcc_lo, v16, v20, vcc_lo
; %bb.42:
	s_or_b32 exec_lo, exec_lo, s10
	ds_store_b64 v18, v[15:16]
.LBB351_43:
	s_or_b32 exec_lo, exec_lo, s1
	v_cmp_gt_u32_e32 vcc_lo, 32, v0
	s_mov_b32 s10, exec_lo
	s_waitcnt lgkmcnt(0)
	s_barrier
	buffer_gl0_inv
                                        ; implicit-def: $vgpr23_vgpr24
	v_cmpx_lt_u32_e32 31, v0
	s_cbranch_execz .LBB351_45
; %bb.44:
	v_lshl_add_u32 v13, v13, 3, -8
	ds_load_b64 v[23:24], v13
	s_waitcnt lgkmcnt(0)
	v_add_co_u32 v17, s1, v17, v23
	s_delay_alu instid0(VALU_DEP_1)
	v_add_co_ci_u32_e64 v14, s1, v14, v24, s1
.LBB351_45:
	s_or_b32 exec_lo, exec_lo, s10
	v_add_nc_u32_e32 v13, -1, v42
	s_delay_alu instid0(VALU_DEP_1) | instskip(NEXT) | instid1(VALU_DEP_1)
	v_cmp_gt_i32_e64 s1, 0, v13
	v_cndmask_b32_e64 v13, v13, v42, s1
	v_cmp_eq_u32_e64 s1, 0, v42
	s_delay_alu instid0(VALU_DEP_2)
	v_lshlrev_b32_e32 v13, 2, v13
	ds_bpermute_b32 v29, v13, v17
	ds_bpermute_b32 v30, v13, v14
	s_and_saveexec_b32 s10, vcc_lo
	s_cbranch_execz .LBB351_83
; %bb.46:
	v_mov_b32_e32 v16, 0
	ds_load_b64 v[13:14], v16 offset:24
	s_and_saveexec_b32 s11, s1
	s_cbranch_execz .LBB351_48
; %bb.47:
	s_add_i32 s16, s9, 32
	s_mov_b32 s17, 0
	s_delay_alu instid0(SALU_CYCLE_1) | instskip(NEXT) | instid1(SALU_CYCLE_1)
	s_lshl_b64 s[16:17], s[16:17], 4
	s_add_u32 s16, s14, s16
	s_addc_u32 s17, s15, s17
	s_delay_alu instid0(SALU_CYCLE_1)
	v_dual_mov_b32 v15, 1 :: v_dual_mov_b32 v18, s17
	v_mov_b32_e32 v17, s16
	s_waitcnt lgkmcnt(0)
	;;#ASMSTART
	global_store_dwordx4 v[17:18], v[13:16] off	
s_waitcnt vmcnt(0)
	;;#ASMEND
.LBB351_48:
	s_or_b32 exec_lo, exec_lo, s11
	v_xad_u32 v25, v42, -1, s9
	s_mov_b32 s16, 0
	s_mov_b32 s11, exec_lo
	s_delay_alu instid0(VALU_DEP_1) | instskip(NEXT) | instid1(VALU_DEP_1)
	v_add_nc_u32_e32 v15, 32, v25
	v_lshlrev_b64 v[15:16], 4, v[15:16]
	s_delay_alu instid0(VALU_DEP_1) | instskip(NEXT) | instid1(VALU_DEP_2)
	v_add_co_u32 v15, vcc_lo, s14, v15
	v_add_co_ci_u32_e32 v16, vcc_lo, s15, v16, vcc_lo
	;;#ASMSTART
	global_load_dwordx4 v[17:20], v[15:16] off glc	
s_waitcnt vmcnt(0)
	;;#ASMEND
	v_and_b32_e32 v20, 0xff, v18
	v_and_b32_e32 v26, 0xff00, v18
	;; [unrolled: 1-line block ×3, first 2 shown]
	v_or3_b32 v17, v17, 0, 0
	v_and_b32_e32 v18, 0xff000000, v18
	s_delay_alu instid0(VALU_DEP_4) | instskip(SKIP_1) | instid1(VALU_DEP_4)
	v_or3_b32 v20, 0, v20, v26
	v_and_b32_e32 v26, 0xff, v19
	v_or3_b32 v17, v17, 0, 0
	s_delay_alu instid0(VALU_DEP_3) | instskip(NEXT) | instid1(VALU_DEP_3)
	v_or3_b32 v18, v20, v27, v18
	v_cmpx_eq_u16_e32 0, v26
	s_cbranch_execz .LBB351_51
.LBB351_49:                             ; =>This Inner Loop Header: Depth=1
	;;#ASMSTART
	global_load_dwordx4 v[17:20], v[15:16] off glc	
s_waitcnt vmcnt(0)
	;;#ASMEND
	v_and_b32_e32 v20, 0xff, v19
	s_delay_alu instid0(VALU_DEP_1) | instskip(SKIP_1) | instid1(SALU_CYCLE_1)
	v_cmp_ne_u16_e32 vcc_lo, 0, v20
	s_or_b32 s16, vcc_lo, s16
	s_and_not1_b32 exec_lo, exec_lo, s16
	s_cbranch_execnz .LBB351_49
; %bb.50:
	s_or_b32 exec_lo, exec_lo, s16
.LBB351_51:
	s_delay_alu instid0(SALU_CYCLE_1)
	s_or_b32 exec_lo, exec_lo, s11
	v_cmp_ne_u32_e32 vcc_lo, 31, v42
	v_and_b32_e32 v16, 0xff, v19
	v_lshlrev_b32_e64 v46, v42, -1
	s_mov_b32 s11, exec_lo
	v_add_co_ci_u32_e32 v15, vcc_lo, 0, v42, vcc_lo
	s_delay_alu instid0(VALU_DEP_3) | instskip(NEXT) | instid1(VALU_DEP_2)
	v_cmp_eq_u16_e32 vcc_lo, 2, v16
	v_dual_mov_b32 v16, v17 :: v_dual_lshlrev_b32 v45, 2, v15
	v_and_or_b32 v15, vcc_lo, v46, 0x80000000
	ds_bpermute_b32 v26, v45, v17
	ds_bpermute_b32 v20, v45, v18
	v_ctz_i32_b32_e32 v15, v15
	s_delay_alu instid0(VALU_DEP_1)
	v_cmpx_lt_u32_e64 v42, v15
	s_cbranch_execz .LBB351_53
; %bb.52:
	s_waitcnt lgkmcnt(1)
	v_add_co_u32 v16, vcc_lo, v17, v26
	v_add_co_ci_u32_e32 v18, vcc_lo, 0, v18, vcc_lo
	s_delay_alu instid0(VALU_DEP_2) | instskip(SKIP_1) | instid1(VALU_DEP_2)
	v_add_co_u32 v17, vcc_lo, 0, v16
	s_waitcnt lgkmcnt(0)
	v_add_co_ci_u32_e32 v18, vcc_lo, v20, v18, vcc_lo
.LBB351_53:
	s_or_b32 exec_lo, exec_lo, s11
	v_cmp_gt_u32_e32 vcc_lo, 30, v42
	v_add_nc_u32_e32 v48, 2, v42
	s_mov_b32 s11, exec_lo
	s_waitcnt lgkmcnt(0)
	v_cndmask_b32_e64 v20, 0, 1, vcc_lo
	s_delay_alu instid0(VALU_DEP_1) | instskip(NEXT) | instid1(VALU_DEP_1)
	v_lshlrev_b32_e32 v20, 1, v20
	v_add_lshl_u32 v47, v20, v42, 2
	ds_bpermute_b32 v26, v47, v16
	ds_bpermute_b32 v20, v47, v18
	v_cmpx_le_u32_e64 v48, v15
	s_cbranch_execz .LBB351_55
; %bb.54:
	s_waitcnt lgkmcnt(1)
	v_add_co_u32 v16, vcc_lo, v17, v26
	v_add_co_ci_u32_e32 v18, vcc_lo, 0, v18, vcc_lo
	s_delay_alu instid0(VALU_DEP_2) | instskip(SKIP_1) | instid1(VALU_DEP_2)
	v_add_co_u32 v17, vcc_lo, 0, v16
	s_waitcnt lgkmcnt(0)
	v_add_co_ci_u32_e32 v18, vcc_lo, v20, v18, vcc_lo
.LBB351_55:
	s_or_b32 exec_lo, exec_lo, s11
	v_cmp_gt_u32_e32 vcc_lo, 28, v42
	v_add_nc_u32_e32 v50, 4, v42
	s_mov_b32 s11, exec_lo
	s_waitcnt lgkmcnt(0)
	v_cndmask_b32_e64 v20, 0, 1, vcc_lo
	s_delay_alu instid0(VALU_DEP_1) | instskip(NEXT) | instid1(VALU_DEP_1)
	v_lshlrev_b32_e32 v20, 2, v20
	v_add_lshl_u32 v49, v20, v42, 2
	ds_bpermute_b32 v26, v49, v16
	ds_bpermute_b32 v20, v49, v18
	v_cmpx_le_u32_e64 v50, v15
	;; [unrolled: 22-line block ×4, first 2 shown]
	s_cbranch_execz .LBB351_61
; %bb.60:
	s_waitcnt lgkmcnt(1)
	v_add_co_u32 v15, vcc_lo, v17, v20
	v_add_co_ci_u32_e32 v18, vcc_lo, 0, v18, vcc_lo
	s_delay_alu instid0(VALU_DEP_2) | instskip(SKIP_1) | instid1(VALU_DEP_2)
	v_add_co_u32 v17, vcc_lo, v15, 0
	s_waitcnt lgkmcnt(0)
	v_add_co_ci_u32_e32 v18, vcc_lo, v18, v16, vcc_lo
.LBB351_61:
	s_or_b32 exec_lo, exec_lo, s11
	v_mov_b32_e32 v26, 0
	s_branch .LBB351_63
.LBB351_62:                             ;   in Loop: Header=BB351_63 Depth=1
	s_or_b32 exec_lo, exec_lo, s11
	v_add_co_u32 v17, vcc_lo, v17, v15
	v_subrev_nc_u32_e32 v25, 32, v25
	v_add_co_ci_u32_e32 v18, vcc_lo, v18, v16, vcc_lo
.LBB351_63:                             ; =>This Loop Header: Depth=1
                                        ;     Child Loop BB351_66 Depth 2
	v_and_b32_e32 v15, 0xff, v19
	s_delay_alu instid0(VALU_DEP_1) | instskip(SKIP_2) | instid1(VALU_DEP_1)
	v_cmp_ne_u16_e32 vcc_lo, 2, v15
	v_cndmask_b32_e64 v15, 0, 1, vcc_lo
	;;#ASMSTART
	;;#ASMEND
	v_cmp_ne_u32_e32 vcc_lo, 0, v15
	s_waitcnt lgkmcnt(0)
	v_dual_mov_b32 v15, v17 :: v_dual_mov_b32 v16, v18
	s_cmp_lg_u32 vcc_lo, exec_lo
	s_cbranch_scc1 .LBB351_78
; %bb.64:                               ;   in Loop: Header=BB351_63 Depth=1
	v_lshlrev_b64 v[17:18], 4, v[25:26]
	s_mov_b32 s11, exec_lo
	s_delay_alu instid0(VALU_DEP_1) | instskip(NEXT) | instid1(VALU_DEP_2)
	v_add_co_u32 v27, vcc_lo, s14, v17
	v_add_co_ci_u32_e32 v28, vcc_lo, s15, v18, vcc_lo
	;;#ASMSTART
	global_load_dwordx4 v[17:20], v[27:28] off glc	
s_waitcnt vmcnt(0)
	;;#ASMEND
	v_and_b32_e32 v20, 0xff, v18
	v_and_b32_e32 v55, 0xff00, v18
	;; [unrolled: 1-line block ×3, first 2 shown]
	v_or3_b32 v17, v17, 0, 0
	v_and_b32_e32 v18, 0xff000000, v18
	s_delay_alu instid0(VALU_DEP_4) | instskip(SKIP_1) | instid1(VALU_DEP_4)
	v_or3_b32 v20, 0, v20, v55
	v_and_b32_e32 v55, 0xff, v19
	v_or3_b32 v17, v17, 0, 0
	s_delay_alu instid0(VALU_DEP_3) | instskip(NEXT) | instid1(VALU_DEP_3)
	v_or3_b32 v18, v20, v56, v18
	v_cmpx_eq_u16_e32 0, v55
	s_cbranch_execz .LBB351_68
; %bb.65:                               ;   in Loop: Header=BB351_63 Depth=1
	s_mov_b32 s16, 0
.LBB351_66:                             ;   Parent Loop BB351_63 Depth=1
                                        ; =>  This Inner Loop Header: Depth=2
	;;#ASMSTART
	global_load_dwordx4 v[17:20], v[27:28] off glc	
s_waitcnt vmcnt(0)
	;;#ASMEND
	v_and_b32_e32 v20, 0xff, v19
	s_delay_alu instid0(VALU_DEP_1) | instskip(SKIP_1) | instid1(SALU_CYCLE_1)
	v_cmp_ne_u16_e32 vcc_lo, 0, v20
	s_or_b32 s16, vcc_lo, s16
	s_and_not1_b32 exec_lo, exec_lo, s16
	s_cbranch_execnz .LBB351_66
; %bb.67:                               ;   in Loop: Header=BB351_63 Depth=1
	s_or_b32 exec_lo, exec_lo, s16
.LBB351_68:                             ;   in Loop: Header=BB351_63 Depth=1
	s_delay_alu instid0(SALU_CYCLE_1)
	s_or_b32 exec_lo, exec_lo, s11
	v_dual_mov_b32 v27, v17 :: v_dual_and_b32 v20, 0xff, v19
	ds_bpermute_b32 v55, v45, v17
	ds_bpermute_b32 v28, v45, v18
	s_mov_b32 s11, exec_lo
	v_cmp_eq_u16_e32 vcc_lo, 2, v20
	v_and_or_b32 v20, vcc_lo, v46, 0x80000000
	s_delay_alu instid0(VALU_DEP_1) | instskip(NEXT) | instid1(VALU_DEP_1)
	v_ctz_i32_b32_e32 v20, v20
	v_cmpx_lt_u32_e64 v42, v20
	s_cbranch_execz .LBB351_70
; %bb.69:                               ;   in Loop: Header=BB351_63 Depth=1
	s_waitcnt lgkmcnt(1)
	v_add_co_u32 v27, vcc_lo, v17, v55
	v_add_co_ci_u32_e32 v18, vcc_lo, 0, v18, vcc_lo
	s_delay_alu instid0(VALU_DEP_2) | instskip(SKIP_1) | instid1(VALU_DEP_2)
	v_add_co_u32 v17, vcc_lo, 0, v27
	s_waitcnt lgkmcnt(0)
	v_add_co_ci_u32_e32 v18, vcc_lo, v28, v18, vcc_lo
.LBB351_70:                             ;   in Loop: Header=BB351_63 Depth=1
	s_or_b32 exec_lo, exec_lo, s11
	s_waitcnt lgkmcnt(1)
	ds_bpermute_b32 v55, v47, v27
	s_waitcnt lgkmcnt(1)
	ds_bpermute_b32 v28, v47, v18
	s_mov_b32 s11, exec_lo
	v_cmpx_le_u32_e64 v48, v20
	s_cbranch_execz .LBB351_72
; %bb.71:                               ;   in Loop: Header=BB351_63 Depth=1
	s_waitcnt lgkmcnt(1)
	v_add_co_u32 v27, vcc_lo, v17, v55
	v_add_co_ci_u32_e32 v18, vcc_lo, 0, v18, vcc_lo
	s_delay_alu instid0(VALU_DEP_2) | instskip(SKIP_1) | instid1(VALU_DEP_2)
	v_add_co_u32 v17, vcc_lo, 0, v27
	s_waitcnt lgkmcnt(0)
	v_add_co_ci_u32_e32 v18, vcc_lo, v28, v18, vcc_lo
.LBB351_72:                             ;   in Loop: Header=BB351_63 Depth=1
	s_or_b32 exec_lo, exec_lo, s11
	s_waitcnt lgkmcnt(1)
	ds_bpermute_b32 v55, v49, v27
	s_waitcnt lgkmcnt(1)
	ds_bpermute_b32 v28, v49, v18
	s_mov_b32 s11, exec_lo
	v_cmpx_le_u32_e64 v50, v20
	;; [unrolled: 17-line block ×3, first 2 shown]
	s_cbranch_execz .LBB351_76
; %bb.75:                               ;   in Loop: Header=BB351_63 Depth=1
	s_waitcnt lgkmcnt(1)
	v_add_co_u32 v27, vcc_lo, v17, v55
	v_add_co_ci_u32_e32 v18, vcc_lo, 0, v18, vcc_lo
	s_delay_alu instid0(VALU_DEP_2) | instskip(SKIP_1) | instid1(VALU_DEP_2)
	v_add_co_u32 v17, vcc_lo, 0, v27
	s_waitcnt lgkmcnt(0)
	v_add_co_ci_u32_e32 v18, vcc_lo, v28, v18, vcc_lo
.LBB351_76:                             ;   in Loop: Header=BB351_63 Depth=1
	s_or_b32 exec_lo, exec_lo, s11
	s_waitcnt lgkmcnt(0)
	ds_bpermute_b32 v28, v53, v27
	ds_bpermute_b32 v27, v53, v18
	s_mov_b32 s11, exec_lo
	v_cmpx_le_u32_e64 v54, v20
	s_cbranch_execz .LBB351_62
; %bb.77:                               ;   in Loop: Header=BB351_63 Depth=1
	s_waitcnt lgkmcnt(1)
	v_add_co_u32 v17, vcc_lo, v17, v28
	v_add_co_ci_u32_e32 v18, vcc_lo, 0, v18, vcc_lo
	s_delay_alu instid0(VALU_DEP_2) | instskip(SKIP_1) | instid1(VALU_DEP_2)
	v_add_co_u32 v17, vcc_lo, v17, 0
	s_waitcnt lgkmcnt(0)
	v_add_co_ci_u32_e32 v18, vcc_lo, v18, v27, vcc_lo
	s_branch .LBB351_62
.LBB351_78:                             ;   in Loop: Header=BB351_63 Depth=1
                                        ; implicit-def: $vgpr17_vgpr18
	s_cbranch_execz .LBB351_63
; %bb.79:
	s_and_saveexec_b32 s11, s1
	s_cbranch_execz .LBB351_81
; %bb.80:
	s_add_i32 s16, s9, 32
	s_mov_b32 s17, 0
	v_add_co_u32 v17, vcc_lo, v15, v13
	s_lshl_b64 s[16:17], s[16:17], 4
	v_dual_mov_b32 v19, 2 :: v_dual_mov_b32 v20, 0
	s_add_u32 s16, s14, s16
	s_addc_u32 s17, s15, s17
	v_add_co_ci_u32_e32 v18, vcc_lo, v16, v14, vcc_lo
	v_dual_mov_b32 v26, s17 :: v_dual_mov_b32 v25, s16
	;;#ASMSTART
	global_store_dwordx4 v[25:26], v[17:20] off	
s_waitcnt vmcnt(0)
	;;#ASMEND
	ds_store_b128 v20, v[13:16] offset:6144
.LBB351_81:
	s_or_b32 exec_lo, exec_lo, s11
	s_delay_alu instid0(SALU_CYCLE_1)
	s_and_b32 exec_lo, exec_lo, s2
	s_cbranch_execz .LBB351_83
; %bb.82:
	v_mov_b32_e32 v13, 0
	ds_store_b64 v13, v[15:16] offset:24
.LBB351_83:
	s_or_b32 exec_lo, exec_lo, s10
	v_mov_b32_e32 v15, 0
	s_waitcnt lgkmcnt(0)
	s_barrier
	buffer_gl0_inv
	v_cndmask_b32_e64 v16, v29, v23, s1
	ds_load_b64 v[13:14], v15 offset:24
	v_cndmask_b32_e64 v17, v30, v24, s1
	s_waitcnt lgkmcnt(0)
	s_barrier
	v_cndmask_b32_e64 v16, v16, 0, s2
	buffer_gl0_inv
	v_cndmask_b32_e64 v17, v17, 0, s2
	v_add_co_u32 v29, vcc_lo, v13, v16
	s_delay_alu instid0(VALU_DEP_2) | instskip(SKIP_3) | instid1(VALU_DEP_2)
	v_add_co_ci_u32_e32 v30, vcc_lo, v14, v17, vcc_lo
	ds_load_b128 v[13:16], v15 offset:6144
	v_add_co_u32 v27, vcc_lo, v29, v41
	v_add_co_ci_u32_e32 v28, vcc_lo, 0, v30, vcc_lo
	v_add_co_u32 v25, vcc_lo, v27, v40
	s_delay_alu instid0(VALU_DEP_2) | instskip(NEXT) | instid1(VALU_DEP_2)
	v_add_co_ci_u32_e32 v26, vcc_lo, 0, v28, vcc_lo
	v_add_co_u32 v23, vcc_lo, v25, v39
	s_delay_alu instid0(VALU_DEP_2) | instskip(NEXT) | instid1(VALU_DEP_2)
	;; [unrolled: 3-line block ×3, first 2 shown]
	v_add_co_ci_u32_e32 v20, vcc_lo, 0, v24, vcc_lo
	v_add_co_u32 v17, vcc_lo, v19, v37
	s_delay_alu instid0(VALU_DEP_2)
	v_add_co_ci_u32_e32 v18, vcc_lo, 0, v20, vcc_lo
.LBB351_84:
	s_waitcnt lgkmcnt(0)
	v_cmp_gt_u64_e32 vcc_lo, 0x81, v[13:14]
	s_mov_b32 s0, -1
	s_cbranch_vccnz .LBB351_112
.LBB351_85:
	s_and_b32 vcc_lo, exec_lo, s0
	s_cbranch_vccnz .LBB351_131
.LBB351_86:
	s_and_b32 s0, s2, s3
	s_delay_alu instid0(SALU_CYCLE_1)
	s_and_saveexec_b32 s1, s0
	s_cbranch_execnz .LBB351_147
.LBB351_87:
	s_nop 0
	s_sendmsg sendmsg(MSG_DEALLOC_VGPRS)
	s_endpgm
.LBB351_88:
                                        ; kill: def $vgpr13_vgpr14 killed $sgpr0_sgpr1 killed $exec
                                        ; implicit-def: $vgpr17_vgpr18
                                        ; implicit-def: $vgpr19_vgpr20
                                        ; implicit-def: $vgpr23_vgpr24
                                        ; implicit-def: $vgpr25_vgpr26
                                        ; implicit-def: $vgpr27_vgpr28
                                        ; implicit-def: $vgpr29_vgpr30
                                        ; implicit-def: $vgpr15_vgpr16
	s_and_b32 vcc_lo, exec_lo, s1
	s_cbranch_vccz .LBB351_84
; %bb.89:
	s_waitcnt lgkmcnt(0)
	v_dual_mov_b32 v14, 0 :: v_dual_mov_b32 v15, v21
	v_mov_b32_dpp v16, v21 row_shr:1 row_mask:0xf bank_mask:0xf
	s_delay_alu instid0(VALU_DEP_2)
	v_mov_b32_dpp v13, v14 row_shr:1 row_mask:0xf bank_mask:0xf
	s_and_saveexec_b32 s1, s0
; %bb.90:
	s_delay_alu instid0(VALU_DEP_2) | instskip(SKIP_1) | instid1(VALU_DEP_2)
	v_add_co_u32 v15, vcc_lo, v21, v16
	v_add_co_ci_u32_e32 v14, vcc_lo, 0, v22, vcc_lo
	v_add_co_u32 v21, vcc_lo, 0, v15
	s_delay_alu instid0(VALU_DEP_2) | instskip(NEXT) | instid1(VALU_DEP_1)
	v_add_co_ci_u32_e32 v22, vcc_lo, v13, v14, vcc_lo
	v_mov_b32_e32 v14, v22
; %bb.91:
	s_or_b32 exec_lo, exec_lo, s1
	v_mov_b32_dpp v13, v15 row_shr:2 row_mask:0xf bank_mask:0xf
	s_delay_alu instid0(VALU_DEP_2)
	v_mov_b32_dpp v16, v14 row_shr:2 row_mask:0xf bank_mask:0xf
	s_mov_b32 s0, exec_lo
	v_cmpx_lt_u32_e32 1, v44
; %bb.92:
	s_delay_alu instid0(VALU_DEP_3) | instskip(SKIP_1) | instid1(VALU_DEP_2)
	v_add_co_u32 v15, vcc_lo, v21, v13
	v_add_co_ci_u32_e32 v14, vcc_lo, 0, v22, vcc_lo
	v_add_co_u32 v13, vcc_lo, 0, v15
	s_delay_alu instid0(VALU_DEP_2) | instskip(NEXT) | instid1(VALU_DEP_1)
	v_add_co_ci_u32_e32 v14, vcc_lo, v16, v14, vcc_lo
	v_dual_mov_b32 v22, v14 :: v_dual_mov_b32 v21, v13
; %bb.93:
	s_or_b32 exec_lo, exec_lo, s0
	v_mov_b32_dpp v13, v15 row_shr:4 row_mask:0xf bank_mask:0xf
	v_mov_b32_dpp v16, v14 row_shr:4 row_mask:0xf bank_mask:0xf
	s_mov_b32 s0, exec_lo
	v_cmpx_lt_u32_e32 3, v44
; %bb.94:
	s_delay_alu instid0(VALU_DEP_3) | instskip(SKIP_1) | instid1(VALU_DEP_2)
	v_add_co_u32 v15, vcc_lo, v21, v13
	v_add_co_ci_u32_e32 v14, vcc_lo, 0, v22, vcc_lo
	v_add_co_u32 v13, vcc_lo, 0, v15
	s_delay_alu instid0(VALU_DEP_2) | instskip(NEXT) | instid1(VALU_DEP_1)
	v_add_co_ci_u32_e32 v14, vcc_lo, v16, v14, vcc_lo
	v_dual_mov_b32 v22, v14 :: v_dual_mov_b32 v21, v13
; %bb.95:
	s_or_b32 exec_lo, exec_lo, s0
	v_mov_b32_dpp v16, v15 row_shr:8 row_mask:0xf bank_mask:0xf
	v_mov_b32_dpp v13, v14 row_shr:8 row_mask:0xf bank_mask:0xf
	s_mov_b32 s0, exec_lo
	v_cmpx_lt_u32_e32 7, v44
; %bb.96:
	s_delay_alu instid0(VALU_DEP_3) | instskip(SKIP_1) | instid1(VALU_DEP_2)
	v_add_co_u32 v15, vcc_lo, v21, v16
	v_add_co_ci_u32_e32 v14, vcc_lo, 0, v22, vcc_lo
	v_add_co_u32 v21, vcc_lo, 0, v15
	s_delay_alu instid0(VALU_DEP_2) | instskip(NEXT) | instid1(VALU_DEP_1)
	v_add_co_ci_u32_e32 v22, vcc_lo, v13, v14, vcc_lo
	v_mov_b32_e32 v14, v22
; %bb.97:
	s_or_b32 exec_lo, exec_lo, s0
	ds_swizzle_b32 v15, v15 offset:swizzle(BROADCAST,32,15)
	ds_swizzle_b32 v13, v14 offset:swizzle(BROADCAST,32,15)
	v_and_b32_e32 v14, 16, v42
	s_mov_b32 s0, exec_lo
	s_delay_alu instid0(VALU_DEP_1)
	v_cmpx_ne_u32_e32 0, v14
	s_cbranch_execz .LBB351_99
; %bb.98:
	s_waitcnt lgkmcnt(1)
	v_add_co_u32 v14, vcc_lo, v21, v15
	v_add_co_ci_u32_e32 v15, vcc_lo, 0, v22, vcc_lo
	s_delay_alu instid0(VALU_DEP_2) | instskip(SKIP_1) | instid1(VALU_DEP_2)
	v_add_co_u32 v21, vcc_lo, v14, 0
	s_waitcnt lgkmcnt(0)
	v_add_co_ci_u32_e32 v22, vcc_lo, v15, v13, vcc_lo
.LBB351_99:
	s_or_b32 exec_lo, exec_lo, s0
	s_waitcnt lgkmcnt(0)
	v_or_b32_e32 v13, 31, v0
	v_lshrrev_b32_e32 v15, 5, v0
	s_mov_b32 s0, exec_lo
	s_delay_alu instid0(VALU_DEP_2)
	v_cmpx_eq_u32_e64 v13, v0
	s_cbranch_execz .LBB351_101
; %bb.100:
	s_delay_alu instid0(VALU_DEP_2)
	v_lshlrev_b32_e32 v13, 3, v15
	ds_store_b64 v13, v[21:22]
.LBB351_101:
	s_or_b32 exec_lo, exec_lo, s0
	s_delay_alu instid0(SALU_CYCLE_1)
	s_mov_b32 s0, exec_lo
	s_waitcnt lgkmcnt(0)
	s_barrier
	buffer_gl0_inv
	v_cmpx_gt_u32_e32 4, v0
	s_cbranch_execz .LBB351_107
; %bb.102:
	v_lshlrev_b32_e32 v13, 1, v0
	s_mov_b32 s1, exec_lo
	s_delay_alu instid0(VALU_DEP_1)
	v_add_nc_u32_e32 v16, v43, v13
	ds_load_b64 v[13:14], v16
	s_waitcnt lgkmcnt(0)
	v_dual_mov_b32 v18, v13 :: v_dual_and_b32 v17, 3, v42
	v_mov_b32_dpp v20, v13 row_shr:1 row_mask:0xf bank_mask:0xf
	v_mov_b32_dpp v19, v14 row_shr:1 row_mask:0xf bank_mask:0xf
	s_delay_alu instid0(VALU_DEP_3)
	v_cmpx_ne_u32_e32 0, v17
; %bb.103:
	s_delay_alu instid0(VALU_DEP_3) | instskip(SKIP_1) | instid1(VALU_DEP_2)
	v_add_co_u32 v18, vcc_lo, v13, v20
	v_add_co_ci_u32_e32 v14, vcc_lo, 0, v14, vcc_lo
	v_add_co_u32 v13, vcc_lo, 0, v18
	s_delay_alu instid0(VALU_DEP_2)
	v_add_co_ci_u32_e32 v14, vcc_lo, v19, v14, vcc_lo
; %bb.104:
	s_or_b32 exec_lo, exec_lo, s1
	v_mov_b32_dpp v19, v18 row_shr:2 row_mask:0xf bank_mask:0xf
	s_delay_alu instid0(VALU_DEP_2)
	v_mov_b32_dpp v18, v14 row_shr:2 row_mask:0xf bank_mask:0xf
	s_mov_b32 s1, exec_lo
	v_cmpx_lt_u32_e32 1, v17
; %bb.105:
	s_delay_alu instid0(VALU_DEP_3) | instskip(SKIP_1) | instid1(VALU_DEP_2)
	v_add_co_u32 v13, vcc_lo, v13, v19
	v_add_co_ci_u32_e32 v14, vcc_lo, 0, v14, vcc_lo
	v_add_co_u32 v13, vcc_lo, v13, 0
	s_delay_alu instid0(VALU_DEP_2)
	v_add_co_ci_u32_e32 v14, vcc_lo, v14, v18, vcc_lo
; %bb.106:
	s_or_b32 exec_lo, exec_lo, s1
	ds_store_b64 v16, v[13:14]
.LBB351_107:
	s_or_b32 exec_lo, exec_lo, s0
	v_mov_b32_e32 v17, 0
	v_mov_b32_e32 v18, 0
	s_mov_b32 s0, exec_lo
	s_waitcnt lgkmcnt(0)
	s_barrier
	buffer_gl0_inv
	v_cmpx_lt_u32_e32 31, v0
	s_cbranch_execz .LBB351_109
; %bb.108:
	v_lshl_add_u32 v13, v15, 3, -8
	ds_load_b64 v[17:18], v13
.LBB351_109:
	s_or_b32 exec_lo, exec_lo, s0
	v_dual_mov_b32 v16, 0 :: v_dual_add_nc_u32 v13, -1, v42
	s_delay_alu instid0(VALU_DEP_1) | instskip(SKIP_4) | instid1(VALU_DEP_3)
	v_cmp_gt_i32_e32 vcc_lo, 0, v13
	v_cndmask_b32_e32 v13, v13, v42, vcc_lo
	s_waitcnt lgkmcnt(0)
	v_add_co_u32 v14, vcc_lo, v17, v21
	v_add_co_ci_u32_e32 v15, vcc_lo, v18, v22, vcc_lo
	v_lshlrev_b32_e32 v13, 2, v13
	ds_bpermute_b32 v19, v13, v14
	ds_bpermute_b32 v20, v13, v15
	ds_load_b64 v[13:14], v16 offset:24
	s_and_saveexec_b32 s0, s2
	s_cbranch_execz .LBB351_111
; %bb.110:
	s_add_u32 s10, s14, 0x200
	s_addc_u32 s11, s15, 0
	s_delay_alu instid0(SALU_CYCLE_1)
	v_dual_mov_b32 v15, 2 :: v_dual_mov_b32 v22, s11
	v_mov_b32_e32 v21, s10
	s_waitcnt lgkmcnt(0)
	;;#ASMSTART
	global_store_dwordx4 v[21:22], v[13:16] off	
s_waitcnt vmcnt(0)
	;;#ASMEND
.LBB351_111:
	s_or_b32 exec_lo, exec_lo, s0
	v_cmp_eq_u32_e32 vcc_lo, 0, v42
	s_waitcnt lgkmcnt(0)
	s_barrier
	buffer_gl0_inv
	v_dual_cndmask_b32 v15, v19, v17 :: v_dual_cndmask_b32 v16, v20, v18
	s_delay_alu instid0(VALU_DEP_1) | instskip(NEXT) | instid1(VALU_DEP_2)
	v_cndmask_b32_e64 v29, v15, 0, s2
	v_cndmask_b32_e64 v30, v16, 0, s2
	v_mov_b32_e32 v15, 0
	v_mov_b32_e32 v16, 0
	s_delay_alu instid0(VALU_DEP_4) | instskip(NEXT) | instid1(VALU_DEP_4)
	v_add_co_u32 v27, vcc_lo, v29, v41
	v_add_co_ci_u32_e32 v28, vcc_lo, 0, v30, vcc_lo
	s_delay_alu instid0(VALU_DEP_2) | instskip(NEXT) | instid1(VALU_DEP_2)
	v_add_co_u32 v25, vcc_lo, v27, v40
	v_add_co_ci_u32_e32 v26, vcc_lo, 0, v28, vcc_lo
	s_delay_alu instid0(VALU_DEP_2) | instskip(NEXT) | instid1(VALU_DEP_2)
	;; [unrolled: 3-line block ×4, first 2 shown]
	v_add_co_u32 v17, vcc_lo, v19, v37
	v_add_co_ci_u32_e32 v18, vcc_lo, 0, v20, vcc_lo
	v_cmp_gt_u64_e32 vcc_lo, 0x81, v[13:14]
	s_mov_b32 s0, -1
	s_cbranch_vccz .LBB351_85
.LBB351_112:
	v_add_co_u32 v21, vcc_lo, v15, v13
	v_add_co_ci_u32_e32 v22, vcc_lo, v16, v14, vcc_lo
	s_delay_alu instid0(VALU_DEP_1) | instskip(SKIP_1) | instid1(SALU_CYCLE_1)
	v_cmp_lt_u64_e32 vcc_lo, v[29:30], v[21:22]
	s_or_b32 s1, s8, vcc_lo
	s_and_saveexec_b32 s0, s1
	s_cbranch_execz .LBB351_115
; %bb.113:
	v_and_b32_e32 v37, 1, v36
	s_delay_alu instid0(VALU_DEP_1)
	v_cmp_eq_u32_e32 vcc_lo, 1, v37
	s_and_b32 exec_lo, exec_lo, vcc_lo
	s_cbranch_execz .LBB351_115
; %bb.114:
	v_lshlrev_b64 v[37:38], 3, v[29:30]
	s_lshl_b64 s[10:11], s[6:7], 3
	s_delay_alu instid0(SALU_CYCLE_1) | instskip(SKIP_1) | instid1(VALU_DEP_1)
	s_add_u32 s1, s12, s10
	s_addc_u32 s9, s13, s11
	v_add_co_u32 v37, vcc_lo, s1, v37
	s_delay_alu instid0(VALU_DEP_2)
	v_add_co_ci_u32_e32 v38, vcc_lo, s9, v38, vcc_lo
	global_store_b64 v[37:38], v[9:10], off
.LBB351_115:
	s_or_b32 exec_lo, exec_lo, s0
	v_cmp_lt_u64_e32 vcc_lo, v[27:28], v[21:22]
	s_or_b32 s1, s8, vcc_lo
	s_delay_alu instid0(SALU_CYCLE_1)
	s_and_saveexec_b32 s0, s1
	s_cbranch_execz .LBB351_118
; %bb.116:
	v_and_b32_e32 v30, 1, v34
	s_delay_alu instid0(VALU_DEP_1)
	v_cmp_eq_u32_e32 vcc_lo, 1, v30
	s_and_b32 exec_lo, exec_lo, vcc_lo
	s_cbranch_execz .LBB351_118
; %bb.117:
	v_lshlrev_b64 v[37:38], 3, v[27:28]
	s_lshl_b64 s[10:11], s[6:7], 3
	s_delay_alu instid0(SALU_CYCLE_1) | instskip(SKIP_1) | instid1(VALU_DEP_1)
	s_add_u32 s1, s12, s10
	s_addc_u32 s9, s13, s11
	v_add_co_u32 v37, vcc_lo, s1, v37
	s_delay_alu instid0(VALU_DEP_2)
	v_add_co_ci_u32_e32 v38, vcc_lo, s9, v38, vcc_lo
	global_store_b64 v[37:38], v[11:12], off
.LBB351_118:
	s_or_b32 exec_lo, exec_lo, s0
	v_cmp_lt_u64_e32 vcc_lo, v[25:26], v[21:22]
	s_or_b32 s1, s8, vcc_lo
	s_delay_alu instid0(SALU_CYCLE_1)
	;; [unrolled: 23-line block ×5, first 2 shown]
	s_and_saveexec_b32 s0, s1
	s_cbranch_execz .LBB351_130
; %bb.128:
	v_and_b32_e32 v20, 1, v32
	s_delay_alu instid0(VALU_DEP_1)
	v_cmp_eq_u32_e32 vcc_lo, 1, v20
	s_and_b32 exec_lo, exec_lo, vcc_lo
	s_cbranch_execz .LBB351_130
; %bb.129:
	v_lshlrev_b64 v[20:21], 3, v[17:18]
	s_lshl_b64 s[8:9], s[6:7], 3
	s_delay_alu instid0(SALU_CYCLE_1) | instskip(SKIP_1) | instid1(VALU_DEP_1)
	s_add_u32 s1, s12, s8
	s_addc_u32 s8, s13, s9
	v_add_co_u32 v20, vcc_lo, s1, v20
	s_delay_alu instid0(VALU_DEP_2)
	v_add_co_ci_u32_e32 v21, vcc_lo, s8, v21, vcc_lo
	global_store_b64 v[20:21], v[3:4], off
.LBB351_130:
	s_or_b32 exec_lo, exec_lo, s0
	s_branch .LBB351_86
.LBB351_131:
	v_and_b32_e32 v18, 1, v36
	s_mov_b32 s0, exec_lo
	s_delay_alu instid0(VALU_DEP_1)
	v_cmpx_eq_u32_e32 1, v18
	s_cbranch_execz .LBB351_133
; %bb.132:
	v_sub_nc_u32_e32 v18, v29, v15
	s_delay_alu instid0(VALU_DEP_1)
	v_lshlrev_b32_e32 v18, 3, v18
	ds_store_b64 v18, v[9:10]
.LBB351_133:
	s_or_b32 exec_lo, exec_lo, s0
	v_and_b32_e32 v9, 1, v34
	s_mov_b32 s0, exec_lo
	s_delay_alu instid0(VALU_DEP_1)
	v_cmpx_eq_u32_e32 1, v9
	s_cbranch_execz .LBB351_135
; %bb.134:
	v_sub_nc_u32_e32 v9, v27, v15
	s_delay_alu instid0(VALU_DEP_1)
	v_lshlrev_b32_e32 v9, 3, v9
	ds_store_b64 v9, v[11:12]
.LBB351_135:
	s_or_b32 exec_lo, exec_lo, s0
	v_and_b32_e32 v9, 1, v33
	s_mov_b32 s0, exec_lo
	s_delay_alu instid0(VALU_DEP_1)
	v_cmpx_eq_u32_e32 1, v9
	s_cbranch_execz .LBB351_137
; %bb.136:
	v_sub_nc_u32_e32 v9, v25, v15
	s_delay_alu instid0(VALU_DEP_1)
	v_lshlrev_b32_e32 v9, 3, v9
	ds_store_b64 v9, v[5:6]
.LBB351_137:
	s_or_b32 exec_lo, exec_lo, s0
	v_and_b32_e32 v5, 1, v35
	s_mov_b32 s0, exec_lo
	s_delay_alu instid0(VALU_DEP_1)
	v_cmpx_eq_u32_e32 1, v5
	s_cbranch_execz .LBB351_139
; %bb.138:
	v_sub_nc_u32_e32 v5, v23, v15
	s_delay_alu instid0(VALU_DEP_1)
	v_lshlrev_b32_e32 v5, 3, v5
	ds_store_b64 v5, v[7:8]
.LBB351_139:
	s_or_b32 exec_lo, exec_lo, s0
	v_and_b32_e32 v5, 1, v31
	s_mov_b32 s0, exec_lo
	s_delay_alu instid0(VALU_DEP_1)
	v_cmpx_eq_u32_e32 1, v5
	s_cbranch_execz .LBB351_141
; %bb.140:
	v_sub_nc_u32_e32 v5, v19, v15
	s_delay_alu instid0(VALU_DEP_1)
	v_lshlrev_b32_e32 v5, 3, v5
	ds_store_b64 v5, v[1:2]
.LBB351_141:
	s_or_b32 exec_lo, exec_lo, s0
	v_and_b32_e32 v1, 1, v32
	s_mov_b32 s0, exec_lo
	s_delay_alu instid0(VALU_DEP_1)
	v_cmpx_eq_u32_e32 1, v1
	s_cbranch_execz .LBB351_143
; %bb.142:
	v_sub_nc_u32_e32 v1, v17, v15
	s_delay_alu instid0(VALU_DEP_1)
	v_lshlrev_b32_e32 v1, 3, v1
	ds_store_b64 v1, v[3:4]
.LBB351_143:
	s_or_b32 exec_lo, exec_lo, s0
	v_mov_b32_e32 v1, 0
	s_mov_b32 s1, exec_lo
	s_waitcnt lgkmcnt(0)
	s_waitcnt_vscnt null, 0x0
	s_barrier
	buffer_gl0_inv
	v_cmpx_gt_u64_e64 v[13:14], v[0:1]
	s_cbranch_execz .LBB351_146
; %bb.144:
	v_lshlrev_b64 v[4:5], 3, v[15:16]
	s_lshl_b64 s[8:9], s[6:7], 3
	v_dual_mov_b32 v3, v1 :: v_dual_mov_b32 v2, v0
	v_or_b32_e32 v0, 0x80, v0
	s_delay_alu instid0(VALU_DEP_3) | instskip(NEXT) | instid1(VALU_DEP_4)
	v_add_co_u32 v4, vcc_lo, s12, v4
	v_add_co_ci_u32_e32 v5, vcc_lo, s13, v5, vcc_lo
	s_delay_alu instid0(VALU_DEP_2) | instskip(NEXT) | instid1(VALU_DEP_2)
	v_add_co_u32 v4, vcc_lo, v4, s8
	v_add_co_ci_u32_e32 v5, vcc_lo, s9, v5, vcc_lo
	s_mov_b32 s8, 0
	.p2align	6
.LBB351_145:                            ; =>This Inner Loop Header: Depth=1
	v_lshlrev_b32_e32 v6, 3, v2
	v_lshlrev_b64 v[8:9], 3, v[2:3]
	v_mov_b32_e32 v3, v1
	v_cmp_le_u64_e32 vcc_lo, v[13:14], v[0:1]
	v_mov_b32_e32 v2, v0
	ds_load_b64 v[6:7], v6
	v_add_nc_u32_e32 v0, 0x80, v0
	v_add_co_u32 v8, s0, v4, v8
	s_delay_alu instid0(VALU_DEP_1)
	v_add_co_ci_u32_e64 v9, s0, v5, v9, s0
	s_or_b32 s8, vcc_lo, s8
	s_waitcnt lgkmcnt(0)
	global_store_b64 v[8:9], v[6:7], off
	s_and_not1_b32 exec_lo, exec_lo, s8
	s_cbranch_execnz .LBB351_145
.LBB351_146:
	s_or_b32 exec_lo, exec_lo, s1
	s_and_b32 s0, s2, s3
	s_delay_alu instid0(SALU_CYCLE_1)
	s_and_saveexec_b32 s1, s0
	s_cbranch_execz .LBB351_87
.LBB351_147:
	v_add_co_u32 v0, vcc_lo, v15, v13
	v_add_co_ci_u32_e32 v1, vcc_lo, v16, v14, vcc_lo
	v_mov_b32_e32 v2, 0
	s_delay_alu instid0(VALU_DEP_3) | instskip(NEXT) | instid1(VALU_DEP_3)
	v_add_co_u32 v0, vcc_lo, v0, s6
	v_add_co_ci_u32_e32 v1, vcc_lo, s7, v1, vcc_lo
	global_store_b64 v2, v[0:1], s[4:5]
	s_nop 0
	s_sendmsg sendmsg(MSG_DEALLOC_VGPRS)
	s_endpgm
	.section	.rodata,"a",@progbits
	.p2align	6, 0x0
	.amdhsa_kernel _ZN7rocprim17ROCPRIM_400000_NS6detail17trampoline_kernelINS0_14default_configENS1_25partition_config_selectorILNS1_17partition_subalgoE5ElNS0_10empty_typeEbEEZZNS1_14partition_implILS5_5ELb0ES3_mN6hipcub16HIPCUB_304000_NS21CountingInputIteratorIllEEPS6_NSA_22TransformInputIteratorIb7NonZeroIdEPdlEENS0_5tupleIJPlS6_EEENSJ_IJSD_SD_EEES6_SK_JS6_EEE10hipError_tPvRmT3_T4_T5_T6_T7_T9_mT8_P12ihipStream_tbDpT10_ENKUlT_T0_E_clISt17integral_constantIbLb0EES15_IbLb1EEEEDaS11_S12_EUlS11_E_NS1_11comp_targetILNS1_3genE9ELNS1_11target_archE1100ELNS1_3gpuE3ELNS1_3repE0EEENS1_30default_config_static_selectorELNS0_4arch9wavefront6targetE0EEEvT1_
		.amdhsa_group_segment_fixed_size 6160
		.amdhsa_private_segment_fixed_size 0
		.amdhsa_kernarg_size 136
		.amdhsa_user_sgpr_count 15
		.amdhsa_user_sgpr_dispatch_ptr 0
		.amdhsa_user_sgpr_queue_ptr 0
		.amdhsa_user_sgpr_kernarg_segment_ptr 1
		.amdhsa_user_sgpr_dispatch_id 0
		.amdhsa_user_sgpr_private_segment_size 0
		.amdhsa_wavefront_size32 1
		.amdhsa_uses_dynamic_stack 0
		.amdhsa_enable_private_segment 0
		.amdhsa_system_sgpr_workgroup_id_x 1
		.amdhsa_system_sgpr_workgroup_id_y 0
		.amdhsa_system_sgpr_workgroup_id_z 0
		.amdhsa_system_sgpr_workgroup_info 0
		.amdhsa_system_vgpr_workitem_id 0
		.amdhsa_next_free_vgpr 57
		.amdhsa_next_free_sgpr 24
		.amdhsa_reserve_vcc 1
		.amdhsa_float_round_mode_32 0
		.amdhsa_float_round_mode_16_64 0
		.amdhsa_float_denorm_mode_32 3
		.amdhsa_float_denorm_mode_16_64 3
		.amdhsa_dx10_clamp 1
		.amdhsa_ieee_mode 1
		.amdhsa_fp16_overflow 0
		.amdhsa_workgroup_processor_mode 1
		.amdhsa_memory_ordered 1
		.amdhsa_forward_progress 0
		.amdhsa_shared_vgpr_count 0
		.amdhsa_exception_fp_ieee_invalid_op 0
		.amdhsa_exception_fp_denorm_src 0
		.amdhsa_exception_fp_ieee_div_zero 0
		.amdhsa_exception_fp_ieee_overflow 0
		.amdhsa_exception_fp_ieee_underflow 0
		.amdhsa_exception_fp_ieee_inexact 0
		.amdhsa_exception_int_div_zero 0
	.end_amdhsa_kernel
	.section	.text._ZN7rocprim17ROCPRIM_400000_NS6detail17trampoline_kernelINS0_14default_configENS1_25partition_config_selectorILNS1_17partition_subalgoE5ElNS0_10empty_typeEbEEZZNS1_14partition_implILS5_5ELb0ES3_mN6hipcub16HIPCUB_304000_NS21CountingInputIteratorIllEEPS6_NSA_22TransformInputIteratorIb7NonZeroIdEPdlEENS0_5tupleIJPlS6_EEENSJ_IJSD_SD_EEES6_SK_JS6_EEE10hipError_tPvRmT3_T4_T5_T6_T7_T9_mT8_P12ihipStream_tbDpT10_ENKUlT_T0_E_clISt17integral_constantIbLb0EES15_IbLb1EEEEDaS11_S12_EUlS11_E_NS1_11comp_targetILNS1_3genE9ELNS1_11target_archE1100ELNS1_3gpuE3ELNS1_3repE0EEENS1_30default_config_static_selectorELNS0_4arch9wavefront6targetE0EEEvT1_,"axG",@progbits,_ZN7rocprim17ROCPRIM_400000_NS6detail17trampoline_kernelINS0_14default_configENS1_25partition_config_selectorILNS1_17partition_subalgoE5ElNS0_10empty_typeEbEEZZNS1_14partition_implILS5_5ELb0ES3_mN6hipcub16HIPCUB_304000_NS21CountingInputIteratorIllEEPS6_NSA_22TransformInputIteratorIb7NonZeroIdEPdlEENS0_5tupleIJPlS6_EEENSJ_IJSD_SD_EEES6_SK_JS6_EEE10hipError_tPvRmT3_T4_T5_T6_T7_T9_mT8_P12ihipStream_tbDpT10_ENKUlT_T0_E_clISt17integral_constantIbLb0EES15_IbLb1EEEEDaS11_S12_EUlS11_E_NS1_11comp_targetILNS1_3genE9ELNS1_11target_archE1100ELNS1_3gpuE3ELNS1_3repE0EEENS1_30default_config_static_selectorELNS0_4arch9wavefront6targetE0EEEvT1_,comdat
.Lfunc_end351:
	.size	_ZN7rocprim17ROCPRIM_400000_NS6detail17trampoline_kernelINS0_14default_configENS1_25partition_config_selectorILNS1_17partition_subalgoE5ElNS0_10empty_typeEbEEZZNS1_14partition_implILS5_5ELb0ES3_mN6hipcub16HIPCUB_304000_NS21CountingInputIteratorIllEEPS6_NSA_22TransformInputIteratorIb7NonZeroIdEPdlEENS0_5tupleIJPlS6_EEENSJ_IJSD_SD_EEES6_SK_JS6_EEE10hipError_tPvRmT3_T4_T5_T6_T7_T9_mT8_P12ihipStream_tbDpT10_ENKUlT_T0_E_clISt17integral_constantIbLb0EES15_IbLb1EEEEDaS11_S12_EUlS11_E_NS1_11comp_targetILNS1_3genE9ELNS1_11target_archE1100ELNS1_3gpuE3ELNS1_3repE0EEENS1_30default_config_static_selectorELNS0_4arch9wavefront6targetE0EEEvT1_, .Lfunc_end351-_ZN7rocprim17ROCPRIM_400000_NS6detail17trampoline_kernelINS0_14default_configENS1_25partition_config_selectorILNS1_17partition_subalgoE5ElNS0_10empty_typeEbEEZZNS1_14partition_implILS5_5ELb0ES3_mN6hipcub16HIPCUB_304000_NS21CountingInputIteratorIllEEPS6_NSA_22TransformInputIteratorIb7NonZeroIdEPdlEENS0_5tupleIJPlS6_EEENSJ_IJSD_SD_EEES6_SK_JS6_EEE10hipError_tPvRmT3_T4_T5_T6_T7_T9_mT8_P12ihipStream_tbDpT10_ENKUlT_T0_E_clISt17integral_constantIbLb0EES15_IbLb1EEEEDaS11_S12_EUlS11_E_NS1_11comp_targetILNS1_3genE9ELNS1_11target_archE1100ELNS1_3gpuE3ELNS1_3repE0EEENS1_30default_config_static_selectorELNS0_4arch9wavefront6targetE0EEEvT1_
                                        ; -- End function
	.section	.AMDGPU.csdata,"",@progbits
; Kernel info:
; codeLenInByte = 6556
; NumSgprs: 26
; NumVgprs: 57
; ScratchSize: 0
; MemoryBound: 0
; FloatMode: 240
; IeeeMode: 1
; LDSByteSize: 6160 bytes/workgroup (compile time only)
; SGPRBlocks: 3
; VGPRBlocks: 7
; NumSGPRsForWavesPerEU: 26
; NumVGPRsForWavesPerEU: 57
; Occupancy: 16
; WaveLimiterHint : 1
; COMPUTE_PGM_RSRC2:SCRATCH_EN: 0
; COMPUTE_PGM_RSRC2:USER_SGPR: 15
; COMPUTE_PGM_RSRC2:TRAP_HANDLER: 0
; COMPUTE_PGM_RSRC2:TGID_X_EN: 1
; COMPUTE_PGM_RSRC2:TGID_Y_EN: 0
; COMPUTE_PGM_RSRC2:TGID_Z_EN: 0
; COMPUTE_PGM_RSRC2:TIDIG_COMP_CNT: 0
	.section	.text._ZN7rocprim17ROCPRIM_400000_NS6detail17trampoline_kernelINS0_14default_configENS1_25partition_config_selectorILNS1_17partition_subalgoE5ElNS0_10empty_typeEbEEZZNS1_14partition_implILS5_5ELb0ES3_mN6hipcub16HIPCUB_304000_NS21CountingInputIteratorIllEEPS6_NSA_22TransformInputIteratorIb7NonZeroIdEPdlEENS0_5tupleIJPlS6_EEENSJ_IJSD_SD_EEES6_SK_JS6_EEE10hipError_tPvRmT3_T4_T5_T6_T7_T9_mT8_P12ihipStream_tbDpT10_ENKUlT_T0_E_clISt17integral_constantIbLb0EES15_IbLb1EEEEDaS11_S12_EUlS11_E_NS1_11comp_targetILNS1_3genE8ELNS1_11target_archE1030ELNS1_3gpuE2ELNS1_3repE0EEENS1_30default_config_static_selectorELNS0_4arch9wavefront6targetE0EEEvT1_,"axG",@progbits,_ZN7rocprim17ROCPRIM_400000_NS6detail17trampoline_kernelINS0_14default_configENS1_25partition_config_selectorILNS1_17partition_subalgoE5ElNS0_10empty_typeEbEEZZNS1_14partition_implILS5_5ELb0ES3_mN6hipcub16HIPCUB_304000_NS21CountingInputIteratorIllEEPS6_NSA_22TransformInputIteratorIb7NonZeroIdEPdlEENS0_5tupleIJPlS6_EEENSJ_IJSD_SD_EEES6_SK_JS6_EEE10hipError_tPvRmT3_T4_T5_T6_T7_T9_mT8_P12ihipStream_tbDpT10_ENKUlT_T0_E_clISt17integral_constantIbLb0EES15_IbLb1EEEEDaS11_S12_EUlS11_E_NS1_11comp_targetILNS1_3genE8ELNS1_11target_archE1030ELNS1_3gpuE2ELNS1_3repE0EEENS1_30default_config_static_selectorELNS0_4arch9wavefront6targetE0EEEvT1_,comdat
	.protected	_ZN7rocprim17ROCPRIM_400000_NS6detail17trampoline_kernelINS0_14default_configENS1_25partition_config_selectorILNS1_17partition_subalgoE5ElNS0_10empty_typeEbEEZZNS1_14partition_implILS5_5ELb0ES3_mN6hipcub16HIPCUB_304000_NS21CountingInputIteratorIllEEPS6_NSA_22TransformInputIteratorIb7NonZeroIdEPdlEENS0_5tupleIJPlS6_EEENSJ_IJSD_SD_EEES6_SK_JS6_EEE10hipError_tPvRmT3_T4_T5_T6_T7_T9_mT8_P12ihipStream_tbDpT10_ENKUlT_T0_E_clISt17integral_constantIbLb0EES15_IbLb1EEEEDaS11_S12_EUlS11_E_NS1_11comp_targetILNS1_3genE8ELNS1_11target_archE1030ELNS1_3gpuE2ELNS1_3repE0EEENS1_30default_config_static_selectorELNS0_4arch9wavefront6targetE0EEEvT1_ ; -- Begin function _ZN7rocprim17ROCPRIM_400000_NS6detail17trampoline_kernelINS0_14default_configENS1_25partition_config_selectorILNS1_17partition_subalgoE5ElNS0_10empty_typeEbEEZZNS1_14partition_implILS5_5ELb0ES3_mN6hipcub16HIPCUB_304000_NS21CountingInputIteratorIllEEPS6_NSA_22TransformInputIteratorIb7NonZeroIdEPdlEENS0_5tupleIJPlS6_EEENSJ_IJSD_SD_EEES6_SK_JS6_EEE10hipError_tPvRmT3_T4_T5_T6_T7_T9_mT8_P12ihipStream_tbDpT10_ENKUlT_T0_E_clISt17integral_constantIbLb0EES15_IbLb1EEEEDaS11_S12_EUlS11_E_NS1_11comp_targetILNS1_3genE8ELNS1_11target_archE1030ELNS1_3gpuE2ELNS1_3repE0EEENS1_30default_config_static_selectorELNS0_4arch9wavefront6targetE0EEEvT1_
	.globl	_ZN7rocprim17ROCPRIM_400000_NS6detail17trampoline_kernelINS0_14default_configENS1_25partition_config_selectorILNS1_17partition_subalgoE5ElNS0_10empty_typeEbEEZZNS1_14partition_implILS5_5ELb0ES3_mN6hipcub16HIPCUB_304000_NS21CountingInputIteratorIllEEPS6_NSA_22TransformInputIteratorIb7NonZeroIdEPdlEENS0_5tupleIJPlS6_EEENSJ_IJSD_SD_EEES6_SK_JS6_EEE10hipError_tPvRmT3_T4_T5_T6_T7_T9_mT8_P12ihipStream_tbDpT10_ENKUlT_T0_E_clISt17integral_constantIbLb0EES15_IbLb1EEEEDaS11_S12_EUlS11_E_NS1_11comp_targetILNS1_3genE8ELNS1_11target_archE1030ELNS1_3gpuE2ELNS1_3repE0EEENS1_30default_config_static_selectorELNS0_4arch9wavefront6targetE0EEEvT1_
	.p2align	8
	.type	_ZN7rocprim17ROCPRIM_400000_NS6detail17trampoline_kernelINS0_14default_configENS1_25partition_config_selectorILNS1_17partition_subalgoE5ElNS0_10empty_typeEbEEZZNS1_14partition_implILS5_5ELb0ES3_mN6hipcub16HIPCUB_304000_NS21CountingInputIteratorIllEEPS6_NSA_22TransformInputIteratorIb7NonZeroIdEPdlEENS0_5tupleIJPlS6_EEENSJ_IJSD_SD_EEES6_SK_JS6_EEE10hipError_tPvRmT3_T4_T5_T6_T7_T9_mT8_P12ihipStream_tbDpT10_ENKUlT_T0_E_clISt17integral_constantIbLb0EES15_IbLb1EEEEDaS11_S12_EUlS11_E_NS1_11comp_targetILNS1_3genE8ELNS1_11target_archE1030ELNS1_3gpuE2ELNS1_3repE0EEENS1_30default_config_static_selectorELNS0_4arch9wavefront6targetE0EEEvT1_,@function
_ZN7rocprim17ROCPRIM_400000_NS6detail17trampoline_kernelINS0_14default_configENS1_25partition_config_selectorILNS1_17partition_subalgoE5ElNS0_10empty_typeEbEEZZNS1_14partition_implILS5_5ELb0ES3_mN6hipcub16HIPCUB_304000_NS21CountingInputIteratorIllEEPS6_NSA_22TransformInputIteratorIb7NonZeroIdEPdlEENS0_5tupleIJPlS6_EEENSJ_IJSD_SD_EEES6_SK_JS6_EEE10hipError_tPvRmT3_T4_T5_T6_T7_T9_mT8_P12ihipStream_tbDpT10_ENKUlT_T0_E_clISt17integral_constantIbLb0EES15_IbLb1EEEEDaS11_S12_EUlS11_E_NS1_11comp_targetILNS1_3genE8ELNS1_11target_archE1030ELNS1_3gpuE2ELNS1_3repE0EEENS1_30default_config_static_selectorELNS0_4arch9wavefront6targetE0EEEvT1_: ; @_ZN7rocprim17ROCPRIM_400000_NS6detail17trampoline_kernelINS0_14default_configENS1_25partition_config_selectorILNS1_17partition_subalgoE5ElNS0_10empty_typeEbEEZZNS1_14partition_implILS5_5ELb0ES3_mN6hipcub16HIPCUB_304000_NS21CountingInputIteratorIllEEPS6_NSA_22TransformInputIteratorIb7NonZeroIdEPdlEENS0_5tupleIJPlS6_EEENSJ_IJSD_SD_EEES6_SK_JS6_EEE10hipError_tPvRmT3_T4_T5_T6_T7_T9_mT8_P12ihipStream_tbDpT10_ENKUlT_T0_E_clISt17integral_constantIbLb0EES15_IbLb1EEEEDaS11_S12_EUlS11_E_NS1_11comp_targetILNS1_3genE8ELNS1_11target_archE1030ELNS1_3gpuE2ELNS1_3repE0EEENS1_30default_config_static_selectorELNS0_4arch9wavefront6targetE0EEEvT1_
; %bb.0:
	.section	.rodata,"a",@progbits
	.p2align	6, 0x0
	.amdhsa_kernel _ZN7rocprim17ROCPRIM_400000_NS6detail17trampoline_kernelINS0_14default_configENS1_25partition_config_selectorILNS1_17partition_subalgoE5ElNS0_10empty_typeEbEEZZNS1_14partition_implILS5_5ELb0ES3_mN6hipcub16HIPCUB_304000_NS21CountingInputIteratorIllEEPS6_NSA_22TransformInputIteratorIb7NonZeroIdEPdlEENS0_5tupleIJPlS6_EEENSJ_IJSD_SD_EEES6_SK_JS6_EEE10hipError_tPvRmT3_T4_T5_T6_T7_T9_mT8_P12ihipStream_tbDpT10_ENKUlT_T0_E_clISt17integral_constantIbLb0EES15_IbLb1EEEEDaS11_S12_EUlS11_E_NS1_11comp_targetILNS1_3genE8ELNS1_11target_archE1030ELNS1_3gpuE2ELNS1_3repE0EEENS1_30default_config_static_selectorELNS0_4arch9wavefront6targetE0EEEvT1_
		.amdhsa_group_segment_fixed_size 0
		.amdhsa_private_segment_fixed_size 0
		.amdhsa_kernarg_size 136
		.amdhsa_user_sgpr_count 15
		.amdhsa_user_sgpr_dispatch_ptr 0
		.amdhsa_user_sgpr_queue_ptr 0
		.amdhsa_user_sgpr_kernarg_segment_ptr 1
		.amdhsa_user_sgpr_dispatch_id 0
		.amdhsa_user_sgpr_private_segment_size 0
		.amdhsa_wavefront_size32 1
		.amdhsa_uses_dynamic_stack 0
		.amdhsa_enable_private_segment 0
		.amdhsa_system_sgpr_workgroup_id_x 1
		.amdhsa_system_sgpr_workgroup_id_y 0
		.amdhsa_system_sgpr_workgroup_id_z 0
		.amdhsa_system_sgpr_workgroup_info 0
		.amdhsa_system_vgpr_workitem_id 0
		.amdhsa_next_free_vgpr 1
		.amdhsa_next_free_sgpr 1
		.amdhsa_reserve_vcc 0
		.amdhsa_float_round_mode_32 0
		.amdhsa_float_round_mode_16_64 0
		.amdhsa_float_denorm_mode_32 3
		.amdhsa_float_denorm_mode_16_64 3
		.amdhsa_dx10_clamp 1
		.amdhsa_ieee_mode 1
		.amdhsa_fp16_overflow 0
		.amdhsa_workgroup_processor_mode 1
		.amdhsa_memory_ordered 1
		.amdhsa_forward_progress 0
		.amdhsa_shared_vgpr_count 0
		.amdhsa_exception_fp_ieee_invalid_op 0
		.amdhsa_exception_fp_denorm_src 0
		.amdhsa_exception_fp_ieee_div_zero 0
		.amdhsa_exception_fp_ieee_overflow 0
		.amdhsa_exception_fp_ieee_underflow 0
		.amdhsa_exception_fp_ieee_inexact 0
		.amdhsa_exception_int_div_zero 0
	.end_amdhsa_kernel
	.section	.text._ZN7rocprim17ROCPRIM_400000_NS6detail17trampoline_kernelINS0_14default_configENS1_25partition_config_selectorILNS1_17partition_subalgoE5ElNS0_10empty_typeEbEEZZNS1_14partition_implILS5_5ELb0ES3_mN6hipcub16HIPCUB_304000_NS21CountingInputIteratorIllEEPS6_NSA_22TransformInputIteratorIb7NonZeroIdEPdlEENS0_5tupleIJPlS6_EEENSJ_IJSD_SD_EEES6_SK_JS6_EEE10hipError_tPvRmT3_T4_T5_T6_T7_T9_mT8_P12ihipStream_tbDpT10_ENKUlT_T0_E_clISt17integral_constantIbLb0EES15_IbLb1EEEEDaS11_S12_EUlS11_E_NS1_11comp_targetILNS1_3genE8ELNS1_11target_archE1030ELNS1_3gpuE2ELNS1_3repE0EEENS1_30default_config_static_selectorELNS0_4arch9wavefront6targetE0EEEvT1_,"axG",@progbits,_ZN7rocprim17ROCPRIM_400000_NS6detail17trampoline_kernelINS0_14default_configENS1_25partition_config_selectorILNS1_17partition_subalgoE5ElNS0_10empty_typeEbEEZZNS1_14partition_implILS5_5ELb0ES3_mN6hipcub16HIPCUB_304000_NS21CountingInputIteratorIllEEPS6_NSA_22TransformInputIteratorIb7NonZeroIdEPdlEENS0_5tupleIJPlS6_EEENSJ_IJSD_SD_EEES6_SK_JS6_EEE10hipError_tPvRmT3_T4_T5_T6_T7_T9_mT8_P12ihipStream_tbDpT10_ENKUlT_T0_E_clISt17integral_constantIbLb0EES15_IbLb1EEEEDaS11_S12_EUlS11_E_NS1_11comp_targetILNS1_3genE8ELNS1_11target_archE1030ELNS1_3gpuE2ELNS1_3repE0EEENS1_30default_config_static_selectorELNS0_4arch9wavefront6targetE0EEEvT1_,comdat
.Lfunc_end352:
	.size	_ZN7rocprim17ROCPRIM_400000_NS6detail17trampoline_kernelINS0_14default_configENS1_25partition_config_selectorILNS1_17partition_subalgoE5ElNS0_10empty_typeEbEEZZNS1_14partition_implILS5_5ELb0ES3_mN6hipcub16HIPCUB_304000_NS21CountingInputIteratorIllEEPS6_NSA_22TransformInputIteratorIb7NonZeroIdEPdlEENS0_5tupleIJPlS6_EEENSJ_IJSD_SD_EEES6_SK_JS6_EEE10hipError_tPvRmT3_T4_T5_T6_T7_T9_mT8_P12ihipStream_tbDpT10_ENKUlT_T0_E_clISt17integral_constantIbLb0EES15_IbLb1EEEEDaS11_S12_EUlS11_E_NS1_11comp_targetILNS1_3genE8ELNS1_11target_archE1030ELNS1_3gpuE2ELNS1_3repE0EEENS1_30default_config_static_selectorELNS0_4arch9wavefront6targetE0EEEvT1_, .Lfunc_end352-_ZN7rocprim17ROCPRIM_400000_NS6detail17trampoline_kernelINS0_14default_configENS1_25partition_config_selectorILNS1_17partition_subalgoE5ElNS0_10empty_typeEbEEZZNS1_14partition_implILS5_5ELb0ES3_mN6hipcub16HIPCUB_304000_NS21CountingInputIteratorIllEEPS6_NSA_22TransformInputIteratorIb7NonZeroIdEPdlEENS0_5tupleIJPlS6_EEENSJ_IJSD_SD_EEES6_SK_JS6_EEE10hipError_tPvRmT3_T4_T5_T6_T7_T9_mT8_P12ihipStream_tbDpT10_ENKUlT_T0_E_clISt17integral_constantIbLb0EES15_IbLb1EEEEDaS11_S12_EUlS11_E_NS1_11comp_targetILNS1_3genE8ELNS1_11target_archE1030ELNS1_3gpuE2ELNS1_3repE0EEENS1_30default_config_static_selectorELNS0_4arch9wavefront6targetE0EEEvT1_
                                        ; -- End function
	.section	.AMDGPU.csdata,"",@progbits
; Kernel info:
; codeLenInByte = 0
; NumSgprs: 0
; NumVgprs: 0
; ScratchSize: 0
; MemoryBound: 0
; FloatMode: 240
; IeeeMode: 1
; LDSByteSize: 0 bytes/workgroup (compile time only)
; SGPRBlocks: 0
; VGPRBlocks: 0
; NumSGPRsForWavesPerEU: 1
; NumVGPRsForWavesPerEU: 1
; Occupancy: 16
; WaveLimiterHint : 0
; COMPUTE_PGM_RSRC2:SCRATCH_EN: 0
; COMPUTE_PGM_RSRC2:USER_SGPR: 15
; COMPUTE_PGM_RSRC2:TRAP_HANDLER: 0
; COMPUTE_PGM_RSRC2:TGID_X_EN: 1
; COMPUTE_PGM_RSRC2:TGID_Y_EN: 0
; COMPUTE_PGM_RSRC2:TGID_Z_EN: 0
; COMPUTE_PGM_RSRC2:TIDIG_COMP_CNT: 0
	.text
	.p2alignl 7, 3214868480
	.fill 96, 4, 3214868480
	.type	__hip_cuid_228f3f54cb16b9c0,@object ; @__hip_cuid_228f3f54cb16b9c0
	.section	.bss,"aw",@nobits
	.globl	__hip_cuid_228f3f54cb16b9c0
__hip_cuid_228f3f54cb16b9c0:
	.byte	0                               ; 0x0
	.size	__hip_cuid_228f3f54cb16b9c0, 1

	.ident	"AMD clang version 19.0.0git (https://github.com/RadeonOpenCompute/llvm-project roc-6.4.0 25133 c7fe45cf4b819c5991fe208aaa96edf142730f1d)"
	.section	".note.GNU-stack","",@progbits
	.addrsig
	.addrsig_sym __hip_cuid_228f3f54cb16b9c0
	.amdgpu_metadata
---
amdhsa.kernels:
  - .args:
      - .offset:         0
        .size:           64
        .value_kind:     by_value
    .group_segment_fixed_size: 0
    .kernarg_segment_align: 8
    .kernarg_segment_size: 64
    .language:       OpenCL C
    .language_version:
      - 2
      - 0
    .max_flat_workgroup_size: 256
    .name:           _ZN7rocprim17ROCPRIM_400000_NS6detail17trampoline_kernelINS0_14default_configENS1_22reduce_config_selectorIlEEZNS1_11reduce_implILb1ES3_PlS7_lN6hipcub16HIPCUB_304000_NS6detail34convert_binary_result_type_wrapperINS9_3SumENS9_22TransformInputIteratorIb7NonZeroIaEPalEElEEEE10hipError_tPvRmT1_T2_T3_mT4_P12ihipStream_tbEUlT_E0_NS1_11comp_targetILNS1_3genE0ELNS1_11target_archE4294967295ELNS1_3gpuE0ELNS1_3repE0EEENS1_30default_config_static_selectorELNS0_4arch9wavefront6targetE0EEEvSM_
    .private_segment_fixed_size: 0
    .sgpr_count:     0
    .sgpr_spill_count: 0
    .symbol:         _ZN7rocprim17ROCPRIM_400000_NS6detail17trampoline_kernelINS0_14default_configENS1_22reduce_config_selectorIlEEZNS1_11reduce_implILb1ES3_PlS7_lN6hipcub16HIPCUB_304000_NS6detail34convert_binary_result_type_wrapperINS9_3SumENS9_22TransformInputIteratorIb7NonZeroIaEPalEElEEEE10hipError_tPvRmT1_T2_T3_mT4_P12ihipStream_tbEUlT_E0_NS1_11comp_targetILNS1_3genE0ELNS1_11target_archE4294967295ELNS1_3gpuE0ELNS1_3repE0EEENS1_30default_config_static_selectorELNS0_4arch9wavefront6targetE0EEEvSM_.kd
    .uniform_work_group_size: 1
    .uses_dynamic_stack: false
    .vgpr_count:     0
    .vgpr_spill_count: 0
    .wavefront_size: 32
    .workgroup_processor_mode: 1
  - .args:
      - .offset:         0
        .size:           64
        .value_kind:     by_value
    .group_segment_fixed_size: 0
    .kernarg_segment_align: 8
    .kernarg_segment_size: 64
    .language:       OpenCL C
    .language_version:
      - 2
      - 0
    .max_flat_workgroup_size: 256
    .name:           _ZN7rocprim17ROCPRIM_400000_NS6detail17trampoline_kernelINS0_14default_configENS1_22reduce_config_selectorIlEEZNS1_11reduce_implILb1ES3_PlS7_lN6hipcub16HIPCUB_304000_NS6detail34convert_binary_result_type_wrapperINS9_3SumENS9_22TransformInputIteratorIb7NonZeroIaEPalEElEEEE10hipError_tPvRmT1_T2_T3_mT4_P12ihipStream_tbEUlT_E0_NS1_11comp_targetILNS1_3genE5ELNS1_11target_archE942ELNS1_3gpuE9ELNS1_3repE0EEENS1_30default_config_static_selectorELNS0_4arch9wavefront6targetE0EEEvSM_
    .private_segment_fixed_size: 0
    .sgpr_count:     0
    .sgpr_spill_count: 0
    .symbol:         _ZN7rocprim17ROCPRIM_400000_NS6detail17trampoline_kernelINS0_14default_configENS1_22reduce_config_selectorIlEEZNS1_11reduce_implILb1ES3_PlS7_lN6hipcub16HIPCUB_304000_NS6detail34convert_binary_result_type_wrapperINS9_3SumENS9_22TransformInputIteratorIb7NonZeroIaEPalEElEEEE10hipError_tPvRmT1_T2_T3_mT4_P12ihipStream_tbEUlT_E0_NS1_11comp_targetILNS1_3genE5ELNS1_11target_archE942ELNS1_3gpuE9ELNS1_3repE0EEENS1_30default_config_static_selectorELNS0_4arch9wavefront6targetE0EEEvSM_.kd
    .uniform_work_group_size: 1
    .uses_dynamic_stack: false
    .vgpr_count:     0
    .vgpr_spill_count: 0
    .wavefront_size: 32
    .workgroup_processor_mode: 1
  - .args:
      - .offset:         0
        .size:           64
        .value_kind:     by_value
    .group_segment_fixed_size: 0
    .kernarg_segment_align: 8
    .kernarg_segment_size: 64
    .language:       OpenCL C
    .language_version:
      - 2
      - 0
    .max_flat_workgroup_size: 256
    .name:           _ZN7rocprim17ROCPRIM_400000_NS6detail17trampoline_kernelINS0_14default_configENS1_22reduce_config_selectorIlEEZNS1_11reduce_implILb1ES3_PlS7_lN6hipcub16HIPCUB_304000_NS6detail34convert_binary_result_type_wrapperINS9_3SumENS9_22TransformInputIteratorIb7NonZeroIaEPalEElEEEE10hipError_tPvRmT1_T2_T3_mT4_P12ihipStream_tbEUlT_E0_NS1_11comp_targetILNS1_3genE4ELNS1_11target_archE910ELNS1_3gpuE8ELNS1_3repE0EEENS1_30default_config_static_selectorELNS0_4arch9wavefront6targetE0EEEvSM_
    .private_segment_fixed_size: 0
    .sgpr_count:     0
    .sgpr_spill_count: 0
    .symbol:         _ZN7rocprim17ROCPRIM_400000_NS6detail17trampoline_kernelINS0_14default_configENS1_22reduce_config_selectorIlEEZNS1_11reduce_implILb1ES3_PlS7_lN6hipcub16HIPCUB_304000_NS6detail34convert_binary_result_type_wrapperINS9_3SumENS9_22TransformInputIteratorIb7NonZeroIaEPalEElEEEE10hipError_tPvRmT1_T2_T3_mT4_P12ihipStream_tbEUlT_E0_NS1_11comp_targetILNS1_3genE4ELNS1_11target_archE910ELNS1_3gpuE8ELNS1_3repE0EEENS1_30default_config_static_selectorELNS0_4arch9wavefront6targetE0EEEvSM_.kd
    .uniform_work_group_size: 1
    .uses_dynamic_stack: false
    .vgpr_count:     0
    .vgpr_spill_count: 0
    .wavefront_size: 32
    .workgroup_processor_mode: 1
  - .args:
      - .offset:         0
        .size:           64
        .value_kind:     by_value
    .group_segment_fixed_size: 0
    .kernarg_segment_align: 8
    .kernarg_segment_size: 64
    .language:       OpenCL C
    .language_version:
      - 2
      - 0
    .max_flat_workgroup_size: 256
    .name:           _ZN7rocprim17ROCPRIM_400000_NS6detail17trampoline_kernelINS0_14default_configENS1_22reduce_config_selectorIlEEZNS1_11reduce_implILb1ES3_PlS7_lN6hipcub16HIPCUB_304000_NS6detail34convert_binary_result_type_wrapperINS9_3SumENS9_22TransformInputIteratorIb7NonZeroIaEPalEElEEEE10hipError_tPvRmT1_T2_T3_mT4_P12ihipStream_tbEUlT_E0_NS1_11comp_targetILNS1_3genE3ELNS1_11target_archE908ELNS1_3gpuE7ELNS1_3repE0EEENS1_30default_config_static_selectorELNS0_4arch9wavefront6targetE0EEEvSM_
    .private_segment_fixed_size: 0
    .sgpr_count:     0
    .sgpr_spill_count: 0
    .symbol:         _ZN7rocprim17ROCPRIM_400000_NS6detail17trampoline_kernelINS0_14default_configENS1_22reduce_config_selectorIlEEZNS1_11reduce_implILb1ES3_PlS7_lN6hipcub16HIPCUB_304000_NS6detail34convert_binary_result_type_wrapperINS9_3SumENS9_22TransformInputIteratorIb7NonZeroIaEPalEElEEEE10hipError_tPvRmT1_T2_T3_mT4_P12ihipStream_tbEUlT_E0_NS1_11comp_targetILNS1_3genE3ELNS1_11target_archE908ELNS1_3gpuE7ELNS1_3repE0EEENS1_30default_config_static_selectorELNS0_4arch9wavefront6targetE0EEEvSM_.kd
    .uniform_work_group_size: 1
    .uses_dynamic_stack: false
    .vgpr_count:     0
    .vgpr_spill_count: 0
    .wavefront_size: 32
    .workgroup_processor_mode: 1
  - .args:
      - .offset:         0
        .size:           64
        .value_kind:     by_value
    .group_segment_fixed_size: 0
    .kernarg_segment_align: 8
    .kernarg_segment_size: 64
    .language:       OpenCL C
    .language_version:
      - 2
      - 0
    .max_flat_workgroup_size: 256
    .name:           _ZN7rocprim17ROCPRIM_400000_NS6detail17trampoline_kernelINS0_14default_configENS1_22reduce_config_selectorIlEEZNS1_11reduce_implILb1ES3_PlS7_lN6hipcub16HIPCUB_304000_NS6detail34convert_binary_result_type_wrapperINS9_3SumENS9_22TransformInputIteratorIb7NonZeroIaEPalEElEEEE10hipError_tPvRmT1_T2_T3_mT4_P12ihipStream_tbEUlT_E0_NS1_11comp_targetILNS1_3genE2ELNS1_11target_archE906ELNS1_3gpuE6ELNS1_3repE0EEENS1_30default_config_static_selectorELNS0_4arch9wavefront6targetE0EEEvSM_
    .private_segment_fixed_size: 0
    .sgpr_count:     0
    .sgpr_spill_count: 0
    .symbol:         _ZN7rocprim17ROCPRIM_400000_NS6detail17trampoline_kernelINS0_14default_configENS1_22reduce_config_selectorIlEEZNS1_11reduce_implILb1ES3_PlS7_lN6hipcub16HIPCUB_304000_NS6detail34convert_binary_result_type_wrapperINS9_3SumENS9_22TransformInputIteratorIb7NonZeroIaEPalEElEEEE10hipError_tPvRmT1_T2_T3_mT4_P12ihipStream_tbEUlT_E0_NS1_11comp_targetILNS1_3genE2ELNS1_11target_archE906ELNS1_3gpuE6ELNS1_3repE0EEENS1_30default_config_static_selectorELNS0_4arch9wavefront6targetE0EEEvSM_.kd
    .uniform_work_group_size: 1
    .uses_dynamic_stack: false
    .vgpr_count:     0
    .vgpr_spill_count: 0
    .wavefront_size: 32
    .workgroup_processor_mode: 1
  - .args:
      - .offset:         0
        .size:           64
        .value_kind:     by_value
    .group_segment_fixed_size: 0
    .kernarg_segment_align: 8
    .kernarg_segment_size: 64
    .language:       OpenCL C
    .language_version:
      - 2
      - 0
    .max_flat_workgroup_size: 256
    .name:           _ZN7rocprim17ROCPRIM_400000_NS6detail17trampoline_kernelINS0_14default_configENS1_22reduce_config_selectorIlEEZNS1_11reduce_implILb1ES3_PlS7_lN6hipcub16HIPCUB_304000_NS6detail34convert_binary_result_type_wrapperINS9_3SumENS9_22TransformInputIteratorIb7NonZeroIaEPalEElEEEE10hipError_tPvRmT1_T2_T3_mT4_P12ihipStream_tbEUlT_E0_NS1_11comp_targetILNS1_3genE10ELNS1_11target_archE1201ELNS1_3gpuE5ELNS1_3repE0EEENS1_30default_config_static_selectorELNS0_4arch9wavefront6targetE0EEEvSM_
    .private_segment_fixed_size: 0
    .sgpr_count:     0
    .sgpr_spill_count: 0
    .symbol:         _ZN7rocprim17ROCPRIM_400000_NS6detail17trampoline_kernelINS0_14default_configENS1_22reduce_config_selectorIlEEZNS1_11reduce_implILb1ES3_PlS7_lN6hipcub16HIPCUB_304000_NS6detail34convert_binary_result_type_wrapperINS9_3SumENS9_22TransformInputIteratorIb7NonZeroIaEPalEElEEEE10hipError_tPvRmT1_T2_T3_mT4_P12ihipStream_tbEUlT_E0_NS1_11comp_targetILNS1_3genE10ELNS1_11target_archE1201ELNS1_3gpuE5ELNS1_3repE0EEENS1_30default_config_static_selectorELNS0_4arch9wavefront6targetE0EEEvSM_.kd
    .uniform_work_group_size: 1
    .uses_dynamic_stack: false
    .vgpr_count:     0
    .vgpr_spill_count: 0
    .wavefront_size: 32
    .workgroup_processor_mode: 1
  - .args:
      - .offset:         0
        .size:           64
        .value_kind:     by_value
    .group_segment_fixed_size: 0
    .kernarg_segment_align: 8
    .kernarg_segment_size: 64
    .language:       OpenCL C
    .language_version:
      - 2
      - 0
    .max_flat_workgroup_size: 256
    .name:           _ZN7rocprim17ROCPRIM_400000_NS6detail17trampoline_kernelINS0_14default_configENS1_22reduce_config_selectorIlEEZNS1_11reduce_implILb1ES3_PlS7_lN6hipcub16HIPCUB_304000_NS6detail34convert_binary_result_type_wrapperINS9_3SumENS9_22TransformInputIteratorIb7NonZeroIaEPalEElEEEE10hipError_tPvRmT1_T2_T3_mT4_P12ihipStream_tbEUlT_E0_NS1_11comp_targetILNS1_3genE10ELNS1_11target_archE1200ELNS1_3gpuE4ELNS1_3repE0EEENS1_30default_config_static_selectorELNS0_4arch9wavefront6targetE0EEEvSM_
    .private_segment_fixed_size: 0
    .sgpr_count:     0
    .sgpr_spill_count: 0
    .symbol:         _ZN7rocprim17ROCPRIM_400000_NS6detail17trampoline_kernelINS0_14default_configENS1_22reduce_config_selectorIlEEZNS1_11reduce_implILb1ES3_PlS7_lN6hipcub16HIPCUB_304000_NS6detail34convert_binary_result_type_wrapperINS9_3SumENS9_22TransformInputIteratorIb7NonZeroIaEPalEElEEEE10hipError_tPvRmT1_T2_T3_mT4_P12ihipStream_tbEUlT_E0_NS1_11comp_targetILNS1_3genE10ELNS1_11target_archE1200ELNS1_3gpuE4ELNS1_3repE0EEENS1_30default_config_static_selectorELNS0_4arch9wavefront6targetE0EEEvSM_.kd
    .uniform_work_group_size: 1
    .uses_dynamic_stack: false
    .vgpr_count:     0
    .vgpr_spill_count: 0
    .wavefront_size: 32
    .workgroup_processor_mode: 1
  - .args:
      - .offset:         0
        .size:           64
        .value_kind:     by_value
    .group_segment_fixed_size: 128
    .kernarg_segment_align: 8
    .kernarg_segment_size: 64
    .language:       OpenCL C
    .language_version:
      - 2
      - 0
    .max_flat_workgroup_size: 256
    .name:           _ZN7rocprim17ROCPRIM_400000_NS6detail17trampoline_kernelINS0_14default_configENS1_22reduce_config_selectorIlEEZNS1_11reduce_implILb1ES3_PlS7_lN6hipcub16HIPCUB_304000_NS6detail34convert_binary_result_type_wrapperINS9_3SumENS9_22TransformInputIteratorIb7NonZeroIaEPalEElEEEE10hipError_tPvRmT1_T2_T3_mT4_P12ihipStream_tbEUlT_E0_NS1_11comp_targetILNS1_3genE9ELNS1_11target_archE1100ELNS1_3gpuE3ELNS1_3repE0EEENS1_30default_config_static_selectorELNS0_4arch9wavefront6targetE0EEEvSM_
    .private_segment_fixed_size: 0
    .sgpr_count:     22
    .sgpr_spill_count: 0
    .symbol:         _ZN7rocprim17ROCPRIM_400000_NS6detail17trampoline_kernelINS0_14default_configENS1_22reduce_config_selectorIlEEZNS1_11reduce_implILb1ES3_PlS7_lN6hipcub16HIPCUB_304000_NS6detail34convert_binary_result_type_wrapperINS9_3SumENS9_22TransformInputIteratorIb7NonZeroIaEPalEElEEEE10hipError_tPvRmT1_T2_T3_mT4_P12ihipStream_tbEUlT_E0_NS1_11comp_targetILNS1_3genE9ELNS1_11target_archE1100ELNS1_3gpuE3ELNS1_3repE0EEENS1_30default_config_static_selectorELNS0_4arch9wavefront6targetE0EEEvSM_.kd
    .uniform_work_group_size: 1
    .uses_dynamic_stack: false
    .vgpr_count:     12
    .vgpr_spill_count: 0
    .wavefront_size: 32
    .workgroup_processor_mode: 1
  - .args:
      - .offset:         0
        .size:           64
        .value_kind:     by_value
    .group_segment_fixed_size: 0
    .kernarg_segment_align: 8
    .kernarg_segment_size: 64
    .language:       OpenCL C
    .language_version:
      - 2
      - 0
    .max_flat_workgroup_size: 256
    .name:           _ZN7rocprim17ROCPRIM_400000_NS6detail17trampoline_kernelINS0_14default_configENS1_22reduce_config_selectorIlEEZNS1_11reduce_implILb1ES3_PlS7_lN6hipcub16HIPCUB_304000_NS6detail34convert_binary_result_type_wrapperINS9_3SumENS9_22TransformInputIteratorIb7NonZeroIaEPalEElEEEE10hipError_tPvRmT1_T2_T3_mT4_P12ihipStream_tbEUlT_E0_NS1_11comp_targetILNS1_3genE8ELNS1_11target_archE1030ELNS1_3gpuE2ELNS1_3repE0EEENS1_30default_config_static_selectorELNS0_4arch9wavefront6targetE0EEEvSM_
    .private_segment_fixed_size: 0
    .sgpr_count:     0
    .sgpr_spill_count: 0
    .symbol:         _ZN7rocprim17ROCPRIM_400000_NS6detail17trampoline_kernelINS0_14default_configENS1_22reduce_config_selectorIlEEZNS1_11reduce_implILb1ES3_PlS7_lN6hipcub16HIPCUB_304000_NS6detail34convert_binary_result_type_wrapperINS9_3SumENS9_22TransformInputIteratorIb7NonZeroIaEPalEElEEEE10hipError_tPvRmT1_T2_T3_mT4_P12ihipStream_tbEUlT_E0_NS1_11comp_targetILNS1_3genE8ELNS1_11target_archE1030ELNS1_3gpuE2ELNS1_3repE0EEENS1_30default_config_static_selectorELNS0_4arch9wavefront6targetE0EEEvSM_.kd
    .uniform_work_group_size: 1
    .uses_dynamic_stack: false
    .vgpr_count:     0
    .vgpr_spill_count: 0
    .wavefront_size: 32
    .workgroup_processor_mode: 1
  - .args:
      - .offset:         0
        .size:           48
        .value_kind:     by_value
    .group_segment_fixed_size: 0
    .kernarg_segment_align: 8
    .kernarg_segment_size: 48
    .language:       OpenCL C
    .language_version:
      - 2
      - 0
    .max_flat_workgroup_size: 256
    .name:           _ZN7rocprim17ROCPRIM_400000_NS6detail17trampoline_kernelINS0_14default_configENS1_22reduce_config_selectorIlEEZNS1_11reduce_implILb1ES3_PlS7_lN6hipcub16HIPCUB_304000_NS6detail34convert_binary_result_type_wrapperINS9_3SumENS9_22TransformInputIteratorIb7NonZeroIaEPalEElEEEE10hipError_tPvRmT1_T2_T3_mT4_P12ihipStream_tbEUlT_E1_NS1_11comp_targetILNS1_3genE0ELNS1_11target_archE4294967295ELNS1_3gpuE0ELNS1_3repE0EEENS1_30default_config_static_selectorELNS0_4arch9wavefront6targetE0EEEvSM_
    .private_segment_fixed_size: 0
    .sgpr_count:     0
    .sgpr_spill_count: 0
    .symbol:         _ZN7rocprim17ROCPRIM_400000_NS6detail17trampoline_kernelINS0_14default_configENS1_22reduce_config_selectorIlEEZNS1_11reduce_implILb1ES3_PlS7_lN6hipcub16HIPCUB_304000_NS6detail34convert_binary_result_type_wrapperINS9_3SumENS9_22TransformInputIteratorIb7NonZeroIaEPalEElEEEE10hipError_tPvRmT1_T2_T3_mT4_P12ihipStream_tbEUlT_E1_NS1_11comp_targetILNS1_3genE0ELNS1_11target_archE4294967295ELNS1_3gpuE0ELNS1_3repE0EEENS1_30default_config_static_selectorELNS0_4arch9wavefront6targetE0EEEvSM_.kd
    .uniform_work_group_size: 1
    .uses_dynamic_stack: false
    .vgpr_count:     0
    .vgpr_spill_count: 0
    .wavefront_size: 32
    .workgroup_processor_mode: 1
  - .args:
      - .offset:         0
        .size:           48
        .value_kind:     by_value
    .group_segment_fixed_size: 0
    .kernarg_segment_align: 8
    .kernarg_segment_size: 48
    .language:       OpenCL C
    .language_version:
      - 2
      - 0
    .max_flat_workgroup_size: 256
    .name:           _ZN7rocprim17ROCPRIM_400000_NS6detail17trampoline_kernelINS0_14default_configENS1_22reduce_config_selectorIlEEZNS1_11reduce_implILb1ES3_PlS7_lN6hipcub16HIPCUB_304000_NS6detail34convert_binary_result_type_wrapperINS9_3SumENS9_22TransformInputIteratorIb7NonZeroIaEPalEElEEEE10hipError_tPvRmT1_T2_T3_mT4_P12ihipStream_tbEUlT_E1_NS1_11comp_targetILNS1_3genE5ELNS1_11target_archE942ELNS1_3gpuE9ELNS1_3repE0EEENS1_30default_config_static_selectorELNS0_4arch9wavefront6targetE0EEEvSM_
    .private_segment_fixed_size: 0
    .sgpr_count:     0
    .sgpr_spill_count: 0
    .symbol:         _ZN7rocprim17ROCPRIM_400000_NS6detail17trampoline_kernelINS0_14default_configENS1_22reduce_config_selectorIlEEZNS1_11reduce_implILb1ES3_PlS7_lN6hipcub16HIPCUB_304000_NS6detail34convert_binary_result_type_wrapperINS9_3SumENS9_22TransformInputIteratorIb7NonZeroIaEPalEElEEEE10hipError_tPvRmT1_T2_T3_mT4_P12ihipStream_tbEUlT_E1_NS1_11comp_targetILNS1_3genE5ELNS1_11target_archE942ELNS1_3gpuE9ELNS1_3repE0EEENS1_30default_config_static_selectorELNS0_4arch9wavefront6targetE0EEEvSM_.kd
    .uniform_work_group_size: 1
    .uses_dynamic_stack: false
    .vgpr_count:     0
    .vgpr_spill_count: 0
    .wavefront_size: 32
    .workgroup_processor_mode: 1
  - .args:
      - .offset:         0
        .size:           48
        .value_kind:     by_value
    .group_segment_fixed_size: 0
    .kernarg_segment_align: 8
    .kernarg_segment_size: 48
    .language:       OpenCL C
    .language_version:
      - 2
      - 0
    .max_flat_workgroup_size: 256
    .name:           _ZN7rocprim17ROCPRIM_400000_NS6detail17trampoline_kernelINS0_14default_configENS1_22reduce_config_selectorIlEEZNS1_11reduce_implILb1ES3_PlS7_lN6hipcub16HIPCUB_304000_NS6detail34convert_binary_result_type_wrapperINS9_3SumENS9_22TransformInputIteratorIb7NonZeroIaEPalEElEEEE10hipError_tPvRmT1_T2_T3_mT4_P12ihipStream_tbEUlT_E1_NS1_11comp_targetILNS1_3genE4ELNS1_11target_archE910ELNS1_3gpuE8ELNS1_3repE0EEENS1_30default_config_static_selectorELNS0_4arch9wavefront6targetE0EEEvSM_
    .private_segment_fixed_size: 0
    .sgpr_count:     0
    .sgpr_spill_count: 0
    .symbol:         _ZN7rocprim17ROCPRIM_400000_NS6detail17trampoline_kernelINS0_14default_configENS1_22reduce_config_selectorIlEEZNS1_11reduce_implILb1ES3_PlS7_lN6hipcub16HIPCUB_304000_NS6detail34convert_binary_result_type_wrapperINS9_3SumENS9_22TransformInputIteratorIb7NonZeroIaEPalEElEEEE10hipError_tPvRmT1_T2_T3_mT4_P12ihipStream_tbEUlT_E1_NS1_11comp_targetILNS1_3genE4ELNS1_11target_archE910ELNS1_3gpuE8ELNS1_3repE0EEENS1_30default_config_static_selectorELNS0_4arch9wavefront6targetE0EEEvSM_.kd
    .uniform_work_group_size: 1
    .uses_dynamic_stack: false
    .vgpr_count:     0
    .vgpr_spill_count: 0
    .wavefront_size: 32
    .workgroup_processor_mode: 1
  - .args:
      - .offset:         0
        .size:           48
        .value_kind:     by_value
    .group_segment_fixed_size: 0
    .kernarg_segment_align: 8
    .kernarg_segment_size: 48
    .language:       OpenCL C
    .language_version:
      - 2
      - 0
    .max_flat_workgroup_size: 256
    .name:           _ZN7rocprim17ROCPRIM_400000_NS6detail17trampoline_kernelINS0_14default_configENS1_22reduce_config_selectorIlEEZNS1_11reduce_implILb1ES3_PlS7_lN6hipcub16HIPCUB_304000_NS6detail34convert_binary_result_type_wrapperINS9_3SumENS9_22TransformInputIteratorIb7NonZeroIaEPalEElEEEE10hipError_tPvRmT1_T2_T3_mT4_P12ihipStream_tbEUlT_E1_NS1_11comp_targetILNS1_3genE3ELNS1_11target_archE908ELNS1_3gpuE7ELNS1_3repE0EEENS1_30default_config_static_selectorELNS0_4arch9wavefront6targetE0EEEvSM_
    .private_segment_fixed_size: 0
    .sgpr_count:     0
    .sgpr_spill_count: 0
    .symbol:         _ZN7rocprim17ROCPRIM_400000_NS6detail17trampoline_kernelINS0_14default_configENS1_22reduce_config_selectorIlEEZNS1_11reduce_implILb1ES3_PlS7_lN6hipcub16HIPCUB_304000_NS6detail34convert_binary_result_type_wrapperINS9_3SumENS9_22TransformInputIteratorIb7NonZeroIaEPalEElEEEE10hipError_tPvRmT1_T2_T3_mT4_P12ihipStream_tbEUlT_E1_NS1_11comp_targetILNS1_3genE3ELNS1_11target_archE908ELNS1_3gpuE7ELNS1_3repE0EEENS1_30default_config_static_selectorELNS0_4arch9wavefront6targetE0EEEvSM_.kd
    .uniform_work_group_size: 1
    .uses_dynamic_stack: false
    .vgpr_count:     0
    .vgpr_spill_count: 0
    .wavefront_size: 32
    .workgroup_processor_mode: 1
  - .args:
      - .offset:         0
        .size:           48
        .value_kind:     by_value
    .group_segment_fixed_size: 0
    .kernarg_segment_align: 8
    .kernarg_segment_size: 48
    .language:       OpenCL C
    .language_version:
      - 2
      - 0
    .max_flat_workgroup_size: 256
    .name:           _ZN7rocprim17ROCPRIM_400000_NS6detail17trampoline_kernelINS0_14default_configENS1_22reduce_config_selectorIlEEZNS1_11reduce_implILb1ES3_PlS7_lN6hipcub16HIPCUB_304000_NS6detail34convert_binary_result_type_wrapperINS9_3SumENS9_22TransformInputIteratorIb7NonZeroIaEPalEElEEEE10hipError_tPvRmT1_T2_T3_mT4_P12ihipStream_tbEUlT_E1_NS1_11comp_targetILNS1_3genE2ELNS1_11target_archE906ELNS1_3gpuE6ELNS1_3repE0EEENS1_30default_config_static_selectorELNS0_4arch9wavefront6targetE0EEEvSM_
    .private_segment_fixed_size: 0
    .sgpr_count:     0
    .sgpr_spill_count: 0
    .symbol:         _ZN7rocprim17ROCPRIM_400000_NS6detail17trampoline_kernelINS0_14default_configENS1_22reduce_config_selectorIlEEZNS1_11reduce_implILb1ES3_PlS7_lN6hipcub16HIPCUB_304000_NS6detail34convert_binary_result_type_wrapperINS9_3SumENS9_22TransformInputIteratorIb7NonZeroIaEPalEElEEEE10hipError_tPvRmT1_T2_T3_mT4_P12ihipStream_tbEUlT_E1_NS1_11comp_targetILNS1_3genE2ELNS1_11target_archE906ELNS1_3gpuE6ELNS1_3repE0EEENS1_30default_config_static_selectorELNS0_4arch9wavefront6targetE0EEEvSM_.kd
    .uniform_work_group_size: 1
    .uses_dynamic_stack: false
    .vgpr_count:     0
    .vgpr_spill_count: 0
    .wavefront_size: 32
    .workgroup_processor_mode: 1
  - .args:
      - .offset:         0
        .size:           48
        .value_kind:     by_value
    .group_segment_fixed_size: 0
    .kernarg_segment_align: 8
    .kernarg_segment_size: 48
    .language:       OpenCL C
    .language_version:
      - 2
      - 0
    .max_flat_workgroup_size: 256
    .name:           _ZN7rocprim17ROCPRIM_400000_NS6detail17trampoline_kernelINS0_14default_configENS1_22reduce_config_selectorIlEEZNS1_11reduce_implILb1ES3_PlS7_lN6hipcub16HIPCUB_304000_NS6detail34convert_binary_result_type_wrapperINS9_3SumENS9_22TransformInputIteratorIb7NonZeroIaEPalEElEEEE10hipError_tPvRmT1_T2_T3_mT4_P12ihipStream_tbEUlT_E1_NS1_11comp_targetILNS1_3genE10ELNS1_11target_archE1201ELNS1_3gpuE5ELNS1_3repE0EEENS1_30default_config_static_selectorELNS0_4arch9wavefront6targetE0EEEvSM_
    .private_segment_fixed_size: 0
    .sgpr_count:     0
    .sgpr_spill_count: 0
    .symbol:         _ZN7rocprim17ROCPRIM_400000_NS6detail17trampoline_kernelINS0_14default_configENS1_22reduce_config_selectorIlEEZNS1_11reduce_implILb1ES3_PlS7_lN6hipcub16HIPCUB_304000_NS6detail34convert_binary_result_type_wrapperINS9_3SumENS9_22TransformInputIteratorIb7NonZeroIaEPalEElEEEE10hipError_tPvRmT1_T2_T3_mT4_P12ihipStream_tbEUlT_E1_NS1_11comp_targetILNS1_3genE10ELNS1_11target_archE1201ELNS1_3gpuE5ELNS1_3repE0EEENS1_30default_config_static_selectorELNS0_4arch9wavefront6targetE0EEEvSM_.kd
    .uniform_work_group_size: 1
    .uses_dynamic_stack: false
    .vgpr_count:     0
    .vgpr_spill_count: 0
    .wavefront_size: 32
    .workgroup_processor_mode: 1
  - .args:
      - .offset:         0
        .size:           48
        .value_kind:     by_value
    .group_segment_fixed_size: 0
    .kernarg_segment_align: 8
    .kernarg_segment_size: 48
    .language:       OpenCL C
    .language_version:
      - 2
      - 0
    .max_flat_workgroup_size: 256
    .name:           _ZN7rocprim17ROCPRIM_400000_NS6detail17trampoline_kernelINS0_14default_configENS1_22reduce_config_selectorIlEEZNS1_11reduce_implILb1ES3_PlS7_lN6hipcub16HIPCUB_304000_NS6detail34convert_binary_result_type_wrapperINS9_3SumENS9_22TransformInputIteratorIb7NonZeroIaEPalEElEEEE10hipError_tPvRmT1_T2_T3_mT4_P12ihipStream_tbEUlT_E1_NS1_11comp_targetILNS1_3genE10ELNS1_11target_archE1200ELNS1_3gpuE4ELNS1_3repE0EEENS1_30default_config_static_selectorELNS0_4arch9wavefront6targetE0EEEvSM_
    .private_segment_fixed_size: 0
    .sgpr_count:     0
    .sgpr_spill_count: 0
    .symbol:         _ZN7rocprim17ROCPRIM_400000_NS6detail17trampoline_kernelINS0_14default_configENS1_22reduce_config_selectorIlEEZNS1_11reduce_implILb1ES3_PlS7_lN6hipcub16HIPCUB_304000_NS6detail34convert_binary_result_type_wrapperINS9_3SumENS9_22TransformInputIteratorIb7NonZeroIaEPalEElEEEE10hipError_tPvRmT1_T2_T3_mT4_P12ihipStream_tbEUlT_E1_NS1_11comp_targetILNS1_3genE10ELNS1_11target_archE1200ELNS1_3gpuE4ELNS1_3repE0EEENS1_30default_config_static_selectorELNS0_4arch9wavefront6targetE0EEEvSM_.kd
    .uniform_work_group_size: 1
    .uses_dynamic_stack: false
    .vgpr_count:     0
    .vgpr_spill_count: 0
    .wavefront_size: 32
    .workgroup_processor_mode: 1
  - .args:
      - .offset:         0
        .size:           48
        .value_kind:     by_value
    .group_segment_fixed_size: 384
    .kernarg_segment_align: 8
    .kernarg_segment_size: 48
    .language:       OpenCL C
    .language_version:
      - 2
      - 0
    .max_flat_workgroup_size: 256
    .name:           _ZN7rocprim17ROCPRIM_400000_NS6detail17trampoline_kernelINS0_14default_configENS1_22reduce_config_selectorIlEEZNS1_11reduce_implILb1ES3_PlS7_lN6hipcub16HIPCUB_304000_NS6detail34convert_binary_result_type_wrapperINS9_3SumENS9_22TransformInputIteratorIb7NonZeroIaEPalEElEEEE10hipError_tPvRmT1_T2_T3_mT4_P12ihipStream_tbEUlT_E1_NS1_11comp_targetILNS1_3genE9ELNS1_11target_archE1100ELNS1_3gpuE3ELNS1_3repE0EEENS1_30default_config_static_selectorELNS0_4arch9wavefront6targetE0EEEvSM_
    .private_segment_fixed_size: 0
    .sgpr_count:     32
    .sgpr_spill_count: 0
    .symbol:         _ZN7rocprim17ROCPRIM_400000_NS6detail17trampoline_kernelINS0_14default_configENS1_22reduce_config_selectorIlEEZNS1_11reduce_implILb1ES3_PlS7_lN6hipcub16HIPCUB_304000_NS6detail34convert_binary_result_type_wrapperINS9_3SumENS9_22TransformInputIteratorIb7NonZeroIaEPalEElEEEE10hipError_tPvRmT1_T2_T3_mT4_P12ihipStream_tbEUlT_E1_NS1_11comp_targetILNS1_3genE9ELNS1_11target_archE1100ELNS1_3gpuE3ELNS1_3repE0EEENS1_30default_config_static_selectorELNS0_4arch9wavefront6targetE0EEEvSM_.kd
    .uniform_work_group_size: 1
    .uses_dynamic_stack: false
    .vgpr_count:     34
    .vgpr_spill_count: 0
    .wavefront_size: 32
    .workgroup_processor_mode: 1
  - .args:
      - .offset:         0
        .size:           48
        .value_kind:     by_value
    .group_segment_fixed_size: 0
    .kernarg_segment_align: 8
    .kernarg_segment_size: 48
    .language:       OpenCL C
    .language_version:
      - 2
      - 0
    .max_flat_workgroup_size: 256
    .name:           _ZN7rocprim17ROCPRIM_400000_NS6detail17trampoline_kernelINS0_14default_configENS1_22reduce_config_selectorIlEEZNS1_11reduce_implILb1ES3_PlS7_lN6hipcub16HIPCUB_304000_NS6detail34convert_binary_result_type_wrapperINS9_3SumENS9_22TransformInputIteratorIb7NonZeroIaEPalEElEEEE10hipError_tPvRmT1_T2_T3_mT4_P12ihipStream_tbEUlT_E1_NS1_11comp_targetILNS1_3genE8ELNS1_11target_archE1030ELNS1_3gpuE2ELNS1_3repE0EEENS1_30default_config_static_selectorELNS0_4arch9wavefront6targetE0EEEvSM_
    .private_segment_fixed_size: 0
    .sgpr_count:     0
    .sgpr_spill_count: 0
    .symbol:         _ZN7rocprim17ROCPRIM_400000_NS6detail17trampoline_kernelINS0_14default_configENS1_22reduce_config_selectorIlEEZNS1_11reduce_implILb1ES3_PlS7_lN6hipcub16HIPCUB_304000_NS6detail34convert_binary_result_type_wrapperINS9_3SumENS9_22TransformInputIteratorIb7NonZeroIaEPalEElEEEE10hipError_tPvRmT1_T2_T3_mT4_P12ihipStream_tbEUlT_E1_NS1_11comp_targetILNS1_3genE8ELNS1_11target_archE1030ELNS1_3gpuE2ELNS1_3repE0EEENS1_30default_config_static_selectorELNS0_4arch9wavefront6targetE0EEEvSM_.kd
    .uniform_work_group_size: 1
    .uses_dynamic_stack: false
    .vgpr_count:     0
    .vgpr_spill_count: 0
    .wavefront_size: 32
    .workgroup_processor_mode: 1
  - .args:
      - .offset:         0
        .size:           72
        .value_kind:     by_value
    .group_segment_fixed_size: 0
    .kernarg_segment_align: 8
    .kernarg_segment_size: 72
    .language:       OpenCL C
    .language_version:
      - 2
      - 0
    .max_flat_workgroup_size: 256
    .name:           _ZN7rocprim17ROCPRIM_400000_NS6detail17trampoline_kernelINS0_14default_configENS1_22reduce_config_selectorIbEEZNS1_11reduce_implILb1ES3_N6hipcub16HIPCUB_304000_NS22TransformInputIteratorIb7NonZeroIaEPalEEPllNS8_6detail34convert_binary_result_type_wrapperINS8_3SumESD_lEEEE10hipError_tPvRmT1_T2_T3_mT4_P12ihipStream_tbEUlT_E0_NS1_11comp_targetILNS1_3genE0ELNS1_11target_archE4294967295ELNS1_3gpuE0ELNS1_3repE0EEENS1_30default_config_static_selectorELNS0_4arch9wavefront6targetE0EEEvSM_
    .private_segment_fixed_size: 0
    .sgpr_count:     0
    .sgpr_spill_count: 0
    .symbol:         _ZN7rocprim17ROCPRIM_400000_NS6detail17trampoline_kernelINS0_14default_configENS1_22reduce_config_selectorIbEEZNS1_11reduce_implILb1ES3_N6hipcub16HIPCUB_304000_NS22TransformInputIteratorIb7NonZeroIaEPalEEPllNS8_6detail34convert_binary_result_type_wrapperINS8_3SumESD_lEEEE10hipError_tPvRmT1_T2_T3_mT4_P12ihipStream_tbEUlT_E0_NS1_11comp_targetILNS1_3genE0ELNS1_11target_archE4294967295ELNS1_3gpuE0ELNS1_3repE0EEENS1_30default_config_static_selectorELNS0_4arch9wavefront6targetE0EEEvSM_.kd
    .uniform_work_group_size: 1
    .uses_dynamic_stack: false
    .vgpr_count:     0
    .vgpr_spill_count: 0
    .wavefront_size: 32
    .workgroup_processor_mode: 1
  - .args:
      - .offset:         0
        .size:           72
        .value_kind:     by_value
    .group_segment_fixed_size: 0
    .kernarg_segment_align: 8
    .kernarg_segment_size: 72
    .language:       OpenCL C
    .language_version:
      - 2
      - 0
    .max_flat_workgroup_size: 256
    .name:           _ZN7rocprim17ROCPRIM_400000_NS6detail17trampoline_kernelINS0_14default_configENS1_22reduce_config_selectorIbEEZNS1_11reduce_implILb1ES3_N6hipcub16HIPCUB_304000_NS22TransformInputIteratorIb7NonZeroIaEPalEEPllNS8_6detail34convert_binary_result_type_wrapperINS8_3SumESD_lEEEE10hipError_tPvRmT1_T2_T3_mT4_P12ihipStream_tbEUlT_E0_NS1_11comp_targetILNS1_3genE5ELNS1_11target_archE942ELNS1_3gpuE9ELNS1_3repE0EEENS1_30default_config_static_selectorELNS0_4arch9wavefront6targetE0EEEvSM_
    .private_segment_fixed_size: 0
    .sgpr_count:     0
    .sgpr_spill_count: 0
    .symbol:         _ZN7rocprim17ROCPRIM_400000_NS6detail17trampoline_kernelINS0_14default_configENS1_22reduce_config_selectorIbEEZNS1_11reduce_implILb1ES3_N6hipcub16HIPCUB_304000_NS22TransformInputIteratorIb7NonZeroIaEPalEEPllNS8_6detail34convert_binary_result_type_wrapperINS8_3SumESD_lEEEE10hipError_tPvRmT1_T2_T3_mT4_P12ihipStream_tbEUlT_E0_NS1_11comp_targetILNS1_3genE5ELNS1_11target_archE942ELNS1_3gpuE9ELNS1_3repE0EEENS1_30default_config_static_selectorELNS0_4arch9wavefront6targetE0EEEvSM_.kd
    .uniform_work_group_size: 1
    .uses_dynamic_stack: false
    .vgpr_count:     0
    .vgpr_spill_count: 0
    .wavefront_size: 32
    .workgroup_processor_mode: 1
  - .args:
      - .offset:         0
        .size:           72
        .value_kind:     by_value
    .group_segment_fixed_size: 0
    .kernarg_segment_align: 8
    .kernarg_segment_size: 72
    .language:       OpenCL C
    .language_version:
      - 2
      - 0
    .max_flat_workgroup_size: 128
    .name:           _ZN7rocprim17ROCPRIM_400000_NS6detail17trampoline_kernelINS0_14default_configENS1_22reduce_config_selectorIbEEZNS1_11reduce_implILb1ES3_N6hipcub16HIPCUB_304000_NS22TransformInputIteratorIb7NonZeroIaEPalEEPllNS8_6detail34convert_binary_result_type_wrapperINS8_3SumESD_lEEEE10hipError_tPvRmT1_T2_T3_mT4_P12ihipStream_tbEUlT_E0_NS1_11comp_targetILNS1_3genE4ELNS1_11target_archE910ELNS1_3gpuE8ELNS1_3repE0EEENS1_30default_config_static_selectorELNS0_4arch9wavefront6targetE0EEEvSM_
    .private_segment_fixed_size: 0
    .sgpr_count:     0
    .sgpr_spill_count: 0
    .symbol:         _ZN7rocprim17ROCPRIM_400000_NS6detail17trampoline_kernelINS0_14default_configENS1_22reduce_config_selectorIbEEZNS1_11reduce_implILb1ES3_N6hipcub16HIPCUB_304000_NS22TransformInputIteratorIb7NonZeroIaEPalEEPllNS8_6detail34convert_binary_result_type_wrapperINS8_3SumESD_lEEEE10hipError_tPvRmT1_T2_T3_mT4_P12ihipStream_tbEUlT_E0_NS1_11comp_targetILNS1_3genE4ELNS1_11target_archE910ELNS1_3gpuE8ELNS1_3repE0EEENS1_30default_config_static_selectorELNS0_4arch9wavefront6targetE0EEEvSM_.kd
    .uniform_work_group_size: 1
    .uses_dynamic_stack: false
    .vgpr_count:     0
    .vgpr_spill_count: 0
    .wavefront_size: 32
    .workgroup_processor_mode: 1
  - .args:
      - .offset:         0
        .size:           72
        .value_kind:     by_value
    .group_segment_fixed_size: 0
    .kernarg_segment_align: 8
    .kernarg_segment_size: 72
    .language:       OpenCL C
    .language_version:
      - 2
      - 0
    .max_flat_workgroup_size: 256
    .name:           _ZN7rocprim17ROCPRIM_400000_NS6detail17trampoline_kernelINS0_14default_configENS1_22reduce_config_selectorIbEEZNS1_11reduce_implILb1ES3_N6hipcub16HIPCUB_304000_NS22TransformInputIteratorIb7NonZeroIaEPalEEPllNS8_6detail34convert_binary_result_type_wrapperINS8_3SumESD_lEEEE10hipError_tPvRmT1_T2_T3_mT4_P12ihipStream_tbEUlT_E0_NS1_11comp_targetILNS1_3genE3ELNS1_11target_archE908ELNS1_3gpuE7ELNS1_3repE0EEENS1_30default_config_static_selectorELNS0_4arch9wavefront6targetE0EEEvSM_
    .private_segment_fixed_size: 0
    .sgpr_count:     0
    .sgpr_spill_count: 0
    .symbol:         _ZN7rocprim17ROCPRIM_400000_NS6detail17trampoline_kernelINS0_14default_configENS1_22reduce_config_selectorIbEEZNS1_11reduce_implILb1ES3_N6hipcub16HIPCUB_304000_NS22TransformInputIteratorIb7NonZeroIaEPalEEPllNS8_6detail34convert_binary_result_type_wrapperINS8_3SumESD_lEEEE10hipError_tPvRmT1_T2_T3_mT4_P12ihipStream_tbEUlT_E0_NS1_11comp_targetILNS1_3genE3ELNS1_11target_archE908ELNS1_3gpuE7ELNS1_3repE0EEENS1_30default_config_static_selectorELNS0_4arch9wavefront6targetE0EEEvSM_.kd
    .uniform_work_group_size: 1
    .uses_dynamic_stack: false
    .vgpr_count:     0
    .vgpr_spill_count: 0
    .wavefront_size: 32
    .workgroup_processor_mode: 1
  - .args:
      - .offset:         0
        .size:           72
        .value_kind:     by_value
    .group_segment_fixed_size: 0
    .kernarg_segment_align: 8
    .kernarg_segment_size: 72
    .language:       OpenCL C
    .language_version:
      - 2
      - 0
    .max_flat_workgroup_size: 128
    .name:           _ZN7rocprim17ROCPRIM_400000_NS6detail17trampoline_kernelINS0_14default_configENS1_22reduce_config_selectorIbEEZNS1_11reduce_implILb1ES3_N6hipcub16HIPCUB_304000_NS22TransformInputIteratorIb7NonZeroIaEPalEEPllNS8_6detail34convert_binary_result_type_wrapperINS8_3SumESD_lEEEE10hipError_tPvRmT1_T2_T3_mT4_P12ihipStream_tbEUlT_E0_NS1_11comp_targetILNS1_3genE2ELNS1_11target_archE906ELNS1_3gpuE6ELNS1_3repE0EEENS1_30default_config_static_selectorELNS0_4arch9wavefront6targetE0EEEvSM_
    .private_segment_fixed_size: 0
    .sgpr_count:     0
    .sgpr_spill_count: 0
    .symbol:         _ZN7rocprim17ROCPRIM_400000_NS6detail17trampoline_kernelINS0_14default_configENS1_22reduce_config_selectorIbEEZNS1_11reduce_implILb1ES3_N6hipcub16HIPCUB_304000_NS22TransformInputIteratorIb7NonZeroIaEPalEEPllNS8_6detail34convert_binary_result_type_wrapperINS8_3SumESD_lEEEE10hipError_tPvRmT1_T2_T3_mT4_P12ihipStream_tbEUlT_E0_NS1_11comp_targetILNS1_3genE2ELNS1_11target_archE906ELNS1_3gpuE6ELNS1_3repE0EEENS1_30default_config_static_selectorELNS0_4arch9wavefront6targetE0EEEvSM_.kd
    .uniform_work_group_size: 1
    .uses_dynamic_stack: false
    .vgpr_count:     0
    .vgpr_spill_count: 0
    .wavefront_size: 32
    .workgroup_processor_mode: 1
  - .args:
      - .offset:         0
        .size:           72
        .value_kind:     by_value
    .group_segment_fixed_size: 0
    .kernarg_segment_align: 8
    .kernarg_segment_size: 72
    .language:       OpenCL C
    .language_version:
      - 2
      - 0
    .max_flat_workgroup_size: 256
    .name:           _ZN7rocprim17ROCPRIM_400000_NS6detail17trampoline_kernelINS0_14default_configENS1_22reduce_config_selectorIbEEZNS1_11reduce_implILb1ES3_N6hipcub16HIPCUB_304000_NS22TransformInputIteratorIb7NonZeroIaEPalEEPllNS8_6detail34convert_binary_result_type_wrapperINS8_3SumESD_lEEEE10hipError_tPvRmT1_T2_T3_mT4_P12ihipStream_tbEUlT_E0_NS1_11comp_targetILNS1_3genE10ELNS1_11target_archE1201ELNS1_3gpuE5ELNS1_3repE0EEENS1_30default_config_static_selectorELNS0_4arch9wavefront6targetE0EEEvSM_
    .private_segment_fixed_size: 0
    .sgpr_count:     0
    .sgpr_spill_count: 0
    .symbol:         _ZN7rocprim17ROCPRIM_400000_NS6detail17trampoline_kernelINS0_14default_configENS1_22reduce_config_selectorIbEEZNS1_11reduce_implILb1ES3_N6hipcub16HIPCUB_304000_NS22TransformInputIteratorIb7NonZeroIaEPalEEPllNS8_6detail34convert_binary_result_type_wrapperINS8_3SumESD_lEEEE10hipError_tPvRmT1_T2_T3_mT4_P12ihipStream_tbEUlT_E0_NS1_11comp_targetILNS1_3genE10ELNS1_11target_archE1201ELNS1_3gpuE5ELNS1_3repE0EEENS1_30default_config_static_selectorELNS0_4arch9wavefront6targetE0EEEvSM_.kd
    .uniform_work_group_size: 1
    .uses_dynamic_stack: false
    .vgpr_count:     0
    .vgpr_spill_count: 0
    .wavefront_size: 32
    .workgroup_processor_mode: 1
  - .args:
      - .offset:         0
        .size:           72
        .value_kind:     by_value
    .group_segment_fixed_size: 0
    .kernarg_segment_align: 8
    .kernarg_segment_size: 72
    .language:       OpenCL C
    .language_version:
      - 2
      - 0
    .max_flat_workgroup_size: 256
    .name:           _ZN7rocprim17ROCPRIM_400000_NS6detail17trampoline_kernelINS0_14default_configENS1_22reduce_config_selectorIbEEZNS1_11reduce_implILb1ES3_N6hipcub16HIPCUB_304000_NS22TransformInputIteratorIb7NonZeroIaEPalEEPllNS8_6detail34convert_binary_result_type_wrapperINS8_3SumESD_lEEEE10hipError_tPvRmT1_T2_T3_mT4_P12ihipStream_tbEUlT_E0_NS1_11comp_targetILNS1_3genE10ELNS1_11target_archE1200ELNS1_3gpuE4ELNS1_3repE0EEENS1_30default_config_static_selectorELNS0_4arch9wavefront6targetE0EEEvSM_
    .private_segment_fixed_size: 0
    .sgpr_count:     0
    .sgpr_spill_count: 0
    .symbol:         _ZN7rocprim17ROCPRIM_400000_NS6detail17trampoline_kernelINS0_14default_configENS1_22reduce_config_selectorIbEEZNS1_11reduce_implILb1ES3_N6hipcub16HIPCUB_304000_NS22TransformInputIteratorIb7NonZeroIaEPalEEPllNS8_6detail34convert_binary_result_type_wrapperINS8_3SumESD_lEEEE10hipError_tPvRmT1_T2_T3_mT4_P12ihipStream_tbEUlT_E0_NS1_11comp_targetILNS1_3genE10ELNS1_11target_archE1200ELNS1_3gpuE4ELNS1_3repE0EEENS1_30default_config_static_selectorELNS0_4arch9wavefront6targetE0EEEvSM_.kd
    .uniform_work_group_size: 1
    .uses_dynamic_stack: false
    .vgpr_count:     0
    .vgpr_spill_count: 0
    .wavefront_size: 32
    .workgroup_processor_mode: 1
  - .args:
      - .offset:         0
        .size:           72
        .value_kind:     by_value
    .group_segment_fixed_size: 64
    .kernarg_segment_align: 8
    .kernarg_segment_size: 72
    .language:       OpenCL C
    .language_version:
      - 2
      - 0
    .max_flat_workgroup_size: 128
    .name:           _ZN7rocprim17ROCPRIM_400000_NS6detail17trampoline_kernelINS0_14default_configENS1_22reduce_config_selectorIbEEZNS1_11reduce_implILb1ES3_N6hipcub16HIPCUB_304000_NS22TransformInputIteratorIb7NonZeroIaEPalEEPllNS8_6detail34convert_binary_result_type_wrapperINS8_3SumESD_lEEEE10hipError_tPvRmT1_T2_T3_mT4_P12ihipStream_tbEUlT_E0_NS1_11comp_targetILNS1_3genE9ELNS1_11target_archE1100ELNS1_3gpuE3ELNS1_3repE0EEENS1_30default_config_static_selectorELNS0_4arch9wavefront6targetE0EEEvSM_
    .private_segment_fixed_size: 0
    .sgpr_count:     32
    .sgpr_spill_count: 0
    .symbol:         _ZN7rocprim17ROCPRIM_400000_NS6detail17trampoline_kernelINS0_14default_configENS1_22reduce_config_selectorIbEEZNS1_11reduce_implILb1ES3_N6hipcub16HIPCUB_304000_NS22TransformInputIteratorIb7NonZeroIaEPalEEPllNS8_6detail34convert_binary_result_type_wrapperINS8_3SumESD_lEEEE10hipError_tPvRmT1_T2_T3_mT4_P12ihipStream_tbEUlT_E0_NS1_11comp_targetILNS1_3genE9ELNS1_11target_archE1100ELNS1_3gpuE3ELNS1_3repE0EEENS1_30default_config_static_selectorELNS0_4arch9wavefront6targetE0EEEvSM_.kd
    .uniform_work_group_size: 1
    .uses_dynamic_stack: false
    .vgpr_count:     35
    .vgpr_spill_count: 0
    .wavefront_size: 32
    .workgroup_processor_mode: 1
  - .args:
      - .offset:         0
        .size:           72
        .value_kind:     by_value
    .group_segment_fixed_size: 0
    .kernarg_segment_align: 8
    .kernarg_segment_size: 72
    .language:       OpenCL C
    .language_version:
      - 2
      - 0
    .max_flat_workgroup_size: 256
    .name:           _ZN7rocprim17ROCPRIM_400000_NS6detail17trampoline_kernelINS0_14default_configENS1_22reduce_config_selectorIbEEZNS1_11reduce_implILb1ES3_N6hipcub16HIPCUB_304000_NS22TransformInputIteratorIb7NonZeroIaEPalEEPllNS8_6detail34convert_binary_result_type_wrapperINS8_3SumESD_lEEEE10hipError_tPvRmT1_T2_T3_mT4_P12ihipStream_tbEUlT_E0_NS1_11comp_targetILNS1_3genE8ELNS1_11target_archE1030ELNS1_3gpuE2ELNS1_3repE0EEENS1_30default_config_static_selectorELNS0_4arch9wavefront6targetE0EEEvSM_
    .private_segment_fixed_size: 0
    .sgpr_count:     0
    .sgpr_spill_count: 0
    .symbol:         _ZN7rocprim17ROCPRIM_400000_NS6detail17trampoline_kernelINS0_14default_configENS1_22reduce_config_selectorIbEEZNS1_11reduce_implILb1ES3_N6hipcub16HIPCUB_304000_NS22TransformInputIteratorIb7NonZeroIaEPalEEPllNS8_6detail34convert_binary_result_type_wrapperINS8_3SumESD_lEEEE10hipError_tPvRmT1_T2_T3_mT4_P12ihipStream_tbEUlT_E0_NS1_11comp_targetILNS1_3genE8ELNS1_11target_archE1030ELNS1_3gpuE2ELNS1_3repE0EEENS1_30default_config_static_selectorELNS0_4arch9wavefront6targetE0EEEvSM_.kd
    .uniform_work_group_size: 1
    .uses_dynamic_stack: false
    .vgpr_count:     0
    .vgpr_spill_count: 0
    .wavefront_size: 32
    .workgroup_processor_mode: 1
  - .args:
      - .offset:         0
        .size:           56
        .value_kind:     by_value
    .group_segment_fixed_size: 0
    .kernarg_segment_align: 8
    .kernarg_segment_size: 56
    .language:       OpenCL C
    .language_version:
      - 2
      - 0
    .max_flat_workgroup_size: 256
    .name:           _ZN7rocprim17ROCPRIM_400000_NS6detail17trampoline_kernelINS0_14default_configENS1_22reduce_config_selectorIbEEZNS1_11reduce_implILb1ES3_N6hipcub16HIPCUB_304000_NS22TransformInputIteratorIb7NonZeroIaEPalEEPllNS8_6detail34convert_binary_result_type_wrapperINS8_3SumESD_lEEEE10hipError_tPvRmT1_T2_T3_mT4_P12ihipStream_tbEUlT_E1_NS1_11comp_targetILNS1_3genE0ELNS1_11target_archE4294967295ELNS1_3gpuE0ELNS1_3repE0EEENS1_30default_config_static_selectorELNS0_4arch9wavefront6targetE0EEEvSM_
    .private_segment_fixed_size: 0
    .sgpr_count:     0
    .sgpr_spill_count: 0
    .symbol:         _ZN7rocprim17ROCPRIM_400000_NS6detail17trampoline_kernelINS0_14default_configENS1_22reduce_config_selectorIbEEZNS1_11reduce_implILb1ES3_N6hipcub16HIPCUB_304000_NS22TransformInputIteratorIb7NonZeroIaEPalEEPllNS8_6detail34convert_binary_result_type_wrapperINS8_3SumESD_lEEEE10hipError_tPvRmT1_T2_T3_mT4_P12ihipStream_tbEUlT_E1_NS1_11comp_targetILNS1_3genE0ELNS1_11target_archE4294967295ELNS1_3gpuE0ELNS1_3repE0EEENS1_30default_config_static_selectorELNS0_4arch9wavefront6targetE0EEEvSM_.kd
    .uniform_work_group_size: 1
    .uses_dynamic_stack: false
    .vgpr_count:     0
    .vgpr_spill_count: 0
    .wavefront_size: 32
    .workgroup_processor_mode: 1
  - .args:
      - .offset:         0
        .size:           56
        .value_kind:     by_value
    .group_segment_fixed_size: 0
    .kernarg_segment_align: 8
    .kernarg_segment_size: 56
    .language:       OpenCL C
    .language_version:
      - 2
      - 0
    .max_flat_workgroup_size: 256
    .name:           _ZN7rocprim17ROCPRIM_400000_NS6detail17trampoline_kernelINS0_14default_configENS1_22reduce_config_selectorIbEEZNS1_11reduce_implILb1ES3_N6hipcub16HIPCUB_304000_NS22TransformInputIteratorIb7NonZeroIaEPalEEPllNS8_6detail34convert_binary_result_type_wrapperINS8_3SumESD_lEEEE10hipError_tPvRmT1_T2_T3_mT4_P12ihipStream_tbEUlT_E1_NS1_11comp_targetILNS1_3genE5ELNS1_11target_archE942ELNS1_3gpuE9ELNS1_3repE0EEENS1_30default_config_static_selectorELNS0_4arch9wavefront6targetE0EEEvSM_
    .private_segment_fixed_size: 0
    .sgpr_count:     0
    .sgpr_spill_count: 0
    .symbol:         _ZN7rocprim17ROCPRIM_400000_NS6detail17trampoline_kernelINS0_14default_configENS1_22reduce_config_selectorIbEEZNS1_11reduce_implILb1ES3_N6hipcub16HIPCUB_304000_NS22TransformInputIteratorIb7NonZeroIaEPalEEPllNS8_6detail34convert_binary_result_type_wrapperINS8_3SumESD_lEEEE10hipError_tPvRmT1_T2_T3_mT4_P12ihipStream_tbEUlT_E1_NS1_11comp_targetILNS1_3genE5ELNS1_11target_archE942ELNS1_3gpuE9ELNS1_3repE0EEENS1_30default_config_static_selectorELNS0_4arch9wavefront6targetE0EEEvSM_.kd
    .uniform_work_group_size: 1
    .uses_dynamic_stack: false
    .vgpr_count:     0
    .vgpr_spill_count: 0
    .wavefront_size: 32
    .workgroup_processor_mode: 1
  - .args:
      - .offset:         0
        .size:           56
        .value_kind:     by_value
    .group_segment_fixed_size: 0
    .kernarg_segment_align: 8
    .kernarg_segment_size: 56
    .language:       OpenCL C
    .language_version:
      - 2
      - 0
    .max_flat_workgroup_size: 128
    .name:           _ZN7rocprim17ROCPRIM_400000_NS6detail17trampoline_kernelINS0_14default_configENS1_22reduce_config_selectorIbEEZNS1_11reduce_implILb1ES3_N6hipcub16HIPCUB_304000_NS22TransformInputIteratorIb7NonZeroIaEPalEEPllNS8_6detail34convert_binary_result_type_wrapperINS8_3SumESD_lEEEE10hipError_tPvRmT1_T2_T3_mT4_P12ihipStream_tbEUlT_E1_NS1_11comp_targetILNS1_3genE4ELNS1_11target_archE910ELNS1_3gpuE8ELNS1_3repE0EEENS1_30default_config_static_selectorELNS0_4arch9wavefront6targetE0EEEvSM_
    .private_segment_fixed_size: 0
    .sgpr_count:     0
    .sgpr_spill_count: 0
    .symbol:         _ZN7rocprim17ROCPRIM_400000_NS6detail17trampoline_kernelINS0_14default_configENS1_22reduce_config_selectorIbEEZNS1_11reduce_implILb1ES3_N6hipcub16HIPCUB_304000_NS22TransformInputIteratorIb7NonZeroIaEPalEEPllNS8_6detail34convert_binary_result_type_wrapperINS8_3SumESD_lEEEE10hipError_tPvRmT1_T2_T3_mT4_P12ihipStream_tbEUlT_E1_NS1_11comp_targetILNS1_3genE4ELNS1_11target_archE910ELNS1_3gpuE8ELNS1_3repE0EEENS1_30default_config_static_selectorELNS0_4arch9wavefront6targetE0EEEvSM_.kd
    .uniform_work_group_size: 1
    .uses_dynamic_stack: false
    .vgpr_count:     0
    .vgpr_spill_count: 0
    .wavefront_size: 32
    .workgroup_processor_mode: 1
  - .args:
      - .offset:         0
        .size:           56
        .value_kind:     by_value
    .group_segment_fixed_size: 0
    .kernarg_segment_align: 8
    .kernarg_segment_size: 56
    .language:       OpenCL C
    .language_version:
      - 2
      - 0
    .max_flat_workgroup_size: 256
    .name:           _ZN7rocprim17ROCPRIM_400000_NS6detail17trampoline_kernelINS0_14default_configENS1_22reduce_config_selectorIbEEZNS1_11reduce_implILb1ES3_N6hipcub16HIPCUB_304000_NS22TransformInputIteratorIb7NonZeroIaEPalEEPllNS8_6detail34convert_binary_result_type_wrapperINS8_3SumESD_lEEEE10hipError_tPvRmT1_T2_T3_mT4_P12ihipStream_tbEUlT_E1_NS1_11comp_targetILNS1_3genE3ELNS1_11target_archE908ELNS1_3gpuE7ELNS1_3repE0EEENS1_30default_config_static_selectorELNS0_4arch9wavefront6targetE0EEEvSM_
    .private_segment_fixed_size: 0
    .sgpr_count:     0
    .sgpr_spill_count: 0
    .symbol:         _ZN7rocprim17ROCPRIM_400000_NS6detail17trampoline_kernelINS0_14default_configENS1_22reduce_config_selectorIbEEZNS1_11reduce_implILb1ES3_N6hipcub16HIPCUB_304000_NS22TransformInputIteratorIb7NonZeroIaEPalEEPllNS8_6detail34convert_binary_result_type_wrapperINS8_3SumESD_lEEEE10hipError_tPvRmT1_T2_T3_mT4_P12ihipStream_tbEUlT_E1_NS1_11comp_targetILNS1_3genE3ELNS1_11target_archE908ELNS1_3gpuE7ELNS1_3repE0EEENS1_30default_config_static_selectorELNS0_4arch9wavefront6targetE0EEEvSM_.kd
    .uniform_work_group_size: 1
    .uses_dynamic_stack: false
    .vgpr_count:     0
    .vgpr_spill_count: 0
    .wavefront_size: 32
    .workgroup_processor_mode: 1
  - .args:
      - .offset:         0
        .size:           56
        .value_kind:     by_value
    .group_segment_fixed_size: 0
    .kernarg_segment_align: 8
    .kernarg_segment_size: 56
    .language:       OpenCL C
    .language_version:
      - 2
      - 0
    .max_flat_workgroup_size: 128
    .name:           _ZN7rocprim17ROCPRIM_400000_NS6detail17trampoline_kernelINS0_14default_configENS1_22reduce_config_selectorIbEEZNS1_11reduce_implILb1ES3_N6hipcub16HIPCUB_304000_NS22TransformInputIteratorIb7NonZeroIaEPalEEPllNS8_6detail34convert_binary_result_type_wrapperINS8_3SumESD_lEEEE10hipError_tPvRmT1_T2_T3_mT4_P12ihipStream_tbEUlT_E1_NS1_11comp_targetILNS1_3genE2ELNS1_11target_archE906ELNS1_3gpuE6ELNS1_3repE0EEENS1_30default_config_static_selectorELNS0_4arch9wavefront6targetE0EEEvSM_
    .private_segment_fixed_size: 0
    .sgpr_count:     0
    .sgpr_spill_count: 0
    .symbol:         _ZN7rocprim17ROCPRIM_400000_NS6detail17trampoline_kernelINS0_14default_configENS1_22reduce_config_selectorIbEEZNS1_11reduce_implILb1ES3_N6hipcub16HIPCUB_304000_NS22TransformInputIteratorIb7NonZeroIaEPalEEPllNS8_6detail34convert_binary_result_type_wrapperINS8_3SumESD_lEEEE10hipError_tPvRmT1_T2_T3_mT4_P12ihipStream_tbEUlT_E1_NS1_11comp_targetILNS1_3genE2ELNS1_11target_archE906ELNS1_3gpuE6ELNS1_3repE0EEENS1_30default_config_static_selectorELNS0_4arch9wavefront6targetE0EEEvSM_.kd
    .uniform_work_group_size: 1
    .uses_dynamic_stack: false
    .vgpr_count:     0
    .vgpr_spill_count: 0
    .wavefront_size: 32
    .workgroup_processor_mode: 1
  - .args:
      - .offset:         0
        .size:           56
        .value_kind:     by_value
    .group_segment_fixed_size: 0
    .kernarg_segment_align: 8
    .kernarg_segment_size: 56
    .language:       OpenCL C
    .language_version:
      - 2
      - 0
    .max_flat_workgroup_size: 256
    .name:           _ZN7rocprim17ROCPRIM_400000_NS6detail17trampoline_kernelINS0_14default_configENS1_22reduce_config_selectorIbEEZNS1_11reduce_implILb1ES3_N6hipcub16HIPCUB_304000_NS22TransformInputIteratorIb7NonZeroIaEPalEEPllNS8_6detail34convert_binary_result_type_wrapperINS8_3SumESD_lEEEE10hipError_tPvRmT1_T2_T3_mT4_P12ihipStream_tbEUlT_E1_NS1_11comp_targetILNS1_3genE10ELNS1_11target_archE1201ELNS1_3gpuE5ELNS1_3repE0EEENS1_30default_config_static_selectorELNS0_4arch9wavefront6targetE0EEEvSM_
    .private_segment_fixed_size: 0
    .sgpr_count:     0
    .sgpr_spill_count: 0
    .symbol:         _ZN7rocprim17ROCPRIM_400000_NS6detail17trampoline_kernelINS0_14default_configENS1_22reduce_config_selectorIbEEZNS1_11reduce_implILb1ES3_N6hipcub16HIPCUB_304000_NS22TransformInputIteratorIb7NonZeroIaEPalEEPllNS8_6detail34convert_binary_result_type_wrapperINS8_3SumESD_lEEEE10hipError_tPvRmT1_T2_T3_mT4_P12ihipStream_tbEUlT_E1_NS1_11comp_targetILNS1_3genE10ELNS1_11target_archE1201ELNS1_3gpuE5ELNS1_3repE0EEENS1_30default_config_static_selectorELNS0_4arch9wavefront6targetE0EEEvSM_.kd
    .uniform_work_group_size: 1
    .uses_dynamic_stack: false
    .vgpr_count:     0
    .vgpr_spill_count: 0
    .wavefront_size: 32
    .workgroup_processor_mode: 1
  - .args:
      - .offset:         0
        .size:           56
        .value_kind:     by_value
    .group_segment_fixed_size: 0
    .kernarg_segment_align: 8
    .kernarg_segment_size: 56
    .language:       OpenCL C
    .language_version:
      - 2
      - 0
    .max_flat_workgroup_size: 256
    .name:           _ZN7rocprim17ROCPRIM_400000_NS6detail17trampoline_kernelINS0_14default_configENS1_22reduce_config_selectorIbEEZNS1_11reduce_implILb1ES3_N6hipcub16HIPCUB_304000_NS22TransformInputIteratorIb7NonZeroIaEPalEEPllNS8_6detail34convert_binary_result_type_wrapperINS8_3SumESD_lEEEE10hipError_tPvRmT1_T2_T3_mT4_P12ihipStream_tbEUlT_E1_NS1_11comp_targetILNS1_3genE10ELNS1_11target_archE1200ELNS1_3gpuE4ELNS1_3repE0EEENS1_30default_config_static_selectorELNS0_4arch9wavefront6targetE0EEEvSM_
    .private_segment_fixed_size: 0
    .sgpr_count:     0
    .sgpr_spill_count: 0
    .symbol:         _ZN7rocprim17ROCPRIM_400000_NS6detail17trampoline_kernelINS0_14default_configENS1_22reduce_config_selectorIbEEZNS1_11reduce_implILb1ES3_N6hipcub16HIPCUB_304000_NS22TransformInputIteratorIb7NonZeroIaEPalEEPllNS8_6detail34convert_binary_result_type_wrapperINS8_3SumESD_lEEEE10hipError_tPvRmT1_T2_T3_mT4_P12ihipStream_tbEUlT_E1_NS1_11comp_targetILNS1_3genE10ELNS1_11target_archE1200ELNS1_3gpuE4ELNS1_3repE0EEENS1_30default_config_static_selectorELNS0_4arch9wavefront6targetE0EEEvSM_.kd
    .uniform_work_group_size: 1
    .uses_dynamic_stack: false
    .vgpr_count:     0
    .vgpr_spill_count: 0
    .wavefront_size: 32
    .workgroup_processor_mode: 1
  - .args:
      - .offset:         0
        .size:           56
        .value_kind:     by_value
    .group_segment_fixed_size: 288
    .kernarg_segment_align: 8
    .kernarg_segment_size: 56
    .language:       OpenCL C
    .language_version:
      - 2
      - 0
    .max_flat_workgroup_size: 128
    .name:           _ZN7rocprim17ROCPRIM_400000_NS6detail17trampoline_kernelINS0_14default_configENS1_22reduce_config_selectorIbEEZNS1_11reduce_implILb1ES3_N6hipcub16HIPCUB_304000_NS22TransformInputIteratorIb7NonZeroIaEPalEEPllNS8_6detail34convert_binary_result_type_wrapperINS8_3SumESD_lEEEE10hipError_tPvRmT1_T2_T3_mT4_P12ihipStream_tbEUlT_E1_NS1_11comp_targetILNS1_3genE9ELNS1_11target_archE1100ELNS1_3gpuE3ELNS1_3repE0EEENS1_30default_config_static_selectorELNS0_4arch9wavefront6targetE0EEEvSM_
    .private_segment_fixed_size: 20
    .sgpr_count:     31
    .sgpr_spill_count: 0
    .symbol:         _ZN7rocprim17ROCPRIM_400000_NS6detail17trampoline_kernelINS0_14default_configENS1_22reduce_config_selectorIbEEZNS1_11reduce_implILb1ES3_N6hipcub16HIPCUB_304000_NS22TransformInputIteratorIb7NonZeroIaEPalEEPllNS8_6detail34convert_binary_result_type_wrapperINS8_3SumESD_lEEEE10hipError_tPvRmT1_T2_T3_mT4_P12ihipStream_tbEUlT_E1_NS1_11comp_targetILNS1_3genE9ELNS1_11target_archE1100ELNS1_3gpuE3ELNS1_3repE0EEENS1_30default_config_static_selectorELNS0_4arch9wavefront6targetE0EEEvSM_.kd
    .uniform_work_group_size: 1
    .uses_dynamic_stack: false
    .vgpr_count:     256
    .vgpr_spill_count: 6
    .wavefront_size: 32
    .workgroup_processor_mode: 1
  - .args:
      - .offset:         0
        .size:           56
        .value_kind:     by_value
    .group_segment_fixed_size: 0
    .kernarg_segment_align: 8
    .kernarg_segment_size: 56
    .language:       OpenCL C
    .language_version:
      - 2
      - 0
    .max_flat_workgroup_size: 256
    .name:           _ZN7rocprim17ROCPRIM_400000_NS6detail17trampoline_kernelINS0_14default_configENS1_22reduce_config_selectorIbEEZNS1_11reduce_implILb1ES3_N6hipcub16HIPCUB_304000_NS22TransformInputIteratorIb7NonZeroIaEPalEEPllNS8_6detail34convert_binary_result_type_wrapperINS8_3SumESD_lEEEE10hipError_tPvRmT1_T2_T3_mT4_P12ihipStream_tbEUlT_E1_NS1_11comp_targetILNS1_3genE8ELNS1_11target_archE1030ELNS1_3gpuE2ELNS1_3repE0EEENS1_30default_config_static_selectorELNS0_4arch9wavefront6targetE0EEEvSM_
    .private_segment_fixed_size: 0
    .sgpr_count:     0
    .sgpr_spill_count: 0
    .symbol:         _ZN7rocprim17ROCPRIM_400000_NS6detail17trampoline_kernelINS0_14default_configENS1_22reduce_config_selectorIbEEZNS1_11reduce_implILb1ES3_N6hipcub16HIPCUB_304000_NS22TransformInputIteratorIb7NonZeroIaEPalEEPllNS8_6detail34convert_binary_result_type_wrapperINS8_3SumESD_lEEEE10hipError_tPvRmT1_T2_T3_mT4_P12ihipStream_tbEUlT_E1_NS1_11comp_targetILNS1_3genE8ELNS1_11target_archE1030ELNS1_3gpuE2ELNS1_3repE0EEENS1_30default_config_static_selectorELNS0_4arch9wavefront6targetE0EEEvSM_.kd
    .uniform_work_group_size: 1
    .uses_dynamic_stack: false
    .vgpr_count:     0
    .vgpr_spill_count: 0
    .wavefront_size: 32
    .workgroup_processor_mode: 1
  - .args:
      - .address_space:  global
        .offset:         0
        .size:           8
        .value_kind:     global_buffer
      - .offset:         8
        .size:           4
        .value_kind:     by_value
      - .offset:         12
        .size:           1
        .value_kind:     by_value
      - .offset:         16
        .size:           4
        .value_kind:     by_value
      - .address_space:  global
        .offset:         24
        .size:           8
        .value_kind:     global_buffer
      - .offset:         32
        .size:           4
        .value_kind:     hidden_block_count_x
      - .offset:         36
        .size:           4
        .value_kind:     hidden_block_count_y
      - .offset:         40
        .size:           4
        .value_kind:     hidden_block_count_z
      - .offset:         44
        .size:           2
        .value_kind:     hidden_group_size_x
      - .offset:         46
        .size:           2
        .value_kind:     hidden_group_size_y
      - .offset:         48
        .size:           2
        .value_kind:     hidden_group_size_z
      - .offset:         50
        .size:           2
        .value_kind:     hidden_remainder_x
      - .offset:         52
        .size:           2
        .value_kind:     hidden_remainder_y
      - .offset:         54
        .size:           2
        .value_kind:     hidden_remainder_z
      - .offset:         72
        .size:           8
        .value_kind:     hidden_global_offset_x
      - .offset:         80
        .size:           8
        .value_kind:     hidden_global_offset_y
      - .offset:         88
        .size:           8
        .value_kind:     hidden_global_offset_z
      - .offset:         96
        .size:           2
        .value_kind:     hidden_grid_dims
    .group_segment_fixed_size: 0
    .kernarg_segment_align: 8
    .kernarg_segment_size: 288
    .language:       OpenCL C
    .language_version:
      - 2
      - 0
    .max_flat_workgroup_size: 256
    .name:           _ZN7rocprim17ROCPRIM_400000_NS6detail31init_lookback_scan_state_kernelINS1_19lookback_scan_stateImLb0ELb1EEENS1_16block_id_wrapperIjLb0EEEEEvT_jT0_jPNS7_10value_typeE
    .private_segment_fixed_size: 0
    .sgpr_count:     18
    .sgpr_spill_count: 0
    .symbol:         _ZN7rocprim17ROCPRIM_400000_NS6detail31init_lookback_scan_state_kernelINS1_19lookback_scan_stateImLb0ELb1EEENS1_16block_id_wrapperIjLb0EEEEEvT_jT0_jPNS7_10value_typeE.kd
    .uniform_work_group_size: 1
    .uses_dynamic_stack: false
    .vgpr_count:     9
    .vgpr_spill_count: 0
    .wavefront_size: 32
    .workgroup_processor_mode: 1
  - .args:
      - .offset:         0
        .size:           120
        .value_kind:     by_value
    .group_segment_fixed_size: 0
    .kernarg_segment_align: 8
    .kernarg_segment_size: 120
    .language:       OpenCL C
    .language_version:
      - 2
      - 0
    .max_flat_workgroup_size: 128
    .name:           _ZN7rocprim17ROCPRIM_400000_NS6detail17trampoline_kernelINS0_14default_configENS1_25partition_config_selectorILNS1_17partition_subalgoE5ElNS0_10empty_typeEbEEZZNS1_14partition_implILS5_5ELb0ES3_mN6hipcub16HIPCUB_304000_NS21CountingInputIteratorIllEEPS6_NSA_22TransformInputIteratorIb7NonZeroIaEPalEENS0_5tupleIJPlS6_EEENSJ_IJSD_SD_EEES6_SK_JS6_EEE10hipError_tPvRmT3_T4_T5_T6_T7_T9_mT8_P12ihipStream_tbDpT10_ENKUlT_T0_E_clISt17integral_constantIbLb0EES16_EEDaS11_S12_EUlS11_E_NS1_11comp_targetILNS1_3genE0ELNS1_11target_archE4294967295ELNS1_3gpuE0ELNS1_3repE0EEENS1_30default_config_static_selectorELNS0_4arch9wavefront6targetE0EEEvT1_
    .private_segment_fixed_size: 0
    .sgpr_count:     0
    .sgpr_spill_count: 0
    .symbol:         _ZN7rocprim17ROCPRIM_400000_NS6detail17trampoline_kernelINS0_14default_configENS1_25partition_config_selectorILNS1_17partition_subalgoE5ElNS0_10empty_typeEbEEZZNS1_14partition_implILS5_5ELb0ES3_mN6hipcub16HIPCUB_304000_NS21CountingInputIteratorIllEEPS6_NSA_22TransformInputIteratorIb7NonZeroIaEPalEENS0_5tupleIJPlS6_EEENSJ_IJSD_SD_EEES6_SK_JS6_EEE10hipError_tPvRmT3_T4_T5_T6_T7_T9_mT8_P12ihipStream_tbDpT10_ENKUlT_T0_E_clISt17integral_constantIbLb0EES16_EEDaS11_S12_EUlS11_E_NS1_11comp_targetILNS1_3genE0ELNS1_11target_archE4294967295ELNS1_3gpuE0ELNS1_3repE0EEENS1_30default_config_static_selectorELNS0_4arch9wavefront6targetE0EEEvT1_.kd
    .uniform_work_group_size: 1
    .uses_dynamic_stack: false
    .vgpr_count:     0
    .vgpr_spill_count: 0
    .wavefront_size: 32
    .workgroup_processor_mode: 1
  - .args:
      - .offset:         0
        .size:           120
        .value_kind:     by_value
    .group_segment_fixed_size: 0
    .kernarg_segment_align: 8
    .kernarg_segment_size: 120
    .language:       OpenCL C
    .language_version:
      - 2
      - 0
    .max_flat_workgroup_size: 512
    .name:           _ZN7rocprim17ROCPRIM_400000_NS6detail17trampoline_kernelINS0_14default_configENS1_25partition_config_selectorILNS1_17partition_subalgoE5ElNS0_10empty_typeEbEEZZNS1_14partition_implILS5_5ELb0ES3_mN6hipcub16HIPCUB_304000_NS21CountingInputIteratorIllEEPS6_NSA_22TransformInputIteratorIb7NonZeroIaEPalEENS0_5tupleIJPlS6_EEENSJ_IJSD_SD_EEES6_SK_JS6_EEE10hipError_tPvRmT3_T4_T5_T6_T7_T9_mT8_P12ihipStream_tbDpT10_ENKUlT_T0_E_clISt17integral_constantIbLb0EES16_EEDaS11_S12_EUlS11_E_NS1_11comp_targetILNS1_3genE5ELNS1_11target_archE942ELNS1_3gpuE9ELNS1_3repE0EEENS1_30default_config_static_selectorELNS0_4arch9wavefront6targetE0EEEvT1_
    .private_segment_fixed_size: 0
    .sgpr_count:     0
    .sgpr_spill_count: 0
    .symbol:         _ZN7rocprim17ROCPRIM_400000_NS6detail17trampoline_kernelINS0_14default_configENS1_25partition_config_selectorILNS1_17partition_subalgoE5ElNS0_10empty_typeEbEEZZNS1_14partition_implILS5_5ELb0ES3_mN6hipcub16HIPCUB_304000_NS21CountingInputIteratorIllEEPS6_NSA_22TransformInputIteratorIb7NonZeroIaEPalEENS0_5tupleIJPlS6_EEENSJ_IJSD_SD_EEES6_SK_JS6_EEE10hipError_tPvRmT3_T4_T5_T6_T7_T9_mT8_P12ihipStream_tbDpT10_ENKUlT_T0_E_clISt17integral_constantIbLb0EES16_EEDaS11_S12_EUlS11_E_NS1_11comp_targetILNS1_3genE5ELNS1_11target_archE942ELNS1_3gpuE9ELNS1_3repE0EEENS1_30default_config_static_selectorELNS0_4arch9wavefront6targetE0EEEvT1_.kd
    .uniform_work_group_size: 1
    .uses_dynamic_stack: false
    .vgpr_count:     0
    .vgpr_spill_count: 0
    .wavefront_size: 32
    .workgroup_processor_mode: 1
  - .args:
      - .offset:         0
        .size:           120
        .value_kind:     by_value
    .group_segment_fixed_size: 0
    .kernarg_segment_align: 8
    .kernarg_segment_size: 120
    .language:       OpenCL C
    .language_version:
      - 2
      - 0
    .max_flat_workgroup_size: 192
    .name:           _ZN7rocprim17ROCPRIM_400000_NS6detail17trampoline_kernelINS0_14default_configENS1_25partition_config_selectorILNS1_17partition_subalgoE5ElNS0_10empty_typeEbEEZZNS1_14partition_implILS5_5ELb0ES3_mN6hipcub16HIPCUB_304000_NS21CountingInputIteratorIllEEPS6_NSA_22TransformInputIteratorIb7NonZeroIaEPalEENS0_5tupleIJPlS6_EEENSJ_IJSD_SD_EEES6_SK_JS6_EEE10hipError_tPvRmT3_T4_T5_T6_T7_T9_mT8_P12ihipStream_tbDpT10_ENKUlT_T0_E_clISt17integral_constantIbLb0EES16_EEDaS11_S12_EUlS11_E_NS1_11comp_targetILNS1_3genE4ELNS1_11target_archE910ELNS1_3gpuE8ELNS1_3repE0EEENS1_30default_config_static_selectorELNS0_4arch9wavefront6targetE0EEEvT1_
    .private_segment_fixed_size: 0
    .sgpr_count:     0
    .sgpr_spill_count: 0
    .symbol:         _ZN7rocprim17ROCPRIM_400000_NS6detail17trampoline_kernelINS0_14default_configENS1_25partition_config_selectorILNS1_17partition_subalgoE5ElNS0_10empty_typeEbEEZZNS1_14partition_implILS5_5ELb0ES3_mN6hipcub16HIPCUB_304000_NS21CountingInputIteratorIllEEPS6_NSA_22TransformInputIteratorIb7NonZeroIaEPalEENS0_5tupleIJPlS6_EEENSJ_IJSD_SD_EEES6_SK_JS6_EEE10hipError_tPvRmT3_T4_T5_T6_T7_T9_mT8_P12ihipStream_tbDpT10_ENKUlT_T0_E_clISt17integral_constantIbLb0EES16_EEDaS11_S12_EUlS11_E_NS1_11comp_targetILNS1_3genE4ELNS1_11target_archE910ELNS1_3gpuE8ELNS1_3repE0EEENS1_30default_config_static_selectorELNS0_4arch9wavefront6targetE0EEEvT1_.kd
    .uniform_work_group_size: 1
    .uses_dynamic_stack: false
    .vgpr_count:     0
    .vgpr_spill_count: 0
    .wavefront_size: 32
    .workgroup_processor_mode: 1
  - .args:
      - .offset:         0
        .size:           120
        .value_kind:     by_value
    .group_segment_fixed_size: 0
    .kernarg_segment_align: 8
    .kernarg_segment_size: 120
    .language:       OpenCL C
    .language_version:
      - 2
      - 0
    .max_flat_workgroup_size: 128
    .name:           _ZN7rocprim17ROCPRIM_400000_NS6detail17trampoline_kernelINS0_14default_configENS1_25partition_config_selectorILNS1_17partition_subalgoE5ElNS0_10empty_typeEbEEZZNS1_14partition_implILS5_5ELb0ES3_mN6hipcub16HIPCUB_304000_NS21CountingInputIteratorIllEEPS6_NSA_22TransformInputIteratorIb7NonZeroIaEPalEENS0_5tupleIJPlS6_EEENSJ_IJSD_SD_EEES6_SK_JS6_EEE10hipError_tPvRmT3_T4_T5_T6_T7_T9_mT8_P12ihipStream_tbDpT10_ENKUlT_T0_E_clISt17integral_constantIbLb0EES16_EEDaS11_S12_EUlS11_E_NS1_11comp_targetILNS1_3genE3ELNS1_11target_archE908ELNS1_3gpuE7ELNS1_3repE0EEENS1_30default_config_static_selectorELNS0_4arch9wavefront6targetE0EEEvT1_
    .private_segment_fixed_size: 0
    .sgpr_count:     0
    .sgpr_spill_count: 0
    .symbol:         _ZN7rocprim17ROCPRIM_400000_NS6detail17trampoline_kernelINS0_14default_configENS1_25partition_config_selectorILNS1_17partition_subalgoE5ElNS0_10empty_typeEbEEZZNS1_14partition_implILS5_5ELb0ES3_mN6hipcub16HIPCUB_304000_NS21CountingInputIteratorIllEEPS6_NSA_22TransformInputIteratorIb7NonZeroIaEPalEENS0_5tupleIJPlS6_EEENSJ_IJSD_SD_EEES6_SK_JS6_EEE10hipError_tPvRmT3_T4_T5_T6_T7_T9_mT8_P12ihipStream_tbDpT10_ENKUlT_T0_E_clISt17integral_constantIbLb0EES16_EEDaS11_S12_EUlS11_E_NS1_11comp_targetILNS1_3genE3ELNS1_11target_archE908ELNS1_3gpuE7ELNS1_3repE0EEENS1_30default_config_static_selectorELNS0_4arch9wavefront6targetE0EEEvT1_.kd
    .uniform_work_group_size: 1
    .uses_dynamic_stack: false
    .vgpr_count:     0
    .vgpr_spill_count: 0
    .wavefront_size: 32
    .workgroup_processor_mode: 1
  - .args:
      - .offset:         0
        .size:           120
        .value_kind:     by_value
    .group_segment_fixed_size: 0
    .kernarg_segment_align: 8
    .kernarg_segment_size: 120
    .language:       OpenCL C
    .language_version:
      - 2
      - 0
    .max_flat_workgroup_size: 256
    .name:           _ZN7rocprim17ROCPRIM_400000_NS6detail17trampoline_kernelINS0_14default_configENS1_25partition_config_selectorILNS1_17partition_subalgoE5ElNS0_10empty_typeEbEEZZNS1_14partition_implILS5_5ELb0ES3_mN6hipcub16HIPCUB_304000_NS21CountingInputIteratorIllEEPS6_NSA_22TransformInputIteratorIb7NonZeroIaEPalEENS0_5tupleIJPlS6_EEENSJ_IJSD_SD_EEES6_SK_JS6_EEE10hipError_tPvRmT3_T4_T5_T6_T7_T9_mT8_P12ihipStream_tbDpT10_ENKUlT_T0_E_clISt17integral_constantIbLb0EES16_EEDaS11_S12_EUlS11_E_NS1_11comp_targetILNS1_3genE2ELNS1_11target_archE906ELNS1_3gpuE6ELNS1_3repE0EEENS1_30default_config_static_selectorELNS0_4arch9wavefront6targetE0EEEvT1_
    .private_segment_fixed_size: 0
    .sgpr_count:     0
    .sgpr_spill_count: 0
    .symbol:         _ZN7rocprim17ROCPRIM_400000_NS6detail17trampoline_kernelINS0_14default_configENS1_25partition_config_selectorILNS1_17partition_subalgoE5ElNS0_10empty_typeEbEEZZNS1_14partition_implILS5_5ELb0ES3_mN6hipcub16HIPCUB_304000_NS21CountingInputIteratorIllEEPS6_NSA_22TransformInputIteratorIb7NonZeroIaEPalEENS0_5tupleIJPlS6_EEENSJ_IJSD_SD_EEES6_SK_JS6_EEE10hipError_tPvRmT3_T4_T5_T6_T7_T9_mT8_P12ihipStream_tbDpT10_ENKUlT_T0_E_clISt17integral_constantIbLb0EES16_EEDaS11_S12_EUlS11_E_NS1_11comp_targetILNS1_3genE2ELNS1_11target_archE906ELNS1_3gpuE6ELNS1_3repE0EEENS1_30default_config_static_selectorELNS0_4arch9wavefront6targetE0EEEvT1_.kd
    .uniform_work_group_size: 1
    .uses_dynamic_stack: false
    .vgpr_count:     0
    .vgpr_spill_count: 0
    .wavefront_size: 32
    .workgroup_processor_mode: 1
  - .args:
      - .offset:         0
        .size:           120
        .value_kind:     by_value
    .group_segment_fixed_size: 0
    .kernarg_segment_align: 8
    .kernarg_segment_size: 120
    .language:       OpenCL C
    .language_version:
      - 2
      - 0
    .max_flat_workgroup_size: 256
    .name:           _ZN7rocprim17ROCPRIM_400000_NS6detail17trampoline_kernelINS0_14default_configENS1_25partition_config_selectorILNS1_17partition_subalgoE5ElNS0_10empty_typeEbEEZZNS1_14partition_implILS5_5ELb0ES3_mN6hipcub16HIPCUB_304000_NS21CountingInputIteratorIllEEPS6_NSA_22TransformInputIteratorIb7NonZeroIaEPalEENS0_5tupleIJPlS6_EEENSJ_IJSD_SD_EEES6_SK_JS6_EEE10hipError_tPvRmT3_T4_T5_T6_T7_T9_mT8_P12ihipStream_tbDpT10_ENKUlT_T0_E_clISt17integral_constantIbLb0EES16_EEDaS11_S12_EUlS11_E_NS1_11comp_targetILNS1_3genE10ELNS1_11target_archE1200ELNS1_3gpuE4ELNS1_3repE0EEENS1_30default_config_static_selectorELNS0_4arch9wavefront6targetE0EEEvT1_
    .private_segment_fixed_size: 0
    .sgpr_count:     0
    .sgpr_spill_count: 0
    .symbol:         _ZN7rocprim17ROCPRIM_400000_NS6detail17trampoline_kernelINS0_14default_configENS1_25partition_config_selectorILNS1_17partition_subalgoE5ElNS0_10empty_typeEbEEZZNS1_14partition_implILS5_5ELb0ES3_mN6hipcub16HIPCUB_304000_NS21CountingInputIteratorIllEEPS6_NSA_22TransformInputIteratorIb7NonZeroIaEPalEENS0_5tupleIJPlS6_EEENSJ_IJSD_SD_EEES6_SK_JS6_EEE10hipError_tPvRmT3_T4_T5_T6_T7_T9_mT8_P12ihipStream_tbDpT10_ENKUlT_T0_E_clISt17integral_constantIbLb0EES16_EEDaS11_S12_EUlS11_E_NS1_11comp_targetILNS1_3genE10ELNS1_11target_archE1200ELNS1_3gpuE4ELNS1_3repE0EEENS1_30default_config_static_selectorELNS0_4arch9wavefront6targetE0EEEvT1_.kd
    .uniform_work_group_size: 1
    .uses_dynamic_stack: false
    .vgpr_count:     0
    .vgpr_spill_count: 0
    .wavefront_size: 32
    .workgroup_processor_mode: 1
  - .args:
      - .offset:         0
        .size:           120
        .value_kind:     by_value
    .group_segment_fixed_size: 6160
    .kernarg_segment_align: 8
    .kernarg_segment_size: 120
    .language:       OpenCL C
    .language_version:
      - 2
      - 0
    .max_flat_workgroup_size: 128
    .name:           _ZN7rocprim17ROCPRIM_400000_NS6detail17trampoline_kernelINS0_14default_configENS1_25partition_config_selectorILNS1_17partition_subalgoE5ElNS0_10empty_typeEbEEZZNS1_14partition_implILS5_5ELb0ES3_mN6hipcub16HIPCUB_304000_NS21CountingInputIteratorIllEEPS6_NSA_22TransformInputIteratorIb7NonZeroIaEPalEENS0_5tupleIJPlS6_EEENSJ_IJSD_SD_EEES6_SK_JS6_EEE10hipError_tPvRmT3_T4_T5_T6_T7_T9_mT8_P12ihipStream_tbDpT10_ENKUlT_T0_E_clISt17integral_constantIbLb0EES16_EEDaS11_S12_EUlS11_E_NS1_11comp_targetILNS1_3genE9ELNS1_11target_archE1100ELNS1_3gpuE3ELNS1_3repE0EEENS1_30default_config_static_selectorELNS0_4arch9wavefront6targetE0EEEvT1_
    .private_segment_fixed_size: 0
    .sgpr_count:     22
    .sgpr_spill_count: 0
    .symbol:         _ZN7rocprim17ROCPRIM_400000_NS6detail17trampoline_kernelINS0_14default_configENS1_25partition_config_selectorILNS1_17partition_subalgoE5ElNS0_10empty_typeEbEEZZNS1_14partition_implILS5_5ELb0ES3_mN6hipcub16HIPCUB_304000_NS21CountingInputIteratorIllEEPS6_NSA_22TransformInputIteratorIb7NonZeroIaEPalEENS0_5tupleIJPlS6_EEENSJ_IJSD_SD_EEES6_SK_JS6_EEE10hipError_tPvRmT3_T4_T5_T6_T7_T9_mT8_P12ihipStream_tbDpT10_ENKUlT_T0_E_clISt17integral_constantIbLb0EES16_EEDaS11_S12_EUlS11_E_NS1_11comp_targetILNS1_3genE9ELNS1_11target_archE1100ELNS1_3gpuE3ELNS1_3repE0EEENS1_30default_config_static_selectorELNS0_4arch9wavefront6targetE0EEEvT1_.kd
    .uniform_work_group_size: 1
    .uses_dynamic_stack: false
    .vgpr_count:     57
    .vgpr_spill_count: 0
    .wavefront_size: 32
    .workgroup_processor_mode: 1
  - .args:
      - .offset:         0
        .size:           120
        .value_kind:     by_value
    .group_segment_fixed_size: 0
    .kernarg_segment_align: 8
    .kernarg_segment_size: 120
    .language:       OpenCL C
    .language_version:
      - 2
      - 0
    .max_flat_workgroup_size: 512
    .name:           _ZN7rocprim17ROCPRIM_400000_NS6detail17trampoline_kernelINS0_14default_configENS1_25partition_config_selectorILNS1_17partition_subalgoE5ElNS0_10empty_typeEbEEZZNS1_14partition_implILS5_5ELb0ES3_mN6hipcub16HIPCUB_304000_NS21CountingInputIteratorIllEEPS6_NSA_22TransformInputIteratorIb7NonZeroIaEPalEENS0_5tupleIJPlS6_EEENSJ_IJSD_SD_EEES6_SK_JS6_EEE10hipError_tPvRmT3_T4_T5_T6_T7_T9_mT8_P12ihipStream_tbDpT10_ENKUlT_T0_E_clISt17integral_constantIbLb0EES16_EEDaS11_S12_EUlS11_E_NS1_11comp_targetILNS1_3genE8ELNS1_11target_archE1030ELNS1_3gpuE2ELNS1_3repE0EEENS1_30default_config_static_selectorELNS0_4arch9wavefront6targetE0EEEvT1_
    .private_segment_fixed_size: 0
    .sgpr_count:     0
    .sgpr_spill_count: 0
    .symbol:         _ZN7rocprim17ROCPRIM_400000_NS6detail17trampoline_kernelINS0_14default_configENS1_25partition_config_selectorILNS1_17partition_subalgoE5ElNS0_10empty_typeEbEEZZNS1_14partition_implILS5_5ELb0ES3_mN6hipcub16HIPCUB_304000_NS21CountingInputIteratorIllEEPS6_NSA_22TransformInputIteratorIb7NonZeroIaEPalEENS0_5tupleIJPlS6_EEENSJ_IJSD_SD_EEES6_SK_JS6_EEE10hipError_tPvRmT3_T4_T5_T6_T7_T9_mT8_P12ihipStream_tbDpT10_ENKUlT_T0_E_clISt17integral_constantIbLb0EES16_EEDaS11_S12_EUlS11_E_NS1_11comp_targetILNS1_3genE8ELNS1_11target_archE1030ELNS1_3gpuE2ELNS1_3repE0EEENS1_30default_config_static_selectorELNS0_4arch9wavefront6targetE0EEEvT1_.kd
    .uniform_work_group_size: 1
    .uses_dynamic_stack: false
    .vgpr_count:     0
    .vgpr_spill_count: 0
    .wavefront_size: 32
    .workgroup_processor_mode: 1
  - .args:
      - .offset:         0
        .size:           40
        .value_kind:     by_value
    .group_segment_fixed_size: 0
    .kernarg_segment_align: 8
    .kernarg_segment_size: 40
    .language:       OpenCL C
    .language_version:
      - 2
      - 0
    .max_flat_workgroup_size: 128
    .name:           _ZN7rocprim17ROCPRIM_400000_NS6detail17trampoline_kernelINS0_14default_configENS1_25transform_config_selectorImLb1EEEZNS1_14transform_implILb1ES3_S5_PmPlNS0_8identityIvEEEE10hipError_tT2_T3_mT4_P12ihipStream_tbEUlT_E_NS1_11comp_targetILNS1_3genE0ELNS1_11target_archE4294967295ELNS1_3gpuE0ELNS1_3repE0EEENS1_30default_config_static_selectorELNS0_4arch9wavefront6targetE0EEEvT1_
    .private_segment_fixed_size: 0
    .sgpr_count:     0
    .sgpr_spill_count: 0
    .symbol:         _ZN7rocprim17ROCPRIM_400000_NS6detail17trampoline_kernelINS0_14default_configENS1_25transform_config_selectorImLb1EEEZNS1_14transform_implILb1ES3_S5_PmPlNS0_8identityIvEEEE10hipError_tT2_T3_mT4_P12ihipStream_tbEUlT_E_NS1_11comp_targetILNS1_3genE0ELNS1_11target_archE4294967295ELNS1_3gpuE0ELNS1_3repE0EEENS1_30default_config_static_selectorELNS0_4arch9wavefront6targetE0EEEvT1_.kd
    .uniform_work_group_size: 1
    .uses_dynamic_stack: false
    .vgpr_count:     0
    .vgpr_spill_count: 0
    .wavefront_size: 32
    .workgroup_processor_mode: 1
  - .args:
      - .offset:         0
        .size:           40
        .value_kind:     by_value
    .group_segment_fixed_size: 0
    .kernarg_segment_align: 8
    .kernarg_segment_size: 40
    .language:       OpenCL C
    .language_version:
      - 2
      - 0
    .max_flat_workgroup_size: 1024
    .name:           _ZN7rocprim17ROCPRIM_400000_NS6detail17trampoline_kernelINS0_14default_configENS1_25transform_config_selectorImLb1EEEZNS1_14transform_implILb1ES3_S5_PmPlNS0_8identityIvEEEE10hipError_tT2_T3_mT4_P12ihipStream_tbEUlT_E_NS1_11comp_targetILNS1_3genE10ELNS1_11target_archE1201ELNS1_3gpuE5ELNS1_3repE0EEENS1_30default_config_static_selectorELNS0_4arch9wavefront6targetE0EEEvT1_
    .private_segment_fixed_size: 0
    .sgpr_count:     0
    .sgpr_spill_count: 0
    .symbol:         _ZN7rocprim17ROCPRIM_400000_NS6detail17trampoline_kernelINS0_14default_configENS1_25transform_config_selectorImLb1EEEZNS1_14transform_implILb1ES3_S5_PmPlNS0_8identityIvEEEE10hipError_tT2_T3_mT4_P12ihipStream_tbEUlT_E_NS1_11comp_targetILNS1_3genE10ELNS1_11target_archE1201ELNS1_3gpuE5ELNS1_3repE0EEENS1_30default_config_static_selectorELNS0_4arch9wavefront6targetE0EEEvT1_.kd
    .uniform_work_group_size: 1
    .uses_dynamic_stack: false
    .vgpr_count:     0
    .vgpr_spill_count: 0
    .wavefront_size: 32
    .workgroup_processor_mode: 1
  - .args:
      - .offset:         0
        .size:           40
        .value_kind:     by_value
    .group_segment_fixed_size: 0
    .kernarg_segment_align: 8
    .kernarg_segment_size: 40
    .language:       OpenCL C
    .language_version:
      - 2
      - 0
    .max_flat_workgroup_size: 512
    .name:           _ZN7rocprim17ROCPRIM_400000_NS6detail17trampoline_kernelINS0_14default_configENS1_25transform_config_selectorImLb1EEEZNS1_14transform_implILb1ES3_S5_PmPlNS0_8identityIvEEEE10hipError_tT2_T3_mT4_P12ihipStream_tbEUlT_E_NS1_11comp_targetILNS1_3genE5ELNS1_11target_archE942ELNS1_3gpuE9ELNS1_3repE0EEENS1_30default_config_static_selectorELNS0_4arch9wavefront6targetE0EEEvT1_
    .private_segment_fixed_size: 0
    .sgpr_count:     0
    .sgpr_spill_count: 0
    .symbol:         _ZN7rocprim17ROCPRIM_400000_NS6detail17trampoline_kernelINS0_14default_configENS1_25transform_config_selectorImLb1EEEZNS1_14transform_implILb1ES3_S5_PmPlNS0_8identityIvEEEE10hipError_tT2_T3_mT4_P12ihipStream_tbEUlT_E_NS1_11comp_targetILNS1_3genE5ELNS1_11target_archE942ELNS1_3gpuE9ELNS1_3repE0EEENS1_30default_config_static_selectorELNS0_4arch9wavefront6targetE0EEEvT1_.kd
    .uniform_work_group_size: 1
    .uses_dynamic_stack: false
    .vgpr_count:     0
    .vgpr_spill_count: 0
    .wavefront_size: 32
    .workgroup_processor_mode: 1
  - .args:
      - .offset:         0
        .size:           40
        .value_kind:     by_value
    .group_segment_fixed_size: 0
    .kernarg_segment_align: 8
    .kernarg_segment_size: 40
    .language:       OpenCL C
    .language_version:
      - 2
      - 0
    .max_flat_workgroup_size: 1024
    .name:           _ZN7rocprim17ROCPRIM_400000_NS6detail17trampoline_kernelINS0_14default_configENS1_25transform_config_selectorImLb1EEEZNS1_14transform_implILb1ES3_S5_PmPlNS0_8identityIvEEEE10hipError_tT2_T3_mT4_P12ihipStream_tbEUlT_E_NS1_11comp_targetILNS1_3genE4ELNS1_11target_archE910ELNS1_3gpuE8ELNS1_3repE0EEENS1_30default_config_static_selectorELNS0_4arch9wavefront6targetE0EEEvT1_
    .private_segment_fixed_size: 0
    .sgpr_count:     0
    .sgpr_spill_count: 0
    .symbol:         _ZN7rocprim17ROCPRIM_400000_NS6detail17trampoline_kernelINS0_14default_configENS1_25transform_config_selectorImLb1EEEZNS1_14transform_implILb1ES3_S5_PmPlNS0_8identityIvEEEE10hipError_tT2_T3_mT4_P12ihipStream_tbEUlT_E_NS1_11comp_targetILNS1_3genE4ELNS1_11target_archE910ELNS1_3gpuE8ELNS1_3repE0EEENS1_30default_config_static_selectorELNS0_4arch9wavefront6targetE0EEEvT1_.kd
    .uniform_work_group_size: 1
    .uses_dynamic_stack: false
    .vgpr_count:     0
    .vgpr_spill_count: 0
    .wavefront_size: 32
    .workgroup_processor_mode: 1
  - .args:
      - .offset:         0
        .size:           40
        .value_kind:     by_value
    .group_segment_fixed_size: 0
    .kernarg_segment_align: 8
    .kernarg_segment_size: 40
    .language:       OpenCL C
    .language_version:
      - 2
      - 0
    .max_flat_workgroup_size: 128
    .name:           _ZN7rocprim17ROCPRIM_400000_NS6detail17trampoline_kernelINS0_14default_configENS1_25transform_config_selectorImLb1EEEZNS1_14transform_implILb1ES3_S5_PmPlNS0_8identityIvEEEE10hipError_tT2_T3_mT4_P12ihipStream_tbEUlT_E_NS1_11comp_targetILNS1_3genE3ELNS1_11target_archE908ELNS1_3gpuE7ELNS1_3repE0EEENS1_30default_config_static_selectorELNS0_4arch9wavefront6targetE0EEEvT1_
    .private_segment_fixed_size: 0
    .sgpr_count:     0
    .sgpr_spill_count: 0
    .symbol:         _ZN7rocprim17ROCPRIM_400000_NS6detail17trampoline_kernelINS0_14default_configENS1_25transform_config_selectorImLb1EEEZNS1_14transform_implILb1ES3_S5_PmPlNS0_8identityIvEEEE10hipError_tT2_T3_mT4_P12ihipStream_tbEUlT_E_NS1_11comp_targetILNS1_3genE3ELNS1_11target_archE908ELNS1_3gpuE7ELNS1_3repE0EEENS1_30default_config_static_selectorELNS0_4arch9wavefront6targetE0EEEvT1_.kd
    .uniform_work_group_size: 1
    .uses_dynamic_stack: false
    .vgpr_count:     0
    .vgpr_spill_count: 0
    .wavefront_size: 32
    .workgroup_processor_mode: 1
  - .args:
      - .offset:         0
        .size:           40
        .value_kind:     by_value
    .group_segment_fixed_size: 0
    .kernarg_segment_align: 8
    .kernarg_segment_size: 40
    .language:       OpenCL C
    .language_version:
      - 2
      - 0
    .max_flat_workgroup_size: 512
    .name:           _ZN7rocprim17ROCPRIM_400000_NS6detail17trampoline_kernelINS0_14default_configENS1_25transform_config_selectorImLb1EEEZNS1_14transform_implILb1ES3_S5_PmPlNS0_8identityIvEEEE10hipError_tT2_T3_mT4_P12ihipStream_tbEUlT_E_NS1_11comp_targetILNS1_3genE2ELNS1_11target_archE906ELNS1_3gpuE6ELNS1_3repE0EEENS1_30default_config_static_selectorELNS0_4arch9wavefront6targetE0EEEvT1_
    .private_segment_fixed_size: 0
    .sgpr_count:     0
    .sgpr_spill_count: 0
    .symbol:         _ZN7rocprim17ROCPRIM_400000_NS6detail17trampoline_kernelINS0_14default_configENS1_25transform_config_selectorImLb1EEEZNS1_14transform_implILb1ES3_S5_PmPlNS0_8identityIvEEEE10hipError_tT2_T3_mT4_P12ihipStream_tbEUlT_E_NS1_11comp_targetILNS1_3genE2ELNS1_11target_archE906ELNS1_3gpuE6ELNS1_3repE0EEENS1_30default_config_static_selectorELNS0_4arch9wavefront6targetE0EEEvT1_.kd
    .uniform_work_group_size: 1
    .uses_dynamic_stack: false
    .vgpr_count:     0
    .vgpr_spill_count: 0
    .wavefront_size: 32
    .workgroup_processor_mode: 1
  - .args:
      - .offset:         0
        .size:           40
        .value_kind:     by_value
      - .offset:         40
        .size:           4
        .value_kind:     hidden_block_count_x
      - .offset:         44
        .size:           4
        .value_kind:     hidden_block_count_y
      - .offset:         48
        .size:           4
        .value_kind:     hidden_block_count_z
      - .offset:         52
        .size:           2
        .value_kind:     hidden_group_size_x
      - .offset:         54
        .size:           2
        .value_kind:     hidden_group_size_y
      - .offset:         56
        .size:           2
        .value_kind:     hidden_group_size_z
      - .offset:         58
        .size:           2
        .value_kind:     hidden_remainder_x
      - .offset:         60
        .size:           2
        .value_kind:     hidden_remainder_y
      - .offset:         62
        .size:           2
        .value_kind:     hidden_remainder_z
      - .offset:         80
        .size:           8
        .value_kind:     hidden_global_offset_x
      - .offset:         88
        .size:           8
        .value_kind:     hidden_global_offset_y
      - .offset:         96
        .size:           8
        .value_kind:     hidden_global_offset_z
      - .offset:         104
        .size:           2
        .value_kind:     hidden_grid_dims
    .group_segment_fixed_size: 0
    .kernarg_segment_align: 8
    .kernarg_segment_size: 296
    .language:       OpenCL C
    .language_version:
      - 2
      - 0
    .max_flat_workgroup_size: 1024
    .name:           _ZN7rocprim17ROCPRIM_400000_NS6detail17trampoline_kernelINS0_14default_configENS1_25transform_config_selectorImLb1EEEZNS1_14transform_implILb1ES3_S5_PmPlNS0_8identityIvEEEE10hipError_tT2_T3_mT4_P12ihipStream_tbEUlT_E_NS1_11comp_targetILNS1_3genE9ELNS1_11target_archE1100ELNS1_3gpuE3ELNS1_3repE0EEENS1_30default_config_static_selectorELNS0_4arch9wavefront6targetE0EEEvT1_
    .private_segment_fixed_size: 0
    .sgpr_count:     18
    .sgpr_spill_count: 0
    .symbol:         _ZN7rocprim17ROCPRIM_400000_NS6detail17trampoline_kernelINS0_14default_configENS1_25transform_config_selectorImLb1EEEZNS1_14transform_implILb1ES3_S5_PmPlNS0_8identityIvEEEE10hipError_tT2_T3_mT4_P12ihipStream_tbEUlT_E_NS1_11comp_targetILNS1_3genE9ELNS1_11target_archE1100ELNS1_3gpuE3ELNS1_3repE0EEENS1_30default_config_static_selectorELNS0_4arch9wavefront6targetE0EEEvT1_.kd
    .uniform_work_group_size: 1
    .uses_dynamic_stack: false
    .vgpr_count:     7
    .vgpr_spill_count: 0
    .wavefront_size: 32
    .workgroup_processor_mode: 1
  - .args:
      - .offset:         0
        .size:           40
        .value_kind:     by_value
    .group_segment_fixed_size: 0
    .kernarg_segment_align: 8
    .kernarg_segment_size: 40
    .language:       OpenCL C
    .language_version:
      - 2
      - 0
    .max_flat_workgroup_size: 1024
    .name:           _ZN7rocprim17ROCPRIM_400000_NS6detail17trampoline_kernelINS0_14default_configENS1_25transform_config_selectorImLb1EEEZNS1_14transform_implILb1ES3_S5_PmPlNS0_8identityIvEEEE10hipError_tT2_T3_mT4_P12ihipStream_tbEUlT_E_NS1_11comp_targetILNS1_3genE8ELNS1_11target_archE1030ELNS1_3gpuE2ELNS1_3repE0EEENS1_30default_config_static_selectorELNS0_4arch9wavefront6targetE0EEEvT1_
    .private_segment_fixed_size: 0
    .sgpr_count:     0
    .sgpr_spill_count: 0
    .symbol:         _ZN7rocprim17ROCPRIM_400000_NS6detail17trampoline_kernelINS0_14default_configENS1_25transform_config_selectorImLb1EEEZNS1_14transform_implILb1ES3_S5_PmPlNS0_8identityIvEEEE10hipError_tT2_T3_mT4_P12ihipStream_tbEUlT_E_NS1_11comp_targetILNS1_3genE8ELNS1_11target_archE1030ELNS1_3gpuE2ELNS1_3repE0EEENS1_30default_config_static_selectorELNS0_4arch9wavefront6targetE0EEEvT1_.kd
    .uniform_work_group_size: 1
    .uses_dynamic_stack: false
    .vgpr_count:     0
    .vgpr_spill_count: 0
    .wavefront_size: 32
    .workgroup_processor_mode: 1
  - .args:
      - .address_space:  global
        .offset:         0
        .size:           8
        .value_kind:     global_buffer
      - .offset:         8
        .size:           4
        .value_kind:     by_value
      - .address_space:  global
        .offset:         16
        .size:           8
        .value_kind:     global_buffer
      - .offset:         24
        .size:           4
        .value_kind:     by_value
      - .address_space:  global
        .offset:         32
        .size:           8
        .value_kind:     global_buffer
      - .offset:         40
        .size:           4
        .value_kind:     hidden_block_count_x
      - .offset:         44
        .size:           4
        .value_kind:     hidden_block_count_y
      - .offset:         48
        .size:           4
        .value_kind:     hidden_block_count_z
      - .offset:         52
        .size:           2
        .value_kind:     hidden_group_size_x
      - .offset:         54
        .size:           2
        .value_kind:     hidden_group_size_y
      - .offset:         56
        .size:           2
        .value_kind:     hidden_group_size_z
      - .offset:         58
        .size:           2
        .value_kind:     hidden_remainder_x
      - .offset:         60
        .size:           2
        .value_kind:     hidden_remainder_y
      - .offset:         62
        .size:           2
        .value_kind:     hidden_remainder_z
      - .offset:         80
        .size:           8
        .value_kind:     hidden_global_offset_x
      - .offset:         88
        .size:           8
        .value_kind:     hidden_global_offset_y
      - .offset:         96
        .size:           8
        .value_kind:     hidden_global_offset_z
      - .offset:         104
        .size:           2
        .value_kind:     hidden_grid_dims
    .group_segment_fixed_size: 0
    .kernarg_segment_align: 8
    .kernarg_segment_size: 296
    .language:       OpenCL C
    .language_version:
      - 2
      - 0
    .max_flat_workgroup_size: 256
    .name:           _ZN7rocprim17ROCPRIM_400000_NS6detail31init_lookback_scan_state_kernelINS1_19lookback_scan_stateImLb1ELb1EEENS1_16block_id_wrapperIjLb1EEEEEvT_jT0_jPNS7_10value_typeE
    .private_segment_fixed_size: 0
    .sgpr_count:     18
    .sgpr_spill_count: 0
    .symbol:         _ZN7rocprim17ROCPRIM_400000_NS6detail31init_lookback_scan_state_kernelINS1_19lookback_scan_stateImLb1ELb1EEENS1_16block_id_wrapperIjLb1EEEEEvT_jT0_jPNS7_10value_typeE.kd
    .uniform_work_group_size: 1
    .uses_dynamic_stack: false
    .vgpr_count:     9
    .vgpr_spill_count: 0
    .wavefront_size: 32
    .workgroup_processor_mode: 1
  - .args:
      - .offset:         0
        .size:           136
        .value_kind:     by_value
    .group_segment_fixed_size: 0
    .kernarg_segment_align: 8
    .kernarg_segment_size: 136
    .language:       OpenCL C
    .language_version:
      - 2
      - 0
    .max_flat_workgroup_size: 128
    .name:           _ZN7rocprim17ROCPRIM_400000_NS6detail17trampoline_kernelINS0_14default_configENS1_25partition_config_selectorILNS1_17partition_subalgoE5ElNS0_10empty_typeEbEEZZNS1_14partition_implILS5_5ELb0ES3_mN6hipcub16HIPCUB_304000_NS21CountingInputIteratorIllEEPS6_NSA_22TransformInputIteratorIb7NonZeroIaEPalEENS0_5tupleIJPlS6_EEENSJ_IJSD_SD_EEES6_SK_JS6_EEE10hipError_tPvRmT3_T4_T5_T6_T7_T9_mT8_P12ihipStream_tbDpT10_ENKUlT_T0_E_clISt17integral_constantIbLb1EES16_EEDaS11_S12_EUlS11_E_NS1_11comp_targetILNS1_3genE0ELNS1_11target_archE4294967295ELNS1_3gpuE0ELNS1_3repE0EEENS1_30default_config_static_selectorELNS0_4arch9wavefront6targetE0EEEvT1_
    .private_segment_fixed_size: 0
    .sgpr_count:     0
    .sgpr_spill_count: 0
    .symbol:         _ZN7rocprim17ROCPRIM_400000_NS6detail17trampoline_kernelINS0_14default_configENS1_25partition_config_selectorILNS1_17partition_subalgoE5ElNS0_10empty_typeEbEEZZNS1_14partition_implILS5_5ELb0ES3_mN6hipcub16HIPCUB_304000_NS21CountingInputIteratorIllEEPS6_NSA_22TransformInputIteratorIb7NonZeroIaEPalEENS0_5tupleIJPlS6_EEENSJ_IJSD_SD_EEES6_SK_JS6_EEE10hipError_tPvRmT3_T4_T5_T6_T7_T9_mT8_P12ihipStream_tbDpT10_ENKUlT_T0_E_clISt17integral_constantIbLb1EES16_EEDaS11_S12_EUlS11_E_NS1_11comp_targetILNS1_3genE0ELNS1_11target_archE4294967295ELNS1_3gpuE0ELNS1_3repE0EEENS1_30default_config_static_selectorELNS0_4arch9wavefront6targetE0EEEvT1_.kd
    .uniform_work_group_size: 1
    .uses_dynamic_stack: false
    .vgpr_count:     0
    .vgpr_spill_count: 0
    .wavefront_size: 32
    .workgroup_processor_mode: 1
  - .args:
      - .offset:         0
        .size:           136
        .value_kind:     by_value
    .group_segment_fixed_size: 0
    .kernarg_segment_align: 8
    .kernarg_segment_size: 136
    .language:       OpenCL C
    .language_version:
      - 2
      - 0
    .max_flat_workgroup_size: 512
    .name:           _ZN7rocprim17ROCPRIM_400000_NS6detail17trampoline_kernelINS0_14default_configENS1_25partition_config_selectorILNS1_17partition_subalgoE5ElNS0_10empty_typeEbEEZZNS1_14partition_implILS5_5ELb0ES3_mN6hipcub16HIPCUB_304000_NS21CountingInputIteratorIllEEPS6_NSA_22TransformInputIteratorIb7NonZeroIaEPalEENS0_5tupleIJPlS6_EEENSJ_IJSD_SD_EEES6_SK_JS6_EEE10hipError_tPvRmT3_T4_T5_T6_T7_T9_mT8_P12ihipStream_tbDpT10_ENKUlT_T0_E_clISt17integral_constantIbLb1EES16_EEDaS11_S12_EUlS11_E_NS1_11comp_targetILNS1_3genE5ELNS1_11target_archE942ELNS1_3gpuE9ELNS1_3repE0EEENS1_30default_config_static_selectorELNS0_4arch9wavefront6targetE0EEEvT1_
    .private_segment_fixed_size: 0
    .sgpr_count:     0
    .sgpr_spill_count: 0
    .symbol:         _ZN7rocprim17ROCPRIM_400000_NS6detail17trampoline_kernelINS0_14default_configENS1_25partition_config_selectorILNS1_17partition_subalgoE5ElNS0_10empty_typeEbEEZZNS1_14partition_implILS5_5ELb0ES3_mN6hipcub16HIPCUB_304000_NS21CountingInputIteratorIllEEPS6_NSA_22TransformInputIteratorIb7NonZeroIaEPalEENS0_5tupleIJPlS6_EEENSJ_IJSD_SD_EEES6_SK_JS6_EEE10hipError_tPvRmT3_T4_T5_T6_T7_T9_mT8_P12ihipStream_tbDpT10_ENKUlT_T0_E_clISt17integral_constantIbLb1EES16_EEDaS11_S12_EUlS11_E_NS1_11comp_targetILNS1_3genE5ELNS1_11target_archE942ELNS1_3gpuE9ELNS1_3repE0EEENS1_30default_config_static_selectorELNS0_4arch9wavefront6targetE0EEEvT1_.kd
    .uniform_work_group_size: 1
    .uses_dynamic_stack: false
    .vgpr_count:     0
    .vgpr_spill_count: 0
    .wavefront_size: 32
    .workgroup_processor_mode: 1
  - .args:
      - .offset:         0
        .size:           136
        .value_kind:     by_value
    .group_segment_fixed_size: 0
    .kernarg_segment_align: 8
    .kernarg_segment_size: 136
    .language:       OpenCL C
    .language_version:
      - 2
      - 0
    .max_flat_workgroup_size: 192
    .name:           _ZN7rocprim17ROCPRIM_400000_NS6detail17trampoline_kernelINS0_14default_configENS1_25partition_config_selectorILNS1_17partition_subalgoE5ElNS0_10empty_typeEbEEZZNS1_14partition_implILS5_5ELb0ES3_mN6hipcub16HIPCUB_304000_NS21CountingInputIteratorIllEEPS6_NSA_22TransformInputIteratorIb7NonZeroIaEPalEENS0_5tupleIJPlS6_EEENSJ_IJSD_SD_EEES6_SK_JS6_EEE10hipError_tPvRmT3_T4_T5_T6_T7_T9_mT8_P12ihipStream_tbDpT10_ENKUlT_T0_E_clISt17integral_constantIbLb1EES16_EEDaS11_S12_EUlS11_E_NS1_11comp_targetILNS1_3genE4ELNS1_11target_archE910ELNS1_3gpuE8ELNS1_3repE0EEENS1_30default_config_static_selectorELNS0_4arch9wavefront6targetE0EEEvT1_
    .private_segment_fixed_size: 0
    .sgpr_count:     0
    .sgpr_spill_count: 0
    .symbol:         _ZN7rocprim17ROCPRIM_400000_NS6detail17trampoline_kernelINS0_14default_configENS1_25partition_config_selectorILNS1_17partition_subalgoE5ElNS0_10empty_typeEbEEZZNS1_14partition_implILS5_5ELb0ES3_mN6hipcub16HIPCUB_304000_NS21CountingInputIteratorIllEEPS6_NSA_22TransformInputIteratorIb7NonZeroIaEPalEENS0_5tupleIJPlS6_EEENSJ_IJSD_SD_EEES6_SK_JS6_EEE10hipError_tPvRmT3_T4_T5_T6_T7_T9_mT8_P12ihipStream_tbDpT10_ENKUlT_T0_E_clISt17integral_constantIbLb1EES16_EEDaS11_S12_EUlS11_E_NS1_11comp_targetILNS1_3genE4ELNS1_11target_archE910ELNS1_3gpuE8ELNS1_3repE0EEENS1_30default_config_static_selectorELNS0_4arch9wavefront6targetE0EEEvT1_.kd
    .uniform_work_group_size: 1
    .uses_dynamic_stack: false
    .vgpr_count:     0
    .vgpr_spill_count: 0
    .wavefront_size: 32
    .workgroup_processor_mode: 1
  - .args:
      - .offset:         0
        .size:           136
        .value_kind:     by_value
    .group_segment_fixed_size: 0
    .kernarg_segment_align: 8
    .kernarg_segment_size: 136
    .language:       OpenCL C
    .language_version:
      - 2
      - 0
    .max_flat_workgroup_size: 128
    .name:           _ZN7rocprim17ROCPRIM_400000_NS6detail17trampoline_kernelINS0_14default_configENS1_25partition_config_selectorILNS1_17partition_subalgoE5ElNS0_10empty_typeEbEEZZNS1_14partition_implILS5_5ELb0ES3_mN6hipcub16HIPCUB_304000_NS21CountingInputIteratorIllEEPS6_NSA_22TransformInputIteratorIb7NonZeroIaEPalEENS0_5tupleIJPlS6_EEENSJ_IJSD_SD_EEES6_SK_JS6_EEE10hipError_tPvRmT3_T4_T5_T6_T7_T9_mT8_P12ihipStream_tbDpT10_ENKUlT_T0_E_clISt17integral_constantIbLb1EES16_EEDaS11_S12_EUlS11_E_NS1_11comp_targetILNS1_3genE3ELNS1_11target_archE908ELNS1_3gpuE7ELNS1_3repE0EEENS1_30default_config_static_selectorELNS0_4arch9wavefront6targetE0EEEvT1_
    .private_segment_fixed_size: 0
    .sgpr_count:     0
    .sgpr_spill_count: 0
    .symbol:         _ZN7rocprim17ROCPRIM_400000_NS6detail17trampoline_kernelINS0_14default_configENS1_25partition_config_selectorILNS1_17partition_subalgoE5ElNS0_10empty_typeEbEEZZNS1_14partition_implILS5_5ELb0ES3_mN6hipcub16HIPCUB_304000_NS21CountingInputIteratorIllEEPS6_NSA_22TransformInputIteratorIb7NonZeroIaEPalEENS0_5tupleIJPlS6_EEENSJ_IJSD_SD_EEES6_SK_JS6_EEE10hipError_tPvRmT3_T4_T5_T6_T7_T9_mT8_P12ihipStream_tbDpT10_ENKUlT_T0_E_clISt17integral_constantIbLb1EES16_EEDaS11_S12_EUlS11_E_NS1_11comp_targetILNS1_3genE3ELNS1_11target_archE908ELNS1_3gpuE7ELNS1_3repE0EEENS1_30default_config_static_selectorELNS0_4arch9wavefront6targetE0EEEvT1_.kd
    .uniform_work_group_size: 1
    .uses_dynamic_stack: false
    .vgpr_count:     0
    .vgpr_spill_count: 0
    .wavefront_size: 32
    .workgroup_processor_mode: 1
  - .args:
      - .offset:         0
        .size:           136
        .value_kind:     by_value
    .group_segment_fixed_size: 0
    .kernarg_segment_align: 8
    .kernarg_segment_size: 136
    .language:       OpenCL C
    .language_version:
      - 2
      - 0
    .max_flat_workgroup_size: 256
    .name:           _ZN7rocprim17ROCPRIM_400000_NS6detail17trampoline_kernelINS0_14default_configENS1_25partition_config_selectorILNS1_17partition_subalgoE5ElNS0_10empty_typeEbEEZZNS1_14partition_implILS5_5ELb0ES3_mN6hipcub16HIPCUB_304000_NS21CountingInputIteratorIllEEPS6_NSA_22TransformInputIteratorIb7NonZeroIaEPalEENS0_5tupleIJPlS6_EEENSJ_IJSD_SD_EEES6_SK_JS6_EEE10hipError_tPvRmT3_T4_T5_T6_T7_T9_mT8_P12ihipStream_tbDpT10_ENKUlT_T0_E_clISt17integral_constantIbLb1EES16_EEDaS11_S12_EUlS11_E_NS1_11comp_targetILNS1_3genE2ELNS1_11target_archE906ELNS1_3gpuE6ELNS1_3repE0EEENS1_30default_config_static_selectorELNS0_4arch9wavefront6targetE0EEEvT1_
    .private_segment_fixed_size: 0
    .sgpr_count:     0
    .sgpr_spill_count: 0
    .symbol:         _ZN7rocprim17ROCPRIM_400000_NS6detail17trampoline_kernelINS0_14default_configENS1_25partition_config_selectorILNS1_17partition_subalgoE5ElNS0_10empty_typeEbEEZZNS1_14partition_implILS5_5ELb0ES3_mN6hipcub16HIPCUB_304000_NS21CountingInputIteratorIllEEPS6_NSA_22TransformInputIteratorIb7NonZeroIaEPalEENS0_5tupleIJPlS6_EEENSJ_IJSD_SD_EEES6_SK_JS6_EEE10hipError_tPvRmT3_T4_T5_T6_T7_T9_mT8_P12ihipStream_tbDpT10_ENKUlT_T0_E_clISt17integral_constantIbLb1EES16_EEDaS11_S12_EUlS11_E_NS1_11comp_targetILNS1_3genE2ELNS1_11target_archE906ELNS1_3gpuE6ELNS1_3repE0EEENS1_30default_config_static_selectorELNS0_4arch9wavefront6targetE0EEEvT1_.kd
    .uniform_work_group_size: 1
    .uses_dynamic_stack: false
    .vgpr_count:     0
    .vgpr_spill_count: 0
    .wavefront_size: 32
    .workgroup_processor_mode: 1
  - .args:
      - .offset:         0
        .size:           136
        .value_kind:     by_value
    .group_segment_fixed_size: 0
    .kernarg_segment_align: 8
    .kernarg_segment_size: 136
    .language:       OpenCL C
    .language_version:
      - 2
      - 0
    .max_flat_workgroup_size: 256
    .name:           _ZN7rocprim17ROCPRIM_400000_NS6detail17trampoline_kernelINS0_14default_configENS1_25partition_config_selectorILNS1_17partition_subalgoE5ElNS0_10empty_typeEbEEZZNS1_14partition_implILS5_5ELb0ES3_mN6hipcub16HIPCUB_304000_NS21CountingInputIteratorIllEEPS6_NSA_22TransformInputIteratorIb7NonZeroIaEPalEENS0_5tupleIJPlS6_EEENSJ_IJSD_SD_EEES6_SK_JS6_EEE10hipError_tPvRmT3_T4_T5_T6_T7_T9_mT8_P12ihipStream_tbDpT10_ENKUlT_T0_E_clISt17integral_constantIbLb1EES16_EEDaS11_S12_EUlS11_E_NS1_11comp_targetILNS1_3genE10ELNS1_11target_archE1200ELNS1_3gpuE4ELNS1_3repE0EEENS1_30default_config_static_selectorELNS0_4arch9wavefront6targetE0EEEvT1_
    .private_segment_fixed_size: 0
    .sgpr_count:     0
    .sgpr_spill_count: 0
    .symbol:         _ZN7rocprim17ROCPRIM_400000_NS6detail17trampoline_kernelINS0_14default_configENS1_25partition_config_selectorILNS1_17partition_subalgoE5ElNS0_10empty_typeEbEEZZNS1_14partition_implILS5_5ELb0ES3_mN6hipcub16HIPCUB_304000_NS21CountingInputIteratorIllEEPS6_NSA_22TransformInputIteratorIb7NonZeroIaEPalEENS0_5tupleIJPlS6_EEENSJ_IJSD_SD_EEES6_SK_JS6_EEE10hipError_tPvRmT3_T4_T5_T6_T7_T9_mT8_P12ihipStream_tbDpT10_ENKUlT_T0_E_clISt17integral_constantIbLb1EES16_EEDaS11_S12_EUlS11_E_NS1_11comp_targetILNS1_3genE10ELNS1_11target_archE1200ELNS1_3gpuE4ELNS1_3repE0EEENS1_30default_config_static_selectorELNS0_4arch9wavefront6targetE0EEEvT1_.kd
    .uniform_work_group_size: 1
    .uses_dynamic_stack: false
    .vgpr_count:     0
    .vgpr_spill_count: 0
    .wavefront_size: 32
    .workgroup_processor_mode: 1
  - .args:
      - .offset:         0
        .size:           136
        .value_kind:     by_value
    .group_segment_fixed_size: 6160
    .kernarg_segment_align: 8
    .kernarg_segment_size: 136
    .language:       OpenCL C
    .language_version:
      - 2
      - 0
    .max_flat_workgroup_size: 128
    .name:           _ZN7rocprim17ROCPRIM_400000_NS6detail17trampoline_kernelINS0_14default_configENS1_25partition_config_selectorILNS1_17partition_subalgoE5ElNS0_10empty_typeEbEEZZNS1_14partition_implILS5_5ELb0ES3_mN6hipcub16HIPCUB_304000_NS21CountingInputIteratorIllEEPS6_NSA_22TransformInputIteratorIb7NonZeroIaEPalEENS0_5tupleIJPlS6_EEENSJ_IJSD_SD_EEES6_SK_JS6_EEE10hipError_tPvRmT3_T4_T5_T6_T7_T9_mT8_P12ihipStream_tbDpT10_ENKUlT_T0_E_clISt17integral_constantIbLb1EES16_EEDaS11_S12_EUlS11_E_NS1_11comp_targetILNS1_3genE9ELNS1_11target_archE1100ELNS1_3gpuE3ELNS1_3repE0EEENS1_30default_config_static_selectorELNS0_4arch9wavefront6targetE0EEEvT1_
    .private_segment_fixed_size: 0
    .sgpr_count:     25
    .sgpr_spill_count: 0
    .symbol:         _ZN7rocprim17ROCPRIM_400000_NS6detail17trampoline_kernelINS0_14default_configENS1_25partition_config_selectorILNS1_17partition_subalgoE5ElNS0_10empty_typeEbEEZZNS1_14partition_implILS5_5ELb0ES3_mN6hipcub16HIPCUB_304000_NS21CountingInputIteratorIllEEPS6_NSA_22TransformInputIteratorIb7NonZeroIaEPalEENS0_5tupleIJPlS6_EEENSJ_IJSD_SD_EEES6_SK_JS6_EEE10hipError_tPvRmT3_T4_T5_T6_T7_T9_mT8_P12ihipStream_tbDpT10_ENKUlT_T0_E_clISt17integral_constantIbLb1EES16_EEDaS11_S12_EUlS11_E_NS1_11comp_targetILNS1_3genE9ELNS1_11target_archE1100ELNS1_3gpuE3ELNS1_3repE0EEENS1_30default_config_static_selectorELNS0_4arch9wavefront6targetE0EEEvT1_.kd
    .uniform_work_group_size: 1
    .uses_dynamic_stack: false
    .vgpr_count:     57
    .vgpr_spill_count: 0
    .wavefront_size: 32
    .workgroup_processor_mode: 1
  - .args:
      - .offset:         0
        .size:           136
        .value_kind:     by_value
    .group_segment_fixed_size: 0
    .kernarg_segment_align: 8
    .kernarg_segment_size: 136
    .language:       OpenCL C
    .language_version:
      - 2
      - 0
    .max_flat_workgroup_size: 512
    .name:           _ZN7rocprim17ROCPRIM_400000_NS6detail17trampoline_kernelINS0_14default_configENS1_25partition_config_selectorILNS1_17partition_subalgoE5ElNS0_10empty_typeEbEEZZNS1_14partition_implILS5_5ELb0ES3_mN6hipcub16HIPCUB_304000_NS21CountingInputIteratorIllEEPS6_NSA_22TransformInputIteratorIb7NonZeroIaEPalEENS0_5tupleIJPlS6_EEENSJ_IJSD_SD_EEES6_SK_JS6_EEE10hipError_tPvRmT3_T4_T5_T6_T7_T9_mT8_P12ihipStream_tbDpT10_ENKUlT_T0_E_clISt17integral_constantIbLb1EES16_EEDaS11_S12_EUlS11_E_NS1_11comp_targetILNS1_3genE8ELNS1_11target_archE1030ELNS1_3gpuE2ELNS1_3repE0EEENS1_30default_config_static_selectorELNS0_4arch9wavefront6targetE0EEEvT1_
    .private_segment_fixed_size: 0
    .sgpr_count:     0
    .sgpr_spill_count: 0
    .symbol:         _ZN7rocprim17ROCPRIM_400000_NS6detail17trampoline_kernelINS0_14default_configENS1_25partition_config_selectorILNS1_17partition_subalgoE5ElNS0_10empty_typeEbEEZZNS1_14partition_implILS5_5ELb0ES3_mN6hipcub16HIPCUB_304000_NS21CountingInputIteratorIllEEPS6_NSA_22TransformInputIteratorIb7NonZeroIaEPalEENS0_5tupleIJPlS6_EEENSJ_IJSD_SD_EEES6_SK_JS6_EEE10hipError_tPvRmT3_T4_T5_T6_T7_T9_mT8_P12ihipStream_tbDpT10_ENKUlT_T0_E_clISt17integral_constantIbLb1EES16_EEDaS11_S12_EUlS11_E_NS1_11comp_targetILNS1_3genE8ELNS1_11target_archE1030ELNS1_3gpuE2ELNS1_3repE0EEENS1_30default_config_static_selectorELNS0_4arch9wavefront6targetE0EEEvT1_.kd
    .uniform_work_group_size: 1
    .uses_dynamic_stack: false
    .vgpr_count:     0
    .vgpr_spill_count: 0
    .wavefront_size: 32
    .workgroup_processor_mode: 1
  - .args:
      - .address_space:  global
        .offset:         0
        .size:           8
        .value_kind:     global_buffer
      - .offset:         8
        .size:           4
        .value_kind:     by_value
      - .offset:         12
        .size:           1
        .value_kind:     by_value
      - .offset:         16
        .size:           4
        .value_kind:     by_value
      - .address_space:  global
        .offset:         24
        .size:           8
        .value_kind:     global_buffer
      - .offset:         32
        .size:           4
        .value_kind:     hidden_block_count_x
      - .offset:         36
        .size:           4
        .value_kind:     hidden_block_count_y
      - .offset:         40
        .size:           4
        .value_kind:     hidden_block_count_z
      - .offset:         44
        .size:           2
        .value_kind:     hidden_group_size_x
      - .offset:         46
        .size:           2
        .value_kind:     hidden_group_size_y
      - .offset:         48
        .size:           2
        .value_kind:     hidden_group_size_z
      - .offset:         50
        .size:           2
        .value_kind:     hidden_remainder_x
      - .offset:         52
        .size:           2
        .value_kind:     hidden_remainder_y
      - .offset:         54
        .size:           2
        .value_kind:     hidden_remainder_z
      - .offset:         72
        .size:           8
        .value_kind:     hidden_global_offset_x
      - .offset:         80
        .size:           8
        .value_kind:     hidden_global_offset_y
      - .offset:         88
        .size:           8
        .value_kind:     hidden_global_offset_z
      - .offset:         96
        .size:           2
        .value_kind:     hidden_grid_dims
    .group_segment_fixed_size: 0
    .kernarg_segment_align: 8
    .kernarg_segment_size: 288
    .language:       OpenCL C
    .language_version:
      - 2
      - 0
    .max_flat_workgroup_size: 256
    .name:           _ZN7rocprim17ROCPRIM_400000_NS6detail31init_lookback_scan_state_kernelINS1_19lookback_scan_stateImLb1ELb1EEENS1_16block_id_wrapperIjLb0EEEEEvT_jT0_jPNS7_10value_typeE
    .private_segment_fixed_size: 0
    .sgpr_count:     18
    .sgpr_spill_count: 0
    .symbol:         _ZN7rocprim17ROCPRIM_400000_NS6detail31init_lookback_scan_state_kernelINS1_19lookback_scan_stateImLb1ELb1EEENS1_16block_id_wrapperIjLb0EEEEEvT_jT0_jPNS7_10value_typeE.kd
    .uniform_work_group_size: 1
    .uses_dynamic_stack: false
    .vgpr_count:     9
    .vgpr_spill_count: 0
    .wavefront_size: 32
    .workgroup_processor_mode: 1
  - .args:
      - .offset:         0
        .size:           120
        .value_kind:     by_value
    .group_segment_fixed_size: 0
    .kernarg_segment_align: 8
    .kernarg_segment_size: 120
    .language:       OpenCL C
    .language_version:
      - 2
      - 0
    .max_flat_workgroup_size: 128
    .name:           _ZN7rocprim17ROCPRIM_400000_NS6detail17trampoline_kernelINS0_14default_configENS1_25partition_config_selectorILNS1_17partition_subalgoE5ElNS0_10empty_typeEbEEZZNS1_14partition_implILS5_5ELb0ES3_mN6hipcub16HIPCUB_304000_NS21CountingInputIteratorIllEEPS6_NSA_22TransformInputIteratorIb7NonZeroIaEPalEENS0_5tupleIJPlS6_EEENSJ_IJSD_SD_EEES6_SK_JS6_EEE10hipError_tPvRmT3_T4_T5_T6_T7_T9_mT8_P12ihipStream_tbDpT10_ENKUlT_T0_E_clISt17integral_constantIbLb1EES15_IbLb0EEEEDaS11_S12_EUlS11_E_NS1_11comp_targetILNS1_3genE0ELNS1_11target_archE4294967295ELNS1_3gpuE0ELNS1_3repE0EEENS1_30default_config_static_selectorELNS0_4arch9wavefront6targetE0EEEvT1_
    .private_segment_fixed_size: 0
    .sgpr_count:     0
    .sgpr_spill_count: 0
    .symbol:         _ZN7rocprim17ROCPRIM_400000_NS6detail17trampoline_kernelINS0_14default_configENS1_25partition_config_selectorILNS1_17partition_subalgoE5ElNS0_10empty_typeEbEEZZNS1_14partition_implILS5_5ELb0ES3_mN6hipcub16HIPCUB_304000_NS21CountingInputIteratorIllEEPS6_NSA_22TransformInputIteratorIb7NonZeroIaEPalEENS0_5tupleIJPlS6_EEENSJ_IJSD_SD_EEES6_SK_JS6_EEE10hipError_tPvRmT3_T4_T5_T6_T7_T9_mT8_P12ihipStream_tbDpT10_ENKUlT_T0_E_clISt17integral_constantIbLb1EES15_IbLb0EEEEDaS11_S12_EUlS11_E_NS1_11comp_targetILNS1_3genE0ELNS1_11target_archE4294967295ELNS1_3gpuE0ELNS1_3repE0EEENS1_30default_config_static_selectorELNS0_4arch9wavefront6targetE0EEEvT1_.kd
    .uniform_work_group_size: 1
    .uses_dynamic_stack: false
    .vgpr_count:     0
    .vgpr_spill_count: 0
    .wavefront_size: 32
    .workgroup_processor_mode: 1
  - .args:
      - .offset:         0
        .size:           120
        .value_kind:     by_value
    .group_segment_fixed_size: 0
    .kernarg_segment_align: 8
    .kernarg_segment_size: 120
    .language:       OpenCL C
    .language_version:
      - 2
      - 0
    .max_flat_workgroup_size: 512
    .name:           _ZN7rocprim17ROCPRIM_400000_NS6detail17trampoline_kernelINS0_14default_configENS1_25partition_config_selectorILNS1_17partition_subalgoE5ElNS0_10empty_typeEbEEZZNS1_14partition_implILS5_5ELb0ES3_mN6hipcub16HIPCUB_304000_NS21CountingInputIteratorIllEEPS6_NSA_22TransformInputIteratorIb7NonZeroIaEPalEENS0_5tupleIJPlS6_EEENSJ_IJSD_SD_EEES6_SK_JS6_EEE10hipError_tPvRmT3_T4_T5_T6_T7_T9_mT8_P12ihipStream_tbDpT10_ENKUlT_T0_E_clISt17integral_constantIbLb1EES15_IbLb0EEEEDaS11_S12_EUlS11_E_NS1_11comp_targetILNS1_3genE5ELNS1_11target_archE942ELNS1_3gpuE9ELNS1_3repE0EEENS1_30default_config_static_selectorELNS0_4arch9wavefront6targetE0EEEvT1_
    .private_segment_fixed_size: 0
    .sgpr_count:     0
    .sgpr_spill_count: 0
    .symbol:         _ZN7rocprim17ROCPRIM_400000_NS6detail17trampoline_kernelINS0_14default_configENS1_25partition_config_selectorILNS1_17partition_subalgoE5ElNS0_10empty_typeEbEEZZNS1_14partition_implILS5_5ELb0ES3_mN6hipcub16HIPCUB_304000_NS21CountingInputIteratorIllEEPS6_NSA_22TransformInputIteratorIb7NonZeroIaEPalEENS0_5tupleIJPlS6_EEENSJ_IJSD_SD_EEES6_SK_JS6_EEE10hipError_tPvRmT3_T4_T5_T6_T7_T9_mT8_P12ihipStream_tbDpT10_ENKUlT_T0_E_clISt17integral_constantIbLb1EES15_IbLb0EEEEDaS11_S12_EUlS11_E_NS1_11comp_targetILNS1_3genE5ELNS1_11target_archE942ELNS1_3gpuE9ELNS1_3repE0EEENS1_30default_config_static_selectorELNS0_4arch9wavefront6targetE0EEEvT1_.kd
    .uniform_work_group_size: 1
    .uses_dynamic_stack: false
    .vgpr_count:     0
    .vgpr_spill_count: 0
    .wavefront_size: 32
    .workgroup_processor_mode: 1
  - .args:
      - .offset:         0
        .size:           120
        .value_kind:     by_value
    .group_segment_fixed_size: 0
    .kernarg_segment_align: 8
    .kernarg_segment_size: 120
    .language:       OpenCL C
    .language_version:
      - 2
      - 0
    .max_flat_workgroup_size: 192
    .name:           _ZN7rocprim17ROCPRIM_400000_NS6detail17trampoline_kernelINS0_14default_configENS1_25partition_config_selectorILNS1_17partition_subalgoE5ElNS0_10empty_typeEbEEZZNS1_14partition_implILS5_5ELb0ES3_mN6hipcub16HIPCUB_304000_NS21CountingInputIteratorIllEEPS6_NSA_22TransformInputIteratorIb7NonZeroIaEPalEENS0_5tupleIJPlS6_EEENSJ_IJSD_SD_EEES6_SK_JS6_EEE10hipError_tPvRmT3_T4_T5_T6_T7_T9_mT8_P12ihipStream_tbDpT10_ENKUlT_T0_E_clISt17integral_constantIbLb1EES15_IbLb0EEEEDaS11_S12_EUlS11_E_NS1_11comp_targetILNS1_3genE4ELNS1_11target_archE910ELNS1_3gpuE8ELNS1_3repE0EEENS1_30default_config_static_selectorELNS0_4arch9wavefront6targetE0EEEvT1_
    .private_segment_fixed_size: 0
    .sgpr_count:     0
    .sgpr_spill_count: 0
    .symbol:         _ZN7rocprim17ROCPRIM_400000_NS6detail17trampoline_kernelINS0_14default_configENS1_25partition_config_selectorILNS1_17partition_subalgoE5ElNS0_10empty_typeEbEEZZNS1_14partition_implILS5_5ELb0ES3_mN6hipcub16HIPCUB_304000_NS21CountingInputIteratorIllEEPS6_NSA_22TransformInputIteratorIb7NonZeroIaEPalEENS0_5tupleIJPlS6_EEENSJ_IJSD_SD_EEES6_SK_JS6_EEE10hipError_tPvRmT3_T4_T5_T6_T7_T9_mT8_P12ihipStream_tbDpT10_ENKUlT_T0_E_clISt17integral_constantIbLb1EES15_IbLb0EEEEDaS11_S12_EUlS11_E_NS1_11comp_targetILNS1_3genE4ELNS1_11target_archE910ELNS1_3gpuE8ELNS1_3repE0EEENS1_30default_config_static_selectorELNS0_4arch9wavefront6targetE0EEEvT1_.kd
    .uniform_work_group_size: 1
    .uses_dynamic_stack: false
    .vgpr_count:     0
    .vgpr_spill_count: 0
    .wavefront_size: 32
    .workgroup_processor_mode: 1
  - .args:
      - .offset:         0
        .size:           120
        .value_kind:     by_value
    .group_segment_fixed_size: 0
    .kernarg_segment_align: 8
    .kernarg_segment_size: 120
    .language:       OpenCL C
    .language_version:
      - 2
      - 0
    .max_flat_workgroup_size: 128
    .name:           _ZN7rocprim17ROCPRIM_400000_NS6detail17trampoline_kernelINS0_14default_configENS1_25partition_config_selectorILNS1_17partition_subalgoE5ElNS0_10empty_typeEbEEZZNS1_14partition_implILS5_5ELb0ES3_mN6hipcub16HIPCUB_304000_NS21CountingInputIteratorIllEEPS6_NSA_22TransformInputIteratorIb7NonZeroIaEPalEENS0_5tupleIJPlS6_EEENSJ_IJSD_SD_EEES6_SK_JS6_EEE10hipError_tPvRmT3_T4_T5_T6_T7_T9_mT8_P12ihipStream_tbDpT10_ENKUlT_T0_E_clISt17integral_constantIbLb1EES15_IbLb0EEEEDaS11_S12_EUlS11_E_NS1_11comp_targetILNS1_3genE3ELNS1_11target_archE908ELNS1_3gpuE7ELNS1_3repE0EEENS1_30default_config_static_selectorELNS0_4arch9wavefront6targetE0EEEvT1_
    .private_segment_fixed_size: 0
    .sgpr_count:     0
    .sgpr_spill_count: 0
    .symbol:         _ZN7rocprim17ROCPRIM_400000_NS6detail17trampoline_kernelINS0_14default_configENS1_25partition_config_selectorILNS1_17partition_subalgoE5ElNS0_10empty_typeEbEEZZNS1_14partition_implILS5_5ELb0ES3_mN6hipcub16HIPCUB_304000_NS21CountingInputIteratorIllEEPS6_NSA_22TransformInputIteratorIb7NonZeroIaEPalEENS0_5tupleIJPlS6_EEENSJ_IJSD_SD_EEES6_SK_JS6_EEE10hipError_tPvRmT3_T4_T5_T6_T7_T9_mT8_P12ihipStream_tbDpT10_ENKUlT_T0_E_clISt17integral_constantIbLb1EES15_IbLb0EEEEDaS11_S12_EUlS11_E_NS1_11comp_targetILNS1_3genE3ELNS1_11target_archE908ELNS1_3gpuE7ELNS1_3repE0EEENS1_30default_config_static_selectorELNS0_4arch9wavefront6targetE0EEEvT1_.kd
    .uniform_work_group_size: 1
    .uses_dynamic_stack: false
    .vgpr_count:     0
    .vgpr_spill_count: 0
    .wavefront_size: 32
    .workgroup_processor_mode: 1
  - .args:
      - .offset:         0
        .size:           120
        .value_kind:     by_value
    .group_segment_fixed_size: 0
    .kernarg_segment_align: 8
    .kernarg_segment_size: 120
    .language:       OpenCL C
    .language_version:
      - 2
      - 0
    .max_flat_workgroup_size: 256
    .name:           _ZN7rocprim17ROCPRIM_400000_NS6detail17trampoline_kernelINS0_14default_configENS1_25partition_config_selectorILNS1_17partition_subalgoE5ElNS0_10empty_typeEbEEZZNS1_14partition_implILS5_5ELb0ES3_mN6hipcub16HIPCUB_304000_NS21CountingInputIteratorIllEEPS6_NSA_22TransformInputIteratorIb7NonZeroIaEPalEENS0_5tupleIJPlS6_EEENSJ_IJSD_SD_EEES6_SK_JS6_EEE10hipError_tPvRmT3_T4_T5_T6_T7_T9_mT8_P12ihipStream_tbDpT10_ENKUlT_T0_E_clISt17integral_constantIbLb1EES15_IbLb0EEEEDaS11_S12_EUlS11_E_NS1_11comp_targetILNS1_3genE2ELNS1_11target_archE906ELNS1_3gpuE6ELNS1_3repE0EEENS1_30default_config_static_selectorELNS0_4arch9wavefront6targetE0EEEvT1_
    .private_segment_fixed_size: 0
    .sgpr_count:     0
    .sgpr_spill_count: 0
    .symbol:         _ZN7rocprim17ROCPRIM_400000_NS6detail17trampoline_kernelINS0_14default_configENS1_25partition_config_selectorILNS1_17partition_subalgoE5ElNS0_10empty_typeEbEEZZNS1_14partition_implILS5_5ELb0ES3_mN6hipcub16HIPCUB_304000_NS21CountingInputIteratorIllEEPS6_NSA_22TransformInputIteratorIb7NonZeroIaEPalEENS0_5tupleIJPlS6_EEENSJ_IJSD_SD_EEES6_SK_JS6_EEE10hipError_tPvRmT3_T4_T5_T6_T7_T9_mT8_P12ihipStream_tbDpT10_ENKUlT_T0_E_clISt17integral_constantIbLb1EES15_IbLb0EEEEDaS11_S12_EUlS11_E_NS1_11comp_targetILNS1_3genE2ELNS1_11target_archE906ELNS1_3gpuE6ELNS1_3repE0EEENS1_30default_config_static_selectorELNS0_4arch9wavefront6targetE0EEEvT1_.kd
    .uniform_work_group_size: 1
    .uses_dynamic_stack: false
    .vgpr_count:     0
    .vgpr_spill_count: 0
    .wavefront_size: 32
    .workgroup_processor_mode: 1
  - .args:
      - .offset:         0
        .size:           120
        .value_kind:     by_value
    .group_segment_fixed_size: 0
    .kernarg_segment_align: 8
    .kernarg_segment_size: 120
    .language:       OpenCL C
    .language_version:
      - 2
      - 0
    .max_flat_workgroup_size: 256
    .name:           _ZN7rocprim17ROCPRIM_400000_NS6detail17trampoline_kernelINS0_14default_configENS1_25partition_config_selectorILNS1_17partition_subalgoE5ElNS0_10empty_typeEbEEZZNS1_14partition_implILS5_5ELb0ES3_mN6hipcub16HIPCUB_304000_NS21CountingInputIteratorIllEEPS6_NSA_22TransformInputIteratorIb7NonZeroIaEPalEENS0_5tupleIJPlS6_EEENSJ_IJSD_SD_EEES6_SK_JS6_EEE10hipError_tPvRmT3_T4_T5_T6_T7_T9_mT8_P12ihipStream_tbDpT10_ENKUlT_T0_E_clISt17integral_constantIbLb1EES15_IbLb0EEEEDaS11_S12_EUlS11_E_NS1_11comp_targetILNS1_3genE10ELNS1_11target_archE1200ELNS1_3gpuE4ELNS1_3repE0EEENS1_30default_config_static_selectorELNS0_4arch9wavefront6targetE0EEEvT1_
    .private_segment_fixed_size: 0
    .sgpr_count:     0
    .sgpr_spill_count: 0
    .symbol:         _ZN7rocprim17ROCPRIM_400000_NS6detail17trampoline_kernelINS0_14default_configENS1_25partition_config_selectorILNS1_17partition_subalgoE5ElNS0_10empty_typeEbEEZZNS1_14partition_implILS5_5ELb0ES3_mN6hipcub16HIPCUB_304000_NS21CountingInputIteratorIllEEPS6_NSA_22TransformInputIteratorIb7NonZeroIaEPalEENS0_5tupleIJPlS6_EEENSJ_IJSD_SD_EEES6_SK_JS6_EEE10hipError_tPvRmT3_T4_T5_T6_T7_T9_mT8_P12ihipStream_tbDpT10_ENKUlT_T0_E_clISt17integral_constantIbLb1EES15_IbLb0EEEEDaS11_S12_EUlS11_E_NS1_11comp_targetILNS1_3genE10ELNS1_11target_archE1200ELNS1_3gpuE4ELNS1_3repE0EEENS1_30default_config_static_selectorELNS0_4arch9wavefront6targetE0EEEvT1_.kd
    .uniform_work_group_size: 1
    .uses_dynamic_stack: false
    .vgpr_count:     0
    .vgpr_spill_count: 0
    .wavefront_size: 32
    .workgroup_processor_mode: 1
  - .args:
      - .offset:         0
        .size:           120
        .value_kind:     by_value
    .group_segment_fixed_size: 6160
    .kernarg_segment_align: 8
    .kernarg_segment_size: 120
    .language:       OpenCL C
    .language_version:
      - 2
      - 0
    .max_flat_workgroup_size: 128
    .name:           _ZN7rocprim17ROCPRIM_400000_NS6detail17trampoline_kernelINS0_14default_configENS1_25partition_config_selectorILNS1_17partition_subalgoE5ElNS0_10empty_typeEbEEZZNS1_14partition_implILS5_5ELb0ES3_mN6hipcub16HIPCUB_304000_NS21CountingInputIteratorIllEEPS6_NSA_22TransformInputIteratorIb7NonZeroIaEPalEENS0_5tupleIJPlS6_EEENSJ_IJSD_SD_EEES6_SK_JS6_EEE10hipError_tPvRmT3_T4_T5_T6_T7_T9_mT8_P12ihipStream_tbDpT10_ENKUlT_T0_E_clISt17integral_constantIbLb1EES15_IbLb0EEEEDaS11_S12_EUlS11_E_NS1_11comp_targetILNS1_3genE9ELNS1_11target_archE1100ELNS1_3gpuE3ELNS1_3repE0EEENS1_30default_config_static_selectorELNS0_4arch9wavefront6targetE0EEEvT1_
    .private_segment_fixed_size: 0
    .sgpr_count:     22
    .sgpr_spill_count: 0
    .symbol:         _ZN7rocprim17ROCPRIM_400000_NS6detail17trampoline_kernelINS0_14default_configENS1_25partition_config_selectorILNS1_17partition_subalgoE5ElNS0_10empty_typeEbEEZZNS1_14partition_implILS5_5ELb0ES3_mN6hipcub16HIPCUB_304000_NS21CountingInputIteratorIllEEPS6_NSA_22TransformInputIteratorIb7NonZeroIaEPalEENS0_5tupleIJPlS6_EEENSJ_IJSD_SD_EEES6_SK_JS6_EEE10hipError_tPvRmT3_T4_T5_T6_T7_T9_mT8_P12ihipStream_tbDpT10_ENKUlT_T0_E_clISt17integral_constantIbLb1EES15_IbLb0EEEEDaS11_S12_EUlS11_E_NS1_11comp_targetILNS1_3genE9ELNS1_11target_archE1100ELNS1_3gpuE3ELNS1_3repE0EEENS1_30default_config_static_selectorELNS0_4arch9wavefront6targetE0EEEvT1_.kd
    .uniform_work_group_size: 1
    .uses_dynamic_stack: false
    .vgpr_count:     57
    .vgpr_spill_count: 0
    .wavefront_size: 32
    .workgroup_processor_mode: 1
  - .args:
      - .offset:         0
        .size:           120
        .value_kind:     by_value
    .group_segment_fixed_size: 0
    .kernarg_segment_align: 8
    .kernarg_segment_size: 120
    .language:       OpenCL C
    .language_version:
      - 2
      - 0
    .max_flat_workgroup_size: 512
    .name:           _ZN7rocprim17ROCPRIM_400000_NS6detail17trampoline_kernelINS0_14default_configENS1_25partition_config_selectorILNS1_17partition_subalgoE5ElNS0_10empty_typeEbEEZZNS1_14partition_implILS5_5ELb0ES3_mN6hipcub16HIPCUB_304000_NS21CountingInputIteratorIllEEPS6_NSA_22TransformInputIteratorIb7NonZeroIaEPalEENS0_5tupleIJPlS6_EEENSJ_IJSD_SD_EEES6_SK_JS6_EEE10hipError_tPvRmT3_T4_T5_T6_T7_T9_mT8_P12ihipStream_tbDpT10_ENKUlT_T0_E_clISt17integral_constantIbLb1EES15_IbLb0EEEEDaS11_S12_EUlS11_E_NS1_11comp_targetILNS1_3genE8ELNS1_11target_archE1030ELNS1_3gpuE2ELNS1_3repE0EEENS1_30default_config_static_selectorELNS0_4arch9wavefront6targetE0EEEvT1_
    .private_segment_fixed_size: 0
    .sgpr_count:     0
    .sgpr_spill_count: 0
    .symbol:         _ZN7rocprim17ROCPRIM_400000_NS6detail17trampoline_kernelINS0_14default_configENS1_25partition_config_selectorILNS1_17partition_subalgoE5ElNS0_10empty_typeEbEEZZNS1_14partition_implILS5_5ELb0ES3_mN6hipcub16HIPCUB_304000_NS21CountingInputIteratorIllEEPS6_NSA_22TransformInputIteratorIb7NonZeroIaEPalEENS0_5tupleIJPlS6_EEENSJ_IJSD_SD_EEES6_SK_JS6_EEE10hipError_tPvRmT3_T4_T5_T6_T7_T9_mT8_P12ihipStream_tbDpT10_ENKUlT_T0_E_clISt17integral_constantIbLb1EES15_IbLb0EEEEDaS11_S12_EUlS11_E_NS1_11comp_targetILNS1_3genE8ELNS1_11target_archE1030ELNS1_3gpuE2ELNS1_3repE0EEENS1_30default_config_static_selectorELNS0_4arch9wavefront6targetE0EEEvT1_.kd
    .uniform_work_group_size: 1
    .uses_dynamic_stack: false
    .vgpr_count:     0
    .vgpr_spill_count: 0
    .wavefront_size: 32
    .workgroup_processor_mode: 1
  - .args:
      - .address_space:  global
        .offset:         0
        .size:           8
        .value_kind:     global_buffer
      - .offset:         8
        .size:           4
        .value_kind:     by_value
      - .address_space:  global
        .offset:         16
        .size:           8
        .value_kind:     global_buffer
      - .offset:         24
        .size:           4
        .value_kind:     by_value
      - .address_space:  global
        .offset:         32
        .size:           8
        .value_kind:     global_buffer
      - .offset:         40
        .size:           4
        .value_kind:     hidden_block_count_x
      - .offset:         44
        .size:           4
        .value_kind:     hidden_block_count_y
      - .offset:         48
        .size:           4
        .value_kind:     hidden_block_count_z
      - .offset:         52
        .size:           2
        .value_kind:     hidden_group_size_x
      - .offset:         54
        .size:           2
        .value_kind:     hidden_group_size_y
      - .offset:         56
        .size:           2
        .value_kind:     hidden_group_size_z
      - .offset:         58
        .size:           2
        .value_kind:     hidden_remainder_x
      - .offset:         60
        .size:           2
        .value_kind:     hidden_remainder_y
      - .offset:         62
        .size:           2
        .value_kind:     hidden_remainder_z
      - .offset:         80
        .size:           8
        .value_kind:     hidden_global_offset_x
      - .offset:         88
        .size:           8
        .value_kind:     hidden_global_offset_y
      - .offset:         96
        .size:           8
        .value_kind:     hidden_global_offset_z
      - .offset:         104
        .size:           2
        .value_kind:     hidden_grid_dims
    .group_segment_fixed_size: 0
    .kernarg_segment_align: 8
    .kernarg_segment_size: 296
    .language:       OpenCL C
    .language_version:
      - 2
      - 0
    .max_flat_workgroup_size: 256
    .name:           _ZN7rocprim17ROCPRIM_400000_NS6detail31init_lookback_scan_state_kernelINS1_19lookback_scan_stateImLb0ELb1EEENS1_16block_id_wrapperIjLb1EEEEEvT_jT0_jPNS7_10value_typeE
    .private_segment_fixed_size: 0
    .sgpr_count:     18
    .sgpr_spill_count: 0
    .symbol:         _ZN7rocprim17ROCPRIM_400000_NS6detail31init_lookback_scan_state_kernelINS1_19lookback_scan_stateImLb0ELb1EEENS1_16block_id_wrapperIjLb1EEEEEvT_jT0_jPNS7_10value_typeE.kd
    .uniform_work_group_size: 1
    .uses_dynamic_stack: false
    .vgpr_count:     9
    .vgpr_spill_count: 0
    .wavefront_size: 32
    .workgroup_processor_mode: 1
  - .args:
      - .offset:         0
        .size:           136
        .value_kind:     by_value
    .group_segment_fixed_size: 0
    .kernarg_segment_align: 8
    .kernarg_segment_size: 136
    .language:       OpenCL C
    .language_version:
      - 2
      - 0
    .max_flat_workgroup_size: 128
    .name:           _ZN7rocprim17ROCPRIM_400000_NS6detail17trampoline_kernelINS0_14default_configENS1_25partition_config_selectorILNS1_17partition_subalgoE5ElNS0_10empty_typeEbEEZZNS1_14partition_implILS5_5ELb0ES3_mN6hipcub16HIPCUB_304000_NS21CountingInputIteratorIllEEPS6_NSA_22TransformInputIteratorIb7NonZeroIaEPalEENS0_5tupleIJPlS6_EEENSJ_IJSD_SD_EEES6_SK_JS6_EEE10hipError_tPvRmT3_T4_T5_T6_T7_T9_mT8_P12ihipStream_tbDpT10_ENKUlT_T0_E_clISt17integral_constantIbLb0EES15_IbLb1EEEEDaS11_S12_EUlS11_E_NS1_11comp_targetILNS1_3genE0ELNS1_11target_archE4294967295ELNS1_3gpuE0ELNS1_3repE0EEENS1_30default_config_static_selectorELNS0_4arch9wavefront6targetE0EEEvT1_
    .private_segment_fixed_size: 0
    .sgpr_count:     0
    .sgpr_spill_count: 0
    .symbol:         _ZN7rocprim17ROCPRIM_400000_NS6detail17trampoline_kernelINS0_14default_configENS1_25partition_config_selectorILNS1_17partition_subalgoE5ElNS0_10empty_typeEbEEZZNS1_14partition_implILS5_5ELb0ES3_mN6hipcub16HIPCUB_304000_NS21CountingInputIteratorIllEEPS6_NSA_22TransformInputIteratorIb7NonZeroIaEPalEENS0_5tupleIJPlS6_EEENSJ_IJSD_SD_EEES6_SK_JS6_EEE10hipError_tPvRmT3_T4_T5_T6_T7_T9_mT8_P12ihipStream_tbDpT10_ENKUlT_T0_E_clISt17integral_constantIbLb0EES15_IbLb1EEEEDaS11_S12_EUlS11_E_NS1_11comp_targetILNS1_3genE0ELNS1_11target_archE4294967295ELNS1_3gpuE0ELNS1_3repE0EEENS1_30default_config_static_selectorELNS0_4arch9wavefront6targetE0EEEvT1_.kd
    .uniform_work_group_size: 1
    .uses_dynamic_stack: false
    .vgpr_count:     0
    .vgpr_spill_count: 0
    .wavefront_size: 32
    .workgroup_processor_mode: 1
  - .args:
      - .offset:         0
        .size:           136
        .value_kind:     by_value
    .group_segment_fixed_size: 0
    .kernarg_segment_align: 8
    .kernarg_segment_size: 136
    .language:       OpenCL C
    .language_version:
      - 2
      - 0
    .max_flat_workgroup_size: 512
    .name:           _ZN7rocprim17ROCPRIM_400000_NS6detail17trampoline_kernelINS0_14default_configENS1_25partition_config_selectorILNS1_17partition_subalgoE5ElNS0_10empty_typeEbEEZZNS1_14partition_implILS5_5ELb0ES3_mN6hipcub16HIPCUB_304000_NS21CountingInputIteratorIllEEPS6_NSA_22TransformInputIteratorIb7NonZeroIaEPalEENS0_5tupleIJPlS6_EEENSJ_IJSD_SD_EEES6_SK_JS6_EEE10hipError_tPvRmT3_T4_T5_T6_T7_T9_mT8_P12ihipStream_tbDpT10_ENKUlT_T0_E_clISt17integral_constantIbLb0EES15_IbLb1EEEEDaS11_S12_EUlS11_E_NS1_11comp_targetILNS1_3genE5ELNS1_11target_archE942ELNS1_3gpuE9ELNS1_3repE0EEENS1_30default_config_static_selectorELNS0_4arch9wavefront6targetE0EEEvT1_
    .private_segment_fixed_size: 0
    .sgpr_count:     0
    .sgpr_spill_count: 0
    .symbol:         _ZN7rocprim17ROCPRIM_400000_NS6detail17trampoline_kernelINS0_14default_configENS1_25partition_config_selectorILNS1_17partition_subalgoE5ElNS0_10empty_typeEbEEZZNS1_14partition_implILS5_5ELb0ES3_mN6hipcub16HIPCUB_304000_NS21CountingInputIteratorIllEEPS6_NSA_22TransformInputIteratorIb7NonZeroIaEPalEENS0_5tupleIJPlS6_EEENSJ_IJSD_SD_EEES6_SK_JS6_EEE10hipError_tPvRmT3_T4_T5_T6_T7_T9_mT8_P12ihipStream_tbDpT10_ENKUlT_T0_E_clISt17integral_constantIbLb0EES15_IbLb1EEEEDaS11_S12_EUlS11_E_NS1_11comp_targetILNS1_3genE5ELNS1_11target_archE942ELNS1_3gpuE9ELNS1_3repE0EEENS1_30default_config_static_selectorELNS0_4arch9wavefront6targetE0EEEvT1_.kd
    .uniform_work_group_size: 1
    .uses_dynamic_stack: false
    .vgpr_count:     0
    .vgpr_spill_count: 0
    .wavefront_size: 32
    .workgroup_processor_mode: 1
  - .args:
      - .offset:         0
        .size:           136
        .value_kind:     by_value
    .group_segment_fixed_size: 0
    .kernarg_segment_align: 8
    .kernarg_segment_size: 136
    .language:       OpenCL C
    .language_version:
      - 2
      - 0
    .max_flat_workgroup_size: 192
    .name:           _ZN7rocprim17ROCPRIM_400000_NS6detail17trampoline_kernelINS0_14default_configENS1_25partition_config_selectorILNS1_17partition_subalgoE5ElNS0_10empty_typeEbEEZZNS1_14partition_implILS5_5ELb0ES3_mN6hipcub16HIPCUB_304000_NS21CountingInputIteratorIllEEPS6_NSA_22TransformInputIteratorIb7NonZeroIaEPalEENS0_5tupleIJPlS6_EEENSJ_IJSD_SD_EEES6_SK_JS6_EEE10hipError_tPvRmT3_T4_T5_T6_T7_T9_mT8_P12ihipStream_tbDpT10_ENKUlT_T0_E_clISt17integral_constantIbLb0EES15_IbLb1EEEEDaS11_S12_EUlS11_E_NS1_11comp_targetILNS1_3genE4ELNS1_11target_archE910ELNS1_3gpuE8ELNS1_3repE0EEENS1_30default_config_static_selectorELNS0_4arch9wavefront6targetE0EEEvT1_
    .private_segment_fixed_size: 0
    .sgpr_count:     0
    .sgpr_spill_count: 0
    .symbol:         _ZN7rocprim17ROCPRIM_400000_NS6detail17trampoline_kernelINS0_14default_configENS1_25partition_config_selectorILNS1_17partition_subalgoE5ElNS0_10empty_typeEbEEZZNS1_14partition_implILS5_5ELb0ES3_mN6hipcub16HIPCUB_304000_NS21CountingInputIteratorIllEEPS6_NSA_22TransformInputIteratorIb7NonZeroIaEPalEENS0_5tupleIJPlS6_EEENSJ_IJSD_SD_EEES6_SK_JS6_EEE10hipError_tPvRmT3_T4_T5_T6_T7_T9_mT8_P12ihipStream_tbDpT10_ENKUlT_T0_E_clISt17integral_constantIbLb0EES15_IbLb1EEEEDaS11_S12_EUlS11_E_NS1_11comp_targetILNS1_3genE4ELNS1_11target_archE910ELNS1_3gpuE8ELNS1_3repE0EEENS1_30default_config_static_selectorELNS0_4arch9wavefront6targetE0EEEvT1_.kd
    .uniform_work_group_size: 1
    .uses_dynamic_stack: false
    .vgpr_count:     0
    .vgpr_spill_count: 0
    .wavefront_size: 32
    .workgroup_processor_mode: 1
  - .args:
      - .offset:         0
        .size:           136
        .value_kind:     by_value
    .group_segment_fixed_size: 0
    .kernarg_segment_align: 8
    .kernarg_segment_size: 136
    .language:       OpenCL C
    .language_version:
      - 2
      - 0
    .max_flat_workgroup_size: 128
    .name:           _ZN7rocprim17ROCPRIM_400000_NS6detail17trampoline_kernelINS0_14default_configENS1_25partition_config_selectorILNS1_17partition_subalgoE5ElNS0_10empty_typeEbEEZZNS1_14partition_implILS5_5ELb0ES3_mN6hipcub16HIPCUB_304000_NS21CountingInputIteratorIllEEPS6_NSA_22TransformInputIteratorIb7NonZeroIaEPalEENS0_5tupleIJPlS6_EEENSJ_IJSD_SD_EEES6_SK_JS6_EEE10hipError_tPvRmT3_T4_T5_T6_T7_T9_mT8_P12ihipStream_tbDpT10_ENKUlT_T0_E_clISt17integral_constantIbLb0EES15_IbLb1EEEEDaS11_S12_EUlS11_E_NS1_11comp_targetILNS1_3genE3ELNS1_11target_archE908ELNS1_3gpuE7ELNS1_3repE0EEENS1_30default_config_static_selectorELNS0_4arch9wavefront6targetE0EEEvT1_
    .private_segment_fixed_size: 0
    .sgpr_count:     0
    .sgpr_spill_count: 0
    .symbol:         _ZN7rocprim17ROCPRIM_400000_NS6detail17trampoline_kernelINS0_14default_configENS1_25partition_config_selectorILNS1_17partition_subalgoE5ElNS0_10empty_typeEbEEZZNS1_14partition_implILS5_5ELb0ES3_mN6hipcub16HIPCUB_304000_NS21CountingInputIteratorIllEEPS6_NSA_22TransformInputIteratorIb7NonZeroIaEPalEENS0_5tupleIJPlS6_EEENSJ_IJSD_SD_EEES6_SK_JS6_EEE10hipError_tPvRmT3_T4_T5_T6_T7_T9_mT8_P12ihipStream_tbDpT10_ENKUlT_T0_E_clISt17integral_constantIbLb0EES15_IbLb1EEEEDaS11_S12_EUlS11_E_NS1_11comp_targetILNS1_3genE3ELNS1_11target_archE908ELNS1_3gpuE7ELNS1_3repE0EEENS1_30default_config_static_selectorELNS0_4arch9wavefront6targetE0EEEvT1_.kd
    .uniform_work_group_size: 1
    .uses_dynamic_stack: false
    .vgpr_count:     0
    .vgpr_spill_count: 0
    .wavefront_size: 32
    .workgroup_processor_mode: 1
  - .args:
      - .offset:         0
        .size:           136
        .value_kind:     by_value
    .group_segment_fixed_size: 0
    .kernarg_segment_align: 8
    .kernarg_segment_size: 136
    .language:       OpenCL C
    .language_version:
      - 2
      - 0
    .max_flat_workgroup_size: 256
    .name:           _ZN7rocprim17ROCPRIM_400000_NS6detail17trampoline_kernelINS0_14default_configENS1_25partition_config_selectorILNS1_17partition_subalgoE5ElNS0_10empty_typeEbEEZZNS1_14partition_implILS5_5ELb0ES3_mN6hipcub16HIPCUB_304000_NS21CountingInputIteratorIllEEPS6_NSA_22TransformInputIteratorIb7NonZeroIaEPalEENS0_5tupleIJPlS6_EEENSJ_IJSD_SD_EEES6_SK_JS6_EEE10hipError_tPvRmT3_T4_T5_T6_T7_T9_mT8_P12ihipStream_tbDpT10_ENKUlT_T0_E_clISt17integral_constantIbLb0EES15_IbLb1EEEEDaS11_S12_EUlS11_E_NS1_11comp_targetILNS1_3genE2ELNS1_11target_archE906ELNS1_3gpuE6ELNS1_3repE0EEENS1_30default_config_static_selectorELNS0_4arch9wavefront6targetE0EEEvT1_
    .private_segment_fixed_size: 0
    .sgpr_count:     0
    .sgpr_spill_count: 0
    .symbol:         _ZN7rocprim17ROCPRIM_400000_NS6detail17trampoline_kernelINS0_14default_configENS1_25partition_config_selectorILNS1_17partition_subalgoE5ElNS0_10empty_typeEbEEZZNS1_14partition_implILS5_5ELb0ES3_mN6hipcub16HIPCUB_304000_NS21CountingInputIteratorIllEEPS6_NSA_22TransformInputIteratorIb7NonZeroIaEPalEENS0_5tupleIJPlS6_EEENSJ_IJSD_SD_EEES6_SK_JS6_EEE10hipError_tPvRmT3_T4_T5_T6_T7_T9_mT8_P12ihipStream_tbDpT10_ENKUlT_T0_E_clISt17integral_constantIbLb0EES15_IbLb1EEEEDaS11_S12_EUlS11_E_NS1_11comp_targetILNS1_3genE2ELNS1_11target_archE906ELNS1_3gpuE6ELNS1_3repE0EEENS1_30default_config_static_selectorELNS0_4arch9wavefront6targetE0EEEvT1_.kd
    .uniform_work_group_size: 1
    .uses_dynamic_stack: false
    .vgpr_count:     0
    .vgpr_spill_count: 0
    .wavefront_size: 32
    .workgroup_processor_mode: 1
  - .args:
      - .offset:         0
        .size:           136
        .value_kind:     by_value
    .group_segment_fixed_size: 0
    .kernarg_segment_align: 8
    .kernarg_segment_size: 136
    .language:       OpenCL C
    .language_version:
      - 2
      - 0
    .max_flat_workgroup_size: 256
    .name:           _ZN7rocprim17ROCPRIM_400000_NS6detail17trampoline_kernelINS0_14default_configENS1_25partition_config_selectorILNS1_17partition_subalgoE5ElNS0_10empty_typeEbEEZZNS1_14partition_implILS5_5ELb0ES3_mN6hipcub16HIPCUB_304000_NS21CountingInputIteratorIllEEPS6_NSA_22TransformInputIteratorIb7NonZeroIaEPalEENS0_5tupleIJPlS6_EEENSJ_IJSD_SD_EEES6_SK_JS6_EEE10hipError_tPvRmT3_T4_T5_T6_T7_T9_mT8_P12ihipStream_tbDpT10_ENKUlT_T0_E_clISt17integral_constantIbLb0EES15_IbLb1EEEEDaS11_S12_EUlS11_E_NS1_11comp_targetILNS1_3genE10ELNS1_11target_archE1200ELNS1_3gpuE4ELNS1_3repE0EEENS1_30default_config_static_selectorELNS0_4arch9wavefront6targetE0EEEvT1_
    .private_segment_fixed_size: 0
    .sgpr_count:     0
    .sgpr_spill_count: 0
    .symbol:         _ZN7rocprim17ROCPRIM_400000_NS6detail17trampoline_kernelINS0_14default_configENS1_25partition_config_selectorILNS1_17partition_subalgoE5ElNS0_10empty_typeEbEEZZNS1_14partition_implILS5_5ELb0ES3_mN6hipcub16HIPCUB_304000_NS21CountingInputIteratorIllEEPS6_NSA_22TransformInputIteratorIb7NonZeroIaEPalEENS0_5tupleIJPlS6_EEENSJ_IJSD_SD_EEES6_SK_JS6_EEE10hipError_tPvRmT3_T4_T5_T6_T7_T9_mT8_P12ihipStream_tbDpT10_ENKUlT_T0_E_clISt17integral_constantIbLb0EES15_IbLb1EEEEDaS11_S12_EUlS11_E_NS1_11comp_targetILNS1_3genE10ELNS1_11target_archE1200ELNS1_3gpuE4ELNS1_3repE0EEENS1_30default_config_static_selectorELNS0_4arch9wavefront6targetE0EEEvT1_.kd
    .uniform_work_group_size: 1
    .uses_dynamic_stack: false
    .vgpr_count:     0
    .vgpr_spill_count: 0
    .wavefront_size: 32
    .workgroup_processor_mode: 1
  - .args:
      - .offset:         0
        .size:           136
        .value_kind:     by_value
    .group_segment_fixed_size: 6160
    .kernarg_segment_align: 8
    .kernarg_segment_size: 136
    .language:       OpenCL C
    .language_version:
      - 2
      - 0
    .max_flat_workgroup_size: 128
    .name:           _ZN7rocprim17ROCPRIM_400000_NS6detail17trampoline_kernelINS0_14default_configENS1_25partition_config_selectorILNS1_17partition_subalgoE5ElNS0_10empty_typeEbEEZZNS1_14partition_implILS5_5ELb0ES3_mN6hipcub16HIPCUB_304000_NS21CountingInputIteratorIllEEPS6_NSA_22TransformInputIteratorIb7NonZeroIaEPalEENS0_5tupleIJPlS6_EEENSJ_IJSD_SD_EEES6_SK_JS6_EEE10hipError_tPvRmT3_T4_T5_T6_T7_T9_mT8_P12ihipStream_tbDpT10_ENKUlT_T0_E_clISt17integral_constantIbLb0EES15_IbLb1EEEEDaS11_S12_EUlS11_E_NS1_11comp_targetILNS1_3genE9ELNS1_11target_archE1100ELNS1_3gpuE3ELNS1_3repE0EEENS1_30default_config_static_selectorELNS0_4arch9wavefront6targetE0EEEvT1_
    .private_segment_fixed_size: 0
    .sgpr_count:     25
    .sgpr_spill_count: 0
    .symbol:         _ZN7rocprim17ROCPRIM_400000_NS6detail17trampoline_kernelINS0_14default_configENS1_25partition_config_selectorILNS1_17partition_subalgoE5ElNS0_10empty_typeEbEEZZNS1_14partition_implILS5_5ELb0ES3_mN6hipcub16HIPCUB_304000_NS21CountingInputIteratorIllEEPS6_NSA_22TransformInputIteratorIb7NonZeroIaEPalEENS0_5tupleIJPlS6_EEENSJ_IJSD_SD_EEES6_SK_JS6_EEE10hipError_tPvRmT3_T4_T5_T6_T7_T9_mT8_P12ihipStream_tbDpT10_ENKUlT_T0_E_clISt17integral_constantIbLb0EES15_IbLb1EEEEDaS11_S12_EUlS11_E_NS1_11comp_targetILNS1_3genE9ELNS1_11target_archE1100ELNS1_3gpuE3ELNS1_3repE0EEENS1_30default_config_static_selectorELNS0_4arch9wavefront6targetE0EEEvT1_.kd
    .uniform_work_group_size: 1
    .uses_dynamic_stack: false
    .vgpr_count:     57
    .vgpr_spill_count: 0
    .wavefront_size: 32
    .workgroup_processor_mode: 1
  - .args:
      - .offset:         0
        .size:           136
        .value_kind:     by_value
    .group_segment_fixed_size: 0
    .kernarg_segment_align: 8
    .kernarg_segment_size: 136
    .language:       OpenCL C
    .language_version:
      - 2
      - 0
    .max_flat_workgroup_size: 512
    .name:           _ZN7rocprim17ROCPRIM_400000_NS6detail17trampoline_kernelINS0_14default_configENS1_25partition_config_selectorILNS1_17partition_subalgoE5ElNS0_10empty_typeEbEEZZNS1_14partition_implILS5_5ELb0ES3_mN6hipcub16HIPCUB_304000_NS21CountingInputIteratorIllEEPS6_NSA_22TransformInputIteratorIb7NonZeroIaEPalEENS0_5tupleIJPlS6_EEENSJ_IJSD_SD_EEES6_SK_JS6_EEE10hipError_tPvRmT3_T4_T5_T6_T7_T9_mT8_P12ihipStream_tbDpT10_ENKUlT_T0_E_clISt17integral_constantIbLb0EES15_IbLb1EEEEDaS11_S12_EUlS11_E_NS1_11comp_targetILNS1_3genE8ELNS1_11target_archE1030ELNS1_3gpuE2ELNS1_3repE0EEENS1_30default_config_static_selectorELNS0_4arch9wavefront6targetE0EEEvT1_
    .private_segment_fixed_size: 0
    .sgpr_count:     0
    .sgpr_spill_count: 0
    .symbol:         _ZN7rocprim17ROCPRIM_400000_NS6detail17trampoline_kernelINS0_14default_configENS1_25partition_config_selectorILNS1_17partition_subalgoE5ElNS0_10empty_typeEbEEZZNS1_14partition_implILS5_5ELb0ES3_mN6hipcub16HIPCUB_304000_NS21CountingInputIteratorIllEEPS6_NSA_22TransformInputIteratorIb7NonZeroIaEPalEENS0_5tupleIJPlS6_EEENSJ_IJSD_SD_EEES6_SK_JS6_EEE10hipError_tPvRmT3_T4_T5_T6_T7_T9_mT8_P12ihipStream_tbDpT10_ENKUlT_T0_E_clISt17integral_constantIbLb0EES15_IbLb1EEEEDaS11_S12_EUlS11_E_NS1_11comp_targetILNS1_3genE8ELNS1_11target_archE1030ELNS1_3gpuE2ELNS1_3repE0EEENS1_30default_config_static_selectorELNS0_4arch9wavefront6targetE0EEEvT1_.kd
    .uniform_work_group_size: 1
    .uses_dynamic_stack: false
    .vgpr_count:     0
    .vgpr_spill_count: 0
    .wavefront_size: 32
    .workgroup_processor_mode: 1
  - .args:
      - .address_space:  global
        .offset:         0
        .size:           8
        .value_kind:     global_buffer
      - .offset:         8
        .size:           16
        .value_kind:     by_value
      - .offset:         24
        .size:           4
        .value_kind:     by_value
      - .offset:         32
        .size:           8
        .value_kind:     by_value
      - .offset:         40
        .size:           4
        .value_kind:     hidden_block_count_x
      - .offset:         44
        .size:           4
        .value_kind:     hidden_block_count_y
      - .offset:         48
        .size:           4
        .value_kind:     hidden_block_count_z
      - .offset:         52
        .size:           2
        .value_kind:     hidden_group_size_x
      - .offset:         54
        .size:           2
        .value_kind:     hidden_group_size_y
      - .offset:         56
        .size:           2
        .value_kind:     hidden_group_size_z
      - .offset:         58
        .size:           2
        .value_kind:     hidden_remainder_x
      - .offset:         60
        .size:           2
        .value_kind:     hidden_remainder_y
      - .offset:         62
        .size:           2
        .value_kind:     hidden_remainder_z
      - .offset:         80
        .size:           8
        .value_kind:     hidden_global_offset_x
      - .offset:         88
        .size:           8
        .value_kind:     hidden_global_offset_y
      - .offset:         96
        .size:           8
        .value_kind:     hidden_global_offset_z
      - .offset:         104
        .size:           2
        .value_kind:     hidden_grid_dims
    .group_segment_fixed_size: 0
    .kernarg_segment_align: 8
    .kernarg_segment_size: 296
    .language:       OpenCL C
    .language_version:
      - 2
      - 0
    .max_flat_workgroup_size: 1024
    .name:           _Z13write_indicesIlEvPl10TensorDimsIT_EiS2_
    .private_segment_fixed_size: 0
    .sgpr_count:     18
    .sgpr_spill_count: 0
    .symbol:         _Z13write_indicesIlEvPl10TensorDimsIT_EiS2_.kd
    .uniform_work_group_size: 1
    .uses_dynamic_stack: false
    .vgpr_count:     16
    .vgpr_spill_count: 0
    .wavefront_size: 32
    .workgroup_processor_mode: 1
  - .args:
      - .offset:         0
        .size:           64
        .value_kind:     by_value
    .group_segment_fixed_size: 0
    .kernarg_segment_align: 8
    .kernarg_segment_size: 64
    .language:       OpenCL C
    .language_version:
      - 2
      - 0
    .max_flat_workgroup_size: 256
    .name:           _ZN7rocprim17ROCPRIM_400000_NS6detail17trampoline_kernelINS0_14default_configENS1_22reduce_config_selectorIlEEZNS1_11reduce_implILb1ES3_PlS7_lN6hipcub16HIPCUB_304000_NS6detail34convert_binary_result_type_wrapperINS9_3SumENS9_22TransformInputIteratorIb7NonZeroIsEPslEElEEEE10hipError_tPvRmT1_T2_T3_mT4_P12ihipStream_tbEUlT_E0_NS1_11comp_targetILNS1_3genE0ELNS1_11target_archE4294967295ELNS1_3gpuE0ELNS1_3repE0EEENS1_30default_config_static_selectorELNS0_4arch9wavefront6targetE0EEEvSM_
    .private_segment_fixed_size: 0
    .sgpr_count:     0
    .sgpr_spill_count: 0
    .symbol:         _ZN7rocprim17ROCPRIM_400000_NS6detail17trampoline_kernelINS0_14default_configENS1_22reduce_config_selectorIlEEZNS1_11reduce_implILb1ES3_PlS7_lN6hipcub16HIPCUB_304000_NS6detail34convert_binary_result_type_wrapperINS9_3SumENS9_22TransformInputIteratorIb7NonZeroIsEPslEElEEEE10hipError_tPvRmT1_T2_T3_mT4_P12ihipStream_tbEUlT_E0_NS1_11comp_targetILNS1_3genE0ELNS1_11target_archE4294967295ELNS1_3gpuE0ELNS1_3repE0EEENS1_30default_config_static_selectorELNS0_4arch9wavefront6targetE0EEEvSM_.kd
    .uniform_work_group_size: 1
    .uses_dynamic_stack: false
    .vgpr_count:     0
    .vgpr_spill_count: 0
    .wavefront_size: 32
    .workgroup_processor_mode: 1
  - .args:
      - .offset:         0
        .size:           64
        .value_kind:     by_value
    .group_segment_fixed_size: 0
    .kernarg_segment_align: 8
    .kernarg_segment_size: 64
    .language:       OpenCL C
    .language_version:
      - 2
      - 0
    .max_flat_workgroup_size: 256
    .name:           _ZN7rocprim17ROCPRIM_400000_NS6detail17trampoline_kernelINS0_14default_configENS1_22reduce_config_selectorIlEEZNS1_11reduce_implILb1ES3_PlS7_lN6hipcub16HIPCUB_304000_NS6detail34convert_binary_result_type_wrapperINS9_3SumENS9_22TransformInputIteratorIb7NonZeroIsEPslEElEEEE10hipError_tPvRmT1_T2_T3_mT4_P12ihipStream_tbEUlT_E0_NS1_11comp_targetILNS1_3genE5ELNS1_11target_archE942ELNS1_3gpuE9ELNS1_3repE0EEENS1_30default_config_static_selectorELNS0_4arch9wavefront6targetE0EEEvSM_
    .private_segment_fixed_size: 0
    .sgpr_count:     0
    .sgpr_spill_count: 0
    .symbol:         _ZN7rocprim17ROCPRIM_400000_NS6detail17trampoline_kernelINS0_14default_configENS1_22reduce_config_selectorIlEEZNS1_11reduce_implILb1ES3_PlS7_lN6hipcub16HIPCUB_304000_NS6detail34convert_binary_result_type_wrapperINS9_3SumENS9_22TransformInputIteratorIb7NonZeroIsEPslEElEEEE10hipError_tPvRmT1_T2_T3_mT4_P12ihipStream_tbEUlT_E0_NS1_11comp_targetILNS1_3genE5ELNS1_11target_archE942ELNS1_3gpuE9ELNS1_3repE0EEENS1_30default_config_static_selectorELNS0_4arch9wavefront6targetE0EEEvSM_.kd
    .uniform_work_group_size: 1
    .uses_dynamic_stack: false
    .vgpr_count:     0
    .vgpr_spill_count: 0
    .wavefront_size: 32
    .workgroup_processor_mode: 1
  - .args:
      - .offset:         0
        .size:           64
        .value_kind:     by_value
    .group_segment_fixed_size: 0
    .kernarg_segment_align: 8
    .kernarg_segment_size: 64
    .language:       OpenCL C
    .language_version:
      - 2
      - 0
    .max_flat_workgroup_size: 256
    .name:           _ZN7rocprim17ROCPRIM_400000_NS6detail17trampoline_kernelINS0_14default_configENS1_22reduce_config_selectorIlEEZNS1_11reduce_implILb1ES3_PlS7_lN6hipcub16HIPCUB_304000_NS6detail34convert_binary_result_type_wrapperINS9_3SumENS9_22TransformInputIteratorIb7NonZeroIsEPslEElEEEE10hipError_tPvRmT1_T2_T3_mT4_P12ihipStream_tbEUlT_E0_NS1_11comp_targetILNS1_3genE4ELNS1_11target_archE910ELNS1_3gpuE8ELNS1_3repE0EEENS1_30default_config_static_selectorELNS0_4arch9wavefront6targetE0EEEvSM_
    .private_segment_fixed_size: 0
    .sgpr_count:     0
    .sgpr_spill_count: 0
    .symbol:         _ZN7rocprim17ROCPRIM_400000_NS6detail17trampoline_kernelINS0_14default_configENS1_22reduce_config_selectorIlEEZNS1_11reduce_implILb1ES3_PlS7_lN6hipcub16HIPCUB_304000_NS6detail34convert_binary_result_type_wrapperINS9_3SumENS9_22TransformInputIteratorIb7NonZeroIsEPslEElEEEE10hipError_tPvRmT1_T2_T3_mT4_P12ihipStream_tbEUlT_E0_NS1_11comp_targetILNS1_3genE4ELNS1_11target_archE910ELNS1_3gpuE8ELNS1_3repE0EEENS1_30default_config_static_selectorELNS0_4arch9wavefront6targetE0EEEvSM_.kd
    .uniform_work_group_size: 1
    .uses_dynamic_stack: false
    .vgpr_count:     0
    .vgpr_spill_count: 0
    .wavefront_size: 32
    .workgroup_processor_mode: 1
  - .args:
      - .offset:         0
        .size:           64
        .value_kind:     by_value
    .group_segment_fixed_size: 0
    .kernarg_segment_align: 8
    .kernarg_segment_size: 64
    .language:       OpenCL C
    .language_version:
      - 2
      - 0
    .max_flat_workgroup_size: 256
    .name:           _ZN7rocprim17ROCPRIM_400000_NS6detail17trampoline_kernelINS0_14default_configENS1_22reduce_config_selectorIlEEZNS1_11reduce_implILb1ES3_PlS7_lN6hipcub16HIPCUB_304000_NS6detail34convert_binary_result_type_wrapperINS9_3SumENS9_22TransformInputIteratorIb7NonZeroIsEPslEElEEEE10hipError_tPvRmT1_T2_T3_mT4_P12ihipStream_tbEUlT_E0_NS1_11comp_targetILNS1_3genE3ELNS1_11target_archE908ELNS1_3gpuE7ELNS1_3repE0EEENS1_30default_config_static_selectorELNS0_4arch9wavefront6targetE0EEEvSM_
    .private_segment_fixed_size: 0
    .sgpr_count:     0
    .sgpr_spill_count: 0
    .symbol:         _ZN7rocprim17ROCPRIM_400000_NS6detail17trampoline_kernelINS0_14default_configENS1_22reduce_config_selectorIlEEZNS1_11reduce_implILb1ES3_PlS7_lN6hipcub16HIPCUB_304000_NS6detail34convert_binary_result_type_wrapperINS9_3SumENS9_22TransformInputIteratorIb7NonZeroIsEPslEElEEEE10hipError_tPvRmT1_T2_T3_mT4_P12ihipStream_tbEUlT_E0_NS1_11comp_targetILNS1_3genE3ELNS1_11target_archE908ELNS1_3gpuE7ELNS1_3repE0EEENS1_30default_config_static_selectorELNS0_4arch9wavefront6targetE0EEEvSM_.kd
    .uniform_work_group_size: 1
    .uses_dynamic_stack: false
    .vgpr_count:     0
    .vgpr_spill_count: 0
    .wavefront_size: 32
    .workgroup_processor_mode: 1
  - .args:
      - .offset:         0
        .size:           64
        .value_kind:     by_value
    .group_segment_fixed_size: 0
    .kernarg_segment_align: 8
    .kernarg_segment_size: 64
    .language:       OpenCL C
    .language_version:
      - 2
      - 0
    .max_flat_workgroup_size: 256
    .name:           _ZN7rocprim17ROCPRIM_400000_NS6detail17trampoline_kernelINS0_14default_configENS1_22reduce_config_selectorIlEEZNS1_11reduce_implILb1ES3_PlS7_lN6hipcub16HIPCUB_304000_NS6detail34convert_binary_result_type_wrapperINS9_3SumENS9_22TransformInputIteratorIb7NonZeroIsEPslEElEEEE10hipError_tPvRmT1_T2_T3_mT4_P12ihipStream_tbEUlT_E0_NS1_11comp_targetILNS1_3genE2ELNS1_11target_archE906ELNS1_3gpuE6ELNS1_3repE0EEENS1_30default_config_static_selectorELNS0_4arch9wavefront6targetE0EEEvSM_
    .private_segment_fixed_size: 0
    .sgpr_count:     0
    .sgpr_spill_count: 0
    .symbol:         _ZN7rocprim17ROCPRIM_400000_NS6detail17trampoline_kernelINS0_14default_configENS1_22reduce_config_selectorIlEEZNS1_11reduce_implILb1ES3_PlS7_lN6hipcub16HIPCUB_304000_NS6detail34convert_binary_result_type_wrapperINS9_3SumENS9_22TransformInputIteratorIb7NonZeroIsEPslEElEEEE10hipError_tPvRmT1_T2_T3_mT4_P12ihipStream_tbEUlT_E0_NS1_11comp_targetILNS1_3genE2ELNS1_11target_archE906ELNS1_3gpuE6ELNS1_3repE0EEENS1_30default_config_static_selectorELNS0_4arch9wavefront6targetE0EEEvSM_.kd
    .uniform_work_group_size: 1
    .uses_dynamic_stack: false
    .vgpr_count:     0
    .vgpr_spill_count: 0
    .wavefront_size: 32
    .workgroup_processor_mode: 1
  - .args:
      - .offset:         0
        .size:           64
        .value_kind:     by_value
    .group_segment_fixed_size: 0
    .kernarg_segment_align: 8
    .kernarg_segment_size: 64
    .language:       OpenCL C
    .language_version:
      - 2
      - 0
    .max_flat_workgroup_size: 256
    .name:           _ZN7rocprim17ROCPRIM_400000_NS6detail17trampoline_kernelINS0_14default_configENS1_22reduce_config_selectorIlEEZNS1_11reduce_implILb1ES3_PlS7_lN6hipcub16HIPCUB_304000_NS6detail34convert_binary_result_type_wrapperINS9_3SumENS9_22TransformInputIteratorIb7NonZeroIsEPslEElEEEE10hipError_tPvRmT1_T2_T3_mT4_P12ihipStream_tbEUlT_E0_NS1_11comp_targetILNS1_3genE10ELNS1_11target_archE1201ELNS1_3gpuE5ELNS1_3repE0EEENS1_30default_config_static_selectorELNS0_4arch9wavefront6targetE0EEEvSM_
    .private_segment_fixed_size: 0
    .sgpr_count:     0
    .sgpr_spill_count: 0
    .symbol:         _ZN7rocprim17ROCPRIM_400000_NS6detail17trampoline_kernelINS0_14default_configENS1_22reduce_config_selectorIlEEZNS1_11reduce_implILb1ES3_PlS7_lN6hipcub16HIPCUB_304000_NS6detail34convert_binary_result_type_wrapperINS9_3SumENS9_22TransformInputIteratorIb7NonZeroIsEPslEElEEEE10hipError_tPvRmT1_T2_T3_mT4_P12ihipStream_tbEUlT_E0_NS1_11comp_targetILNS1_3genE10ELNS1_11target_archE1201ELNS1_3gpuE5ELNS1_3repE0EEENS1_30default_config_static_selectorELNS0_4arch9wavefront6targetE0EEEvSM_.kd
    .uniform_work_group_size: 1
    .uses_dynamic_stack: false
    .vgpr_count:     0
    .vgpr_spill_count: 0
    .wavefront_size: 32
    .workgroup_processor_mode: 1
  - .args:
      - .offset:         0
        .size:           64
        .value_kind:     by_value
    .group_segment_fixed_size: 0
    .kernarg_segment_align: 8
    .kernarg_segment_size: 64
    .language:       OpenCL C
    .language_version:
      - 2
      - 0
    .max_flat_workgroup_size: 256
    .name:           _ZN7rocprim17ROCPRIM_400000_NS6detail17trampoline_kernelINS0_14default_configENS1_22reduce_config_selectorIlEEZNS1_11reduce_implILb1ES3_PlS7_lN6hipcub16HIPCUB_304000_NS6detail34convert_binary_result_type_wrapperINS9_3SumENS9_22TransformInputIteratorIb7NonZeroIsEPslEElEEEE10hipError_tPvRmT1_T2_T3_mT4_P12ihipStream_tbEUlT_E0_NS1_11comp_targetILNS1_3genE10ELNS1_11target_archE1200ELNS1_3gpuE4ELNS1_3repE0EEENS1_30default_config_static_selectorELNS0_4arch9wavefront6targetE0EEEvSM_
    .private_segment_fixed_size: 0
    .sgpr_count:     0
    .sgpr_spill_count: 0
    .symbol:         _ZN7rocprim17ROCPRIM_400000_NS6detail17trampoline_kernelINS0_14default_configENS1_22reduce_config_selectorIlEEZNS1_11reduce_implILb1ES3_PlS7_lN6hipcub16HIPCUB_304000_NS6detail34convert_binary_result_type_wrapperINS9_3SumENS9_22TransformInputIteratorIb7NonZeroIsEPslEElEEEE10hipError_tPvRmT1_T2_T3_mT4_P12ihipStream_tbEUlT_E0_NS1_11comp_targetILNS1_3genE10ELNS1_11target_archE1200ELNS1_3gpuE4ELNS1_3repE0EEENS1_30default_config_static_selectorELNS0_4arch9wavefront6targetE0EEEvSM_.kd
    .uniform_work_group_size: 1
    .uses_dynamic_stack: false
    .vgpr_count:     0
    .vgpr_spill_count: 0
    .wavefront_size: 32
    .workgroup_processor_mode: 1
  - .args:
      - .offset:         0
        .size:           64
        .value_kind:     by_value
    .group_segment_fixed_size: 128
    .kernarg_segment_align: 8
    .kernarg_segment_size: 64
    .language:       OpenCL C
    .language_version:
      - 2
      - 0
    .max_flat_workgroup_size: 256
    .name:           _ZN7rocprim17ROCPRIM_400000_NS6detail17trampoline_kernelINS0_14default_configENS1_22reduce_config_selectorIlEEZNS1_11reduce_implILb1ES3_PlS7_lN6hipcub16HIPCUB_304000_NS6detail34convert_binary_result_type_wrapperINS9_3SumENS9_22TransformInputIteratorIb7NonZeroIsEPslEElEEEE10hipError_tPvRmT1_T2_T3_mT4_P12ihipStream_tbEUlT_E0_NS1_11comp_targetILNS1_3genE9ELNS1_11target_archE1100ELNS1_3gpuE3ELNS1_3repE0EEENS1_30default_config_static_selectorELNS0_4arch9wavefront6targetE0EEEvSM_
    .private_segment_fixed_size: 0
    .sgpr_count:     22
    .sgpr_spill_count: 0
    .symbol:         _ZN7rocprim17ROCPRIM_400000_NS6detail17trampoline_kernelINS0_14default_configENS1_22reduce_config_selectorIlEEZNS1_11reduce_implILb1ES3_PlS7_lN6hipcub16HIPCUB_304000_NS6detail34convert_binary_result_type_wrapperINS9_3SumENS9_22TransformInputIteratorIb7NonZeroIsEPslEElEEEE10hipError_tPvRmT1_T2_T3_mT4_P12ihipStream_tbEUlT_E0_NS1_11comp_targetILNS1_3genE9ELNS1_11target_archE1100ELNS1_3gpuE3ELNS1_3repE0EEENS1_30default_config_static_selectorELNS0_4arch9wavefront6targetE0EEEvSM_.kd
    .uniform_work_group_size: 1
    .uses_dynamic_stack: false
    .vgpr_count:     12
    .vgpr_spill_count: 0
    .wavefront_size: 32
    .workgroup_processor_mode: 1
  - .args:
      - .offset:         0
        .size:           64
        .value_kind:     by_value
    .group_segment_fixed_size: 0
    .kernarg_segment_align: 8
    .kernarg_segment_size: 64
    .language:       OpenCL C
    .language_version:
      - 2
      - 0
    .max_flat_workgroup_size: 256
    .name:           _ZN7rocprim17ROCPRIM_400000_NS6detail17trampoline_kernelINS0_14default_configENS1_22reduce_config_selectorIlEEZNS1_11reduce_implILb1ES3_PlS7_lN6hipcub16HIPCUB_304000_NS6detail34convert_binary_result_type_wrapperINS9_3SumENS9_22TransformInputIteratorIb7NonZeroIsEPslEElEEEE10hipError_tPvRmT1_T2_T3_mT4_P12ihipStream_tbEUlT_E0_NS1_11comp_targetILNS1_3genE8ELNS1_11target_archE1030ELNS1_3gpuE2ELNS1_3repE0EEENS1_30default_config_static_selectorELNS0_4arch9wavefront6targetE0EEEvSM_
    .private_segment_fixed_size: 0
    .sgpr_count:     0
    .sgpr_spill_count: 0
    .symbol:         _ZN7rocprim17ROCPRIM_400000_NS6detail17trampoline_kernelINS0_14default_configENS1_22reduce_config_selectorIlEEZNS1_11reduce_implILb1ES3_PlS7_lN6hipcub16HIPCUB_304000_NS6detail34convert_binary_result_type_wrapperINS9_3SumENS9_22TransformInputIteratorIb7NonZeroIsEPslEElEEEE10hipError_tPvRmT1_T2_T3_mT4_P12ihipStream_tbEUlT_E0_NS1_11comp_targetILNS1_3genE8ELNS1_11target_archE1030ELNS1_3gpuE2ELNS1_3repE0EEENS1_30default_config_static_selectorELNS0_4arch9wavefront6targetE0EEEvSM_.kd
    .uniform_work_group_size: 1
    .uses_dynamic_stack: false
    .vgpr_count:     0
    .vgpr_spill_count: 0
    .wavefront_size: 32
    .workgroup_processor_mode: 1
  - .args:
      - .offset:         0
        .size:           48
        .value_kind:     by_value
    .group_segment_fixed_size: 0
    .kernarg_segment_align: 8
    .kernarg_segment_size: 48
    .language:       OpenCL C
    .language_version:
      - 2
      - 0
    .max_flat_workgroup_size: 256
    .name:           _ZN7rocprim17ROCPRIM_400000_NS6detail17trampoline_kernelINS0_14default_configENS1_22reduce_config_selectorIlEEZNS1_11reduce_implILb1ES3_PlS7_lN6hipcub16HIPCUB_304000_NS6detail34convert_binary_result_type_wrapperINS9_3SumENS9_22TransformInputIteratorIb7NonZeroIsEPslEElEEEE10hipError_tPvRmT1_T2_T3_mT4_P12ihipStream_tbEUlT_E1_NS1_11comp_targetILNS1_3genE0ELNS1_11target_archE4294967295ELNS1_3gpuE0ELNS1_3repE0EEENS1_30default_config_static_selectorELNS0_4arch9wavefront6targetE0EEEvSM_
    .private_segment_fixed_size: 0
    .sgpr_count:     0
    .sgpr_spill_count: 0
    .symbol:         _ZN7rocprim17ROCPRIM_400000_NS6detail17trampoline_kernelINS0_14default_configENS1_22reduce_config_selectorIlEEZNS1_11reduce_implILb1ES3_PlS7_lN6hipcub16HIPCUB_304000_NS6detail34convert_binary_result_type_wrapperINS9_3SumENS9_22TransformInputIteratorIb7NonZeroIsEPslEElEEEE10hipError_tPvRmT1_T2_T3_mT4_P12ihipStream_tbEUlT_E1_NS1_11comp_targetILNS1_3genE0ELNS1_11target_archE4294967295ELNS1_3gpuE0ELNS1_3repE0EEENS1_30default_config_static_selectorELNS0_4arch9wavefront6targetE0EEEvSM_.kd
    .uniform_work_group_size: 1
    .uses_dynamic_stack: false
    .vgpr_count:     0
    .vgpr_spill_count: 0
    .wavefront_size: 32
    .workgroup_processor_mode: 1
  - .args:
      - .offset:         0
        .size:           48
        .value_kind:     by_value
    .group_segment_fixed_size: 0
    .kernarg_segment_align: 8
    .kernarg_segment_size: 48
    .language:       OpenCL C
    .language_version:
      - 2
      - 0
    .max_flat_workgroup_size: 256
    .name:           _ZN7rocprim17ROCPRIM_400000_NS6detail17trampoline_kernelINS0_14default_configENS1_22reduce_config_selectorIlEEZNS1_11reduce_implILb1ES3_PlS7_lN6hipcub16HIPCUB_304000_NS6detail34convert_binary_result_type_wrapperINS9_3SumENS9_22TransformInputIteratorIb7NonZeroIsEPslEElEEEE10hipError_tPvRmT1_T2_T3_mT4_P12ihipStream_tbEUlT_E1_NS1_11comp_targetILNS1_3genE5ELNS1_11target_archE942ELNS1_3gpuE9ELNS1_3repE0EEENS1_30default_config_static_selectorELNS0_4arch9wavefront6targetE0EEEvSM_
    .private_segment_fixed_size: 0
    .sgpr_count:     0
    .sgpr_spill_count: 0
    .symbol:         _ZN7rocprim17ROCPRIM_400000_NS6detail17trampoline_kernelINS0_14default_configENS1_22reduce_config_selectorIlEEZNS1_11reduce_implILb1ES3_PlS7_lN6hipcub16HIPCUB_304000_NS6detail34convert_binary_result_type_wrapperINS9_3SumENS9_22TransformInputIteratorIb7NonZeroIsEPslEElEEEE10hipError_tPvRmT1_T2_T3_mT4_P12ihipStream_tbEUlT_E1_NS1_11comp_targetILNS1_3genE5ELNS1_11target_archE942ELNS1_3gpuE9ELNS1_3repE0EEENS1_30default_config_static_selectorELNS0_4arch9wavefront6targetE0EEEvSM_.kd
    .uniform_work_group_size: 1
    .uses_dynamic_stack: false
    .vgpr_count:     0
    .vgpr_spill_count: 0
    .wavefront_size: 32
    .workgroup_processor_mode: 1
  - .args:
      - .offset:         0
        .size:           48
        .value_kind:     by_value
    .group_segment_fixed_size: 0
    .kernarg_segment_align: 8
    .kernarg_segment_size: 48
    .language:       OpenCL C
    .language_version:
      - 2
      - 0
    .max_flat_workgroup_size: 256
    .name:           _ZN7rocprim17ROCPRIM_400000_NS6detail17trampoline_kernelINS0_14default_configENS1_22reduce_config_selectorIlEEZNS1_11reduce_implILb1ES3_PlS7_lN6hipcub16HIPCUB_304000_NS6detail34convert_binary_result_type_wrapperINS9_3SumENS9_22TransformInputIteratorIb7NonZeroIsEPslEElEEEE10hipError_tPvRmT1_T2_T3_mT4_P12ihipStream_tbEUlT_E1_NS1_11comp_targetILNS1_3genE4ELNS1_11target_archE910ELNS1_3gpuE8ELNS1_3repE0EEENS1_30default_config_static_selectorELNS0_4arch9wavefront6targetE0EEEvSM_
    .private_segment_fixed_size: 0
    .sgpr_count:     0
    .sgpr_spill_count: 0
    .symbol:         _ZN7rocprim17ROCPRIM_400000_NS6detail17trampoline_kernelINS0_14default_configENS1_22reduce_config_selectorIlEEZNS1_11reduce_implILb1ES3_PlS7_lN6hipcub16HIPCUB_304000_NS6detail34convert_binary_result_type_wrapperINS9_3SumENS9_22TransformInputIteratorIb7NonZeroIsEPslEElEEEE10hipError_tPvRmT1_T2_T3_mT4_P12ihipStream_tbEUlT_E1_NS1_11comp_targetILNS1_3genE4ELNS1_11target_archE910ELNS1_3gpuE8ELNS1_3repE0EEENS1_30default_config_static_selectorELNS0_4arch9wavefront6targetE0EEEvSM_.kd
    .uniform_work_group_size: 1
    .uses_dynamic_stack: false
    .vgpr_count:     0
    .vgpr_spill_count: 0
    .wavefront_size: 32
    .workgroup_processor_mode: 1
  - .args:
      - .offset:         0
        .size:           48
        .value_kind:     by_value
    .group_segment_fixed_size: 0
    .kernarg_segment_align: 8
    .kernarg_segment_size: 48
    .language:       OpenCL C
    .language_version:
      - 2
      - 0
    .max_flat_workgroup_size: 256
    .name:           _ZN7rocprim17ROCPRIM_400000_NS6detail17trampoline_kernelINS0_14default_configENS1_22reduce_config_selectorIlEEZNS1_11reduce_implILb1ES3_PlS7_lN6hipcub16HIPCUB_304000_NS6detail34convert_binary_result_type_wrapperINS9_3SumENS9_22TransformInputIteratorIb7NonZeroIsEPslEElEEEE10hipError_tPvRmT1_T2_T3_mT4_P12ihipStream_tbEUlT_E1_NS1_11comp_targetILNS1_3genE3ELNS1_11target_archE908ELNS1_3gpuE7ELNS1_3repE0EEENS1_30default_config_static_selectorELNS0_4arch9wavefront6targetE0EEEvSM_
    .private_segment_fixed_size: 0
    .sgpr_count:     0
    .sgpr_spill_count: 0
    .symbol:         _ZN7rocprim17ROCPRIM_400000_NS6detail17trampoline_kernelINS0_14default_configENS1_22reduce_config_selectorIlEEZNS1_11reduce_implILb1ES3_PlS7_lN6hipcub16HIPCUB_304000_NS6detail34convert_binary_result_type_wrapperINS9_3SumENS9_22TransformInputIteratorIb7NonZeroIsEPslEElEEEE10hipError_tPvRmT1_T2_T3_mT4_P12ihipStream_tbEUlT_E1_NS1_11comp_targetILNS1_3genE3ELNS1_11target_archE908ELNS1_3gpuE7ELNS1_3repE0EEENS1_30default_config_static_selectorELNS0_4arch9wavefront6targetE0EEEvSM_.kd
    .uniform_work_group_size: 1
    .uses_dynamic_stack: false
    .vgpr_count:     0
    .vgpr_spill_count: 0
    .wavefront_size: 32
    .workgroup_processor_mode: 1
  - .args:
      - .offset:         0
        .size:           48
        .value_kind:     by_value
    .group_segment_fixed_size: 0
    .kernarg_segment_align: 8
    .kernarg_segment_size: 48
    .language:       OpenCL C
    .language_version:
      - 2
      - 0
    .max_flat_workgroup_size: 256
    .name:           _ZN7rocprim17ROCPRIM_400000_NS6detail17trampoline_kernelINS0_14default_configENS1_22reduce_config_selectorIlEEZNS1_11reduce_implILb1ES3_PlS7_lN6hipcub16HIPCUB_304000_NS6detail34convert_binary_result_type_wrapperINS9_3SumENS9_22TransformInputIteratorIb7NonZeroIsEPslEElEEEE10hipError_tPvRmT1_T2_T3_mT4_P12ihipStream_tbEUlT_E1_NS1_11comp_targetILNS1_3genE2ELNS1_11target_archE906ELNS1_3gpuE6ELNS1_3repE0EEENS1_30default_config_static_selectorELNS0_4arch9wavefront6targetE0EEEvSM_
    .private_segment_fixed_size: 0
    .sgpr_count:     0
    .sgpr_spill_count: 0
    .symbol:         _ZN7rocprim17ROCPRIM_400000_NS6detail17trampoline_kernelINS0_14default_configENS1_22reduce_config_selectorIlEEZNS1_11reduce_implILb1ES3_PlS7_lN6hipcub16HIPCUB_304000_NS6detail34convert_binary_result_type_wrapperINS9_3SumENS9_22TransformInputIteratorIb7NonZeroIsEPslEElEEEE10hipError_tPvRmT1_T2_T3_mT4_P12ihipStream_tbEUlT_E1_NS1_11comp_targetILNS1_3genE2ELNS1_11target_archE906ELNS1_3gpuE6ELNS1_3repE0EEENS1_30default_config_static_selectorELNS0_4arch9wavefront6targetE0EEEvSM_.kd
    .uniform_work_group_size: 1
    .uses_dynamic_stack: false
    .vgpr_count:     0
    .vgpr_spill_count: 0
    .wavefront_size: 32
    .workgroup_processor_mode: 1
  - .args:
      - .offset:         0
        .size:           48
        .value_kind:     by_value
    .group_segment_fixed_size: 0
    .kernarg_segment_align: 8
    .kernarg_segment_size: 48
    .language:       OpenCL C
    .language_version:
      - 2
      - 0
    .max_flat_workgroup_size: 256
    .name:           _ZN7rocprim17ROCPRIM_400000_NS6detail17trampoline_kernelINS0_14default_configENS1_22reduce_config_selectorIlEEZNS1_11reduce_implILb1ES3_PlS7_lN6hipcub16HIPCUB_304000_NS6detail34convert_binary_result_type_wrapperINS9_3SumENS9_22TransformInputIteratorIb7NonZeroIsEPslEElEEEE10hipError_tPvRmT1_T2_T3_mT4_P12ihipStream_tbEUlT_E1_NS1_11comp_targetILNS1_3genE10ELNS1_11target_archE1201ELNS1_3gpuE5ELNS1_3repE0EEENS1_30default_config_static_selectorELNS0_4arch9wavefront6targetE0EEEvSM_
    .private_segment_fixed_size: 0
    .sgpr_count:     0
    .sgpr_spill_count: 0
    .symbol:         _ZN7rocprim17ROCPRIM_400000_NS6detail17trampoline_kernelINS0_14default_configENS1_22reduce_config_selectorIlEEZNS1_11reduce_implILb1ES3_PlS7_lN6hipcub16HIPCUB_304000_NS6detail34convert_binary_result_type_wrapperINS9_3SumENS9_22TransformInputIteratorIb7NonZeroIsEPslEElEEEE10hipError_tPvRmT1_T2_T3_mT4_P12ihipStream_tbEUlT_E1_NS1_11comp_targetILNS1_3genE10ELNS1_11target_archE1201ELNS1_3gpuE5ELNS1_3repE0EEENS1_30default_config_static_selectorELNS0_4arch9wavefront6targetE0EEEvSM_.kd
    .uniform_work_group_size: 1
    .uses_dynamic_stack: false
    .vgpr_count:     0
    .vgpr_spill_count: 0
    .wavefront_size: 32
    .workgroup_processor_mode: 1
  - .args:
      - .offset:         0
        .size:           48
        .value_kind:     by_value
    .group_segment_fixed_size: 0
    .kernarg_segment_align: 8
    .kernarg_segment_size: 48
    .language:       OpenCL C
    .language_version:
      - 2
      - 0
    .max_flat_workgroup_size: 256
    .name:           _ZN7rocprim17ROCPRIM_400000_NS6detail17trampoline_kernelINS0_14default_configENS1_22reduce_config_selectorIlEEZNS1_11reduce_implILb1ES3_PlS7_lN6hipcub16HIPCUB_304000_NS6detail34convert_binary_result_type_wrapperINS9_3SumENS9_22TransformInputIteratorIb7NonZeroIsEPslEElEEEE10hipError_tPvRmT1_T2_T3_mT4_P12ihipStream_tbEUlT_E1_NS1_11comp_targetILNS1_3genE10ELNS1_11target_archE1200ELNS1_3gpuE4ELNS1_3repE0EEENS1_30default_config_static_selectorELNS0_4arch9wavefront6targetE0EEEvSM_
    .private_segment_fixed_size: 0
    .sgpr_count:     0
    .sgpr_spill_count: 0
    .symbol:         _ZN7rocprim17ROCPRIM_400000_NS6detail17trampoline_kernelINS0_14default_configENS1_22reduce_config_selectorIlEEZNS1_11reduce_implILb1ES3_PlS7_lN6hipcub16HIPCUB_304000_NS6detail34convert_binary_result_type_wrapperINS9_3SumENS9_22TransformInputIteratorIb7NonZeroIsEPslEElEEEE10hipError_tPvRmT1_T2_T3_mT4_P12ihipStream_tbEUlT_E1_NS1_11comp_targetILNS1_3genE10ELNS1_11target_archE1200ELNS1_3gpuE4ELNS1_3repE0EEENS1_30default_config_static_selectorELNS0_4arch9wavefront6targetE0EEEvSM_.kd
    .uniform_work_group_size: 1
    .uses_dynamic_stack: false
    .vgpr_count:     0
    .vgpr_spill_count: 0
    .wavefront_size: 32
    .workgroup_processor_mode: 1
  - .args:
      - .offset:         0
        .size:           48
        .value_kind:     by_value
    .group_segment_fixed_size: 384
    .kernarg_segment_align: 8
    .kernarg_segment_size: 48
    .language:       OpenCL C
    .language_version:
      - 2
      - 0
    .max_flat_workgroup_size: 256
    .name:           _ZN7rocprim17ROCPRIM_400000_NS6detail17trampoline_kernelINS0_14default_configENS1_22reduce_config_selectorIlEEZNS1_11reduce_implILb1ES3_PlS7_lN6hipcub16HIPCUB_304000_NS6detail34convert_binary_result_type_wrapperINS9_3SumENS9_22TransformInputIteratorIb7NonZeroIsEPslEElEEEE10hipError_tPvRmT1_T2_T3_mT4_P12ihipStream_tbEUlT_E1_NS1_11comp_targetILNS1_3genE9ELNS1_11target_archE1100ELNS1_3gpuE3ELNS1_3repE0EEENS1_30default_config_static_selectorELNS0_4arch9wavefront6targetE0EEEvSM_
    .private_segment_fixed_size: 0
    .sgpr_count:     32
    .sgpr_spill_count: 0
    .symbol:         _ZN7rocprim17ROCPRIM_400000_NS6detail17trampoline_kernelINS0_14default_configENS1_22reduce_config_selectorIlEEZNS1_11reduce_implILb1ES3_PlS7_lN6hipcub16HIPCUB_304000_NS6detail34convert_binary_result_type_wrapperINS9_3SumENS9_22TransformInputIteratorIb7NonZeroIsEPslEElEEEE10hipError_tPvRmT1_T2_T3_mT4_P12ihipStream_tbEUlT_E1_NS1_11comp_targetILNS1_3genE9ELNS1_11target_archE1100ELNS1_3gpuE3ELNS1_3repE0EEENS1_30default_config_static_selectorELNS0_4arch9wavefront6targetE0EEEvSM_.kd
    .uniform_work_group_size: 1
    .uses_dynamic_stack: false
    .vgpr_count:     34
    .vgpr_spill_count: 0
    .wavefront_size: 32
    .workgroup_processor_mode: 1
  - .args:
      - .offset:         0
        .size:           48
        .value_kind:     by_value
    .group_segment_fixed_size: 0
    .kernarg_segment_align: 8
    .kernarg_segment_size: 48
    .language:       OpenCL C
    .language_version:
      - 2
      - 0
    .max_flat_workgroup_size: 256
    .name:           _ZN7rocprim17ROCPRIM_400000_NS6detail17trampoline_kernelINS0_14default_configENS1_22reduce_config_selectorIlEEZNS1_11reduce_implILb1ES3_PlS7_lN6hipcub16HIPCUB_304000_NS6detail34convert_binary_result_type_wrapperINS9_3SumENS9_22TransformInputIteratorIb7NonZeroIsEPslEElEEEE10hipError_tPvRmT1_T2_T3_mT4_P12ihipStream_tbEUlT_E1_NS1_11comp_targetILNS1_3genE8ELNS1_11target_archE1030ELNS1_3gpuE2ELNS1_3repE0EEENS1_30default_config_static_selectorELNS0_4arch9wavefront6targetE0EEEvSM_
    .private_segment_fixed_size: 0
    .sgpr_count:     0
    .sgpr_spill_count: 0
    .symbol:         _ZN7rocprim17ROCPRIM_400000_NS6detail17trampoline_kernelINS0_14default_configENS1_22reduce_config_selectorIlEEZNS1_11reduce_implILb1ES3_PlS7_lN6hipcub16HIPCUB_304000_NS6detail34convert_binary_result_type_wrapperINS9_3SumENS9_22TransformInputIteratorIb7NonZeroIsEPslEElEEEE10hipError_tPvRmT1_T2_T3_mT4_P12ihipStream_tbEUlT_E1_NS1_11comp_targetILNS1_3genE8ELNS1_11target_archE1030ELNS1_3gpuE2ELNS1_3repE0EEENS1_30default_config_static_selectorELNS0_4arch9wavefront6targetE0EEEvSM_.kd
    .uniform_work_group_size: 1
    .uses_dynamic_stack: false
    .vgpr_count:     0
    .vgpr_spill_count: 0
    .wavefront_size: 32
    .workgroup_processor_mode: 1
  - .args:
      - .offset:         0
        .size:           72
        .value_kind:     by_value
    .group_segment_fixed_size: 0
    .kernarg_segment_align: 8
    .kernarg_segment_size: 72
    .language:       OpenCL C
    .language_version:
      - 2
      - 0
    .max_flat_workgroup_size: 256
    .name:           _ZN7rocprim17ROCPRIM_400000_NS6detail17trampoline_kernelINS0_14default_configENS1_22reduce_config_selectorIbEEZNS1_11reduce_implILb1ES3_N6hipcub16HIPCUB_304000_NS22TransformInputIteratorIb7NonZeroIsEPslEEPllNS8_6detail34convert_binary_result_type_wrapperINS8_3SumESD_lEEEE10hipError_tPvRmT1_T2_T3_mT4_P12ihipStream_tbEUlT_E0_NS1_11comp_targetILNS1_3genE0ELNS1_11target_archE4294967295ELNS1_3gpuE0ELNS1_3repE0EEENS1_30default_config_static_selectorELNS0_4arch9wavefront6targetE0EEEvSM_
    .private_segment_fixed_size: 0
    .sgpr_count:     0
    .sgpr_spill_count: 0
    .symbol:         _ZN7rocprim17ROCPRIM_400000_NS6detail17trampoline_kernelINS0_14default_configENS1_22reduce_config_selectorIbEEZNS1_11reduce_implILb1ES3_N6hipcub16HIPCUB_304000_NS22TransformInputIteratorIb7NonZeroIsEPslEEPllNS8_6detail34convert_binary_result_type_wrapperINS8_3SumESD_lEEEE10hipError_tPvRmT1_T2_T3_mT4_P12ihipStream_tbEUlT_E0_NS1_11comp_targetILNS1_3genE0ELNS1_11target_archE4294967295ELNS1_3gpuE0ELNS1_3repE0EEENS1_30default_config_static_selectorELNS0_4arch9wavefront6targetE0EEEvSM_.kd
    .uniform_work_group_size: 1
    .uses_dynamic_stack: false
    .vgpr_count:     0
    .vgpr_spill_count: 0
    .wavefront_size: 32
    .workgroup_processor_mode: 1
  - .args:
      - .offset:         0
        .size:           72
        .value_kind:     by_value
    .group_segment_fixed_size: 0
    .kernarg_segment_align: 8
    .kernarg_segment_size: 72
    .language:       OpenCL C
    .language_version:
      - 2
      - 0
    .max_flat_workgroup_size: 256
    .name:           _ZN7rocprim17ROCPRIM_400000_NS6detail17trampoline_kernelINS0_14default_configENS1_22reduce_config_selectorIbEEZNS1_11reduce_implILb1ES3_N6hipcub16HIPCUB_304000_NS22TransformInputIteratorIb7NonZeroIsEPslEEPllNS8_6detail34convert_binary_result_type_wrapperINS8_3SumESD_lEEEE10hipError_tPvRmT1_T2_T3_mT4_P12ihipStream_tbEUlT_E0_NS1_11comp_targetILNS1_3genE5ELNS1_11target_archE942ELNS1_3gpuE9ELNS1_3repE0EEENS1_30default_config_static_selectorELNS0_4arch9wavefront6targetE0EEEvSM_
    .private_segment_fixed_size: 0
    .sgpr_count:     0
    .sgpr_spill_count: 0
    .symbol:         _ZN7rocprim17ROCPRIM_400000_NS6detail17trampoline_kernelINS0_14default_configENS1_22reduce_config_selectorIbEEZNS1_11reduce_implILb1ES3_N6hipcub16HIPCUB_304000_NS22TransformInputIteratorIb7NonZeroIsEPslEEPllNS8_6detail34convert_binary_result_type_wrapperINS8_3SumESD_lEEEE10hipError_tPvRmT1_T2_T3_mT4_P12ihipStream_tbEUlT_E0_NS1_11comp_targetILNS1_3genE5ELNS1_11target_archE942ELNS1_3gpuE9ELNS1_3repE0EEENS1_30default_config_static_selectorELNS0_4arch9wavefront6targetE0EEEvSM_.kd
    .uniform_work_group_size: 1
    .uses_dynamic_stack: false
    .vgpr_count:     0
    .vgpr_spill_count: 0
    .wavefront_size: 32
    .workgroup_processor_mode: 1
  - .args:
      - .offset:         0
        .size:           72
        .value_kind:     by_value
    .group_segment_fixed_size: 0
    .kernarg_segment_align: 8
    .kernarg_segment_size: 72
    .language:       OpenCL C
    .language_version:
      - 2
      - 0
    .max_flat_workgroup_size: 128
    .name:           _ZN7rocprim17ROCPRIM_400000_NS6detail17trampoline_kernelINS0_14default_configENS1_22reduce_config_selectorIbEEZNS1_11reduce_implILb1ES3_N6hipcub16HIPCUB_304000_NS22TransformInputIteratorIb7NonZeroIsEPslEEPllNS8_6detail34convert_binary_result_type_wrapperINS8_3SumESD_lEEEE10hipError_tPvRmT1_T2_T3_mT4_P12ihipStream_tbEUlT_E0_NS1_11comp_targetILNS1_3genE4ELNS1_11target_archE910ELNS1_3gpuE8ELNS1_3repE0EEENS1_30default_config_static_selectorELNS0_4arch9wavefront6targetE0EEEvSM_
    .private_segment_fixed_size: 0
    .sgpr_count:     0
    .sgpr_spill_count: 0
    .symbol:         _ZN7rocprim17ROCPRIM_400000_NS6detail17trampoline_kernelINS0_14default_configENS1_22reduce_config_selectorIbEEZNS1_11reduce_implILb1ES3_N6hipcub16HIPCUB_304000_NS22TransformInputIteratorIb7NonZeroIsEPslEEPllNS8_6detail34convert_binary_result_type_wrapperINS8_3SumESD_lEEEE10hipError_tPvRmT1_T2_T3_mT4_P12ihipStream_tbEUlT_E0_NS1_11comp_targetILNS1_3genE4ELNS1_11target_archE910ELNS1_3gpuE8ELNS1_3repE0EEENS1_30default_config_static_selectorELNS0_4arch9wavefront6targetE0EEEvSM_.kd
    .uniform_work_group_size: 1
    .uses_dynamic_stack: false
    .vgpr_count:     0
    .vgpr_spill_count: 0
    .wavefront_size: 32
    .workgroup_processor_mode: 1
  - .args:
      - .offset:         0
        .size:           72
        .value_kind:     by_value
    .group_segment_fixed_size: 0
    .kernarg_segment_align: 8
    .kernarg_segment_size: 72
    .language:       OpenCL C
    .language_version:
      - 2
      - 0
    .max_flat_workgroup_size: 256
    .name:           _ZN7rocprim17ROCPRIM_400000_NS6detail17trampoline_kernelINS0_14default_configENS1_22reduce_config_selectorIbEEZNS1_11reduce_implILb1ES3_N6hipcub16HIPCUB_304000_NS22TransformInputIteratorIb7NonZeroIsEPslEEPllNS8_6detail34convert_binary_result_type_wrapperINS8_3SumESD_lEEEE10hipError_tPvRmT1_T2_T3_mT4_P12ihipStream_tbEUlT_E0_NS1_11comp_targetILNS1_3genE3ELNS1_11target_archE908ELNS1_3gpuE7ELNS1_3repE0EEENS1_30default_config_static_selectorELNS0_4arch9wavefront6targetE0EEEvSM_
    .private_segment_fixed_size: 0
    .sgpr_count:     0
    .sgpr_spill_count: 0
    .symbol:         _ZN7rocprim17ROCPRIM_400000_NS6detail17trampoline_kernelINS0_14default_configENS1_22reduce_config_selectorIbEEZNS1_11reduce_implILb1ES3_N6hipcub16HIPCUB_304000_NS22TransformInputIteratorIb7NonZeroIsEPslEEPllNS8_6detail34convert_binary_result_type_wrapperINS8_3SumESD_lEEEE10hipError_tPvRmT1_T2_T3_mT4_P12ihipStream_tbEUlT_E0_NS1_11comp_targetILNS1_3genE3ELNS1_11target_archE908ELNS1_3gpuE7ELNS1_3repE0EEENS1_30default_config_static_selectorELNS0_4arch9wavefront6targetE0EEEvSM_.kd
    .uniform_work_group_size: 1
    .uses_dynamic_stack: false
    .vgpr_count:     0
    .vgpr_spill_count: 0
    .wavefront_size: 32
    .workgroup_processor_mode: 1
  - .args:
      - .offset:         0
        .size:           72
        .value_kind:     by_value
    .group_segment_fixed_size: 0
    .kernarg_segment_align: 8
    .kernarg_segment_size: 72
    .language:       OpenCL C
    .language_version:
      - 2
      - 0
    .max_flat_workgroup_size: 128
    .name:           _ZN7rocprim17ROCPRIM_400000_NS6detail17trampoline_kernelINS0_14default_configENS1_22reduce_config_selectorIbEEZNS1_11reduce_implILb1ES3_N6hipcub16HIPCUB_304000_NS22TransformInputIteratorIb7NonZeroIsEPslEEPllNS8_6detail34convert_binary_result_type_wrapperINS8_3SumESD_lEEEE10hipError_tPvRmT1_T2_T3_mT4_P12ihipStream_tbEUlT_E0_NS1_11comp_targetILNS1_3genE2ELNS1_11target_archE906ELNS1_3gpuE6ELNS1_3repE0EEENS1_30default_config_static_selectorELNS0_4arch9wavefront6targetE0EEEvSM_
    .private_segment_fixed_size: 0
    .sgpr_count:     0
    .sgpr_spill_count: 0
    .symbol:         _ZN7rocprim17ROCPRIM_400000_NS6detail17trampoline_kernelINS0_14default_configENS1_22reduce_config_selectorIbEEZNS1_11reduce_implILb1ES3_N6hipcub16HIPCUB_304000_NS22TransformInputIteratorIb7NonZeroIsEPslEEPllNS8_6detail34convert_binary_result_type_wrapperINS8_3SumESD_lEEEE10hipError_tPvRmT1_T2_T3_mT4_P12ihipStream_tbEUlT_E0_NS1_11comp_targetILNS1_3genE2ELNS1_11target_archE906ELNS1_3gpuE6ELNS1_3repE0EEENS1_30default_config_static_selectorELNS0_4arch9wavefront6targetE0EEEvSM_.kd
    .uniform_work_group_size: 1
    .uses_dynamic_stack: false
    .vgpr_count:     0
    .vgpr_spill_count: 0
    .wavefront_size: 32
    .workgroup_processor_mode: 1
  - .args:
      - .offset:         0
        .size:           72
        .value_kind:     by_value
    .group_segment_fixed_size: 0
    .kernarg_segment_align: 8
    .kernarg_segment_size: 72
    .language:       OpenCL C
    .language_version:
      - 2
      - 0
    .max_flat_workgroup_size: 256
    .name:           _ZN7rocprim17ROCPRIM_400000_NS6detail17trampoline_kernelINS0_14default_configENS1_22reduce_config_selectorIbEEZNS1_11reduce_implILb1ES3_N6hipcub16HIPCUB_304000_NS22TransformInputIteratorIb7NonZeroIsEPslEEPllNS8_6detail34convert_binary_result_type_wrapperINS8_3SumESD_lEEEE10hipError_tPvRmT1_T2_T3_mT4_P12ihipStream_tbEUlT_E0_NS1_11comp_targetILNS1_3genE10ELNS1_11target_archE1201ELNS1_3gpuE5ELNS1_3repE0EEENS1_30default_config_static_selectorELNS0_4arch9wavefront6targetE0EEEvSM_
    .private_segment_fixed_size: 0
    .sgpr_count:     0
    .sgpr_spill_count: 0
    .symbol:         _ZN7rocprim17ROCPRIM_400000_NS6detail17trampoline_kernelINS0_14default_configENS1_22reduce_config_selectorIbEEZNS1_11reduce_implILb1ES3_N6hipcub16HIPCUB_304000_NS22TransformInputIteratorIb7NonZeroIsEPslEEPllNS8_6detail34convert_binary_result_type_wrapperINS8_3SumESD_lEEEE10hipError_tPvRmT1_T2_T3_mT4_P12ihipStream_tbEUlT_E0_NS1_11comp_targetILNS1_3genE10ELNS1_11target_archE1201ELNS1_3gpuE5ELNS1_3repE0EEENS1_30default_config_static_selectorELNS0_4arch9wavefront6targetE0EEEvSM_.kd
    .uniform_work_group_size: 1
    .uses_dynamic_stack: false
    .vgpr_count:     0
    .vgpr_spill_count: 0
    .wavefront_size: 32
    .workgroup_processor_mode: 1
  - .args:
      - .offset:         0
        .size:           72
        .value_kind:     by_value
    .group_segment_fixed_size: 0
    .kernarg_segment_align: 8
    .kernarg_segment_size: 72
    .language:       OpenCL C
    .language_version:
      - 2
      - 0
    .max_flat_workgroup_size: 256
    .name:           _ZN7rocprim17ROCPRIM_400000_NS6detail17trampoline_kernelINS0_14default_configENS1_22reduce_config_selectorIbEEZNS1_11reduce_implILb1ES3_N6hipcub16HIPCUB_304000_NS22TransformInputIteratorIb7NonZeroIsEPslEEPllNS8_6detail34convert_binary_result_type_wrapperINS8_3SumESD_lEEEE10hipError_tPvRmT1_T2_T3_mT4_P12ihipStream_tbEUlT_E0_NS1_11comp_targetILNS1_3genE10ELNS1_11target_archE1200ELNS1_3gpuE4ELNS1_3repE0EEENS1_30default_config_static_selectorELNS0_4arch9wavefront6targetE0EEEvSM_
    .private_segment_fixed_size: 0
    .sgpr_count:     0
    .sgpr_spill_count: 0
    .symbol:         _ZN7rocprim17ROCPRIM_400000_NS6detail17trampoline_kernelINS0_14default_configENS1_22reduce_config_selectorIbEEZNS1_11reduce_implILb1ES3_N6hipcub16HIPCUB_304000_NS22TransformInputIteratorIb7NonZeroIsEPslEEPllNS8_6detail34convert_binary_result_type_wrapperINS8_3SumESD_lEEEE10hipError_tPvRmT1_T2_T3_mT4_P12ihipStream_tbEUlT_E0_NS1_11comp_targetILNS1_3genE10ELNS1_11target_archE1200ELNS1_3gpuE4ELNS1_3repE0EEENS1_30default_config_static_selectorELNS0_4arch9wavefront6targetE0EEEvSM_.kd
    .uniform_work_group_size: 1
    .uses_dynamic_stack: false
    .vgpr_count:     0
    .vgpr_spill_count: 0
    .wavefront_size: 32
    .workgroup_processor_mode: 1
  - .args:
      - .offset:         0
        .size:           72
        .value_kind:     by_value
    .group_segment_fixed_size: 64
    .kernarg_segment_align: 8
    .kernarg_segment_size: 72
    .language:       OpenCL C
    .language_version:
      - 2
      - 0
    .max_flat_workgroup_size: 128
    .name:           _ZN7rocprim17ROCPRIM_400000_NS6detail17trampoline_kernelINS0_14default_configENS1_22reduce_config_selectorIbEEZNS1_11reduce_implILb1ES3_N6hipcub16HIPCUB_304000_NS22TransformInputIteratorIb7NonZeroIsEPslEEPllNS8_6detail34convert_binary_result_type_wrapperINS8_3SumESD_lEEEE10hipError_tPvRmT1_T2_T3_mT4_P12ihipStream_tbEUlT_E0_NS1_11comp_targetILNS1_3genE9ELNS1_11target_archE1100ELNS1_3gpuE3ELNS1_3repE0EEENS1_30default_config_static_selectorELNS0_4arch9wavefront6targetE0EEEvSM_
    .private_segment_fixed_size: 0
    .sgpr_count:     32
    .sgpr_spill_count: 0
    .symbol:         _ZN7rocprim17ROCPRIM_400000_NS6detail17trampoline_kernelINS0_14default_configENS1_22reduce_config_selectorIbEEZNS1_11reduce_implILb1ES3_N6hipcub16HIPCUB_304000_NS22TransformInputIteratorIb7NonZeroIsEPslEEPllNS8_6detail34convert_binary_result_type_wrapperINS8_3SumESD_lEEEE10hipError_tPvRmT1_T2_T3_mT4_P12ihipStream_tbEUlT_E0_NS1_11comp_targetILNS1_3genE9ELNS1_11target_archE1100ELNS1_3gpuE3ELNS1_3repE0EEENS1_30default_config_static_selectorELNS0_4arch9wavefront6targetE0EEEvSM_.kd
    .uniform_work_group_size: 1
    .uses_dynamic_stack: false
    .vgpr_count:     36
    .vgpr_spill_count: 0
    .wavefront_size: 32
    .workgroup_processor_mode: 1
  - .args:
      - .offset:         0
        .size:           72
        .value_kind:     by_value
    .group_segment_fixed_size: 0
    .kernarg_segment_align: 8
    .kernarg_segment_size: 72
    .language:       OpenCL C
    .language_version:
      - 2
      - 0
    .max_flat_workgroup_size: 256
    .name:           _ZN7rocprim17ROCPRIM_400000_NS6detail17trampoline_kernelINS0_14default_configENS1_22reduce_config_selectorIbEEZNS1_11reduce_implILb1ES3_N6hipcub16HIPCUB_304000_NS22TransformInputIteratorIb7NonZeroIsEPslEEPllNS8_6detail34convert_binary_result_type_wrapperINS8_3SumESD_lEEEE10hipError_tPvRmT1_T2_T3_mT4_P12ihipStream_tbEUlT_E0_NS1_11comp_targetILNS1_3genE8ELNS1_11target_archE1030ELNS1_3gpuE2ELNS1_3repE0EEENS1_30default_config_static_selectorELNS0_4arch9wavefront6targetE0EEEvSM_
    .private_segment_fixed_size: 0
    .sgpr_count:     0
    .sgpr_spill_count: 0
    .symbol:         _ZN7rocprim17ROCPRIM_400000_NS6detail17trampoline_kernelINS0_14default_configENS1_22reduce_config_selectorIbEEZNS1_11reduce_implILb1ES3_N6hipcub16HIPCUB_304000_NS22TransformInputIteratorIb7NonZeroIsEPslEEPllNS8_6detail34convert_binary_result_type_wrapperINS8_3SumESD_lEEEE10hipError_tPvRmT1_T2_T3_mT4_P12ihipStream_tbEUlT_E0_NS1_11comp_targetILNS1_3genE8ELNS1_11target_archE1030ELNS1_3gpuE2ELNS1_3repE0EEENS1_30default_config_static_selectorELNS0_4arch9wavefront6targetE0EEEvSM_.kd
    .uniform_work_group_size: 1
    .uses_dynamic_stack: false
    .vgpr_count:     0
    .vgpr_spill_count: 0
    .wavefront_size: 32
    .workgroup_processor_mode: 1
  - .args:
      - .offset:         0
        .size:           56
        .value_kind:     by_value
    .group_segment_fixed_size: 0
    .kernarg_segment_align: 8
    .kernarg_segment_size: 56
    .language:       OpenCL C
    .language_version:
      - 2
      - 0
    .max_flat_workgroup_size: 256
    .name:           _ZN7rocprim17ROCPRIM_400000_NS6detail17trampoline_kernelINS0_14default_configENS1_22reduce_config_selectorIbEEZNS1_11reduce_implILb1ES3_N6hipcub16HIPCUB_304000_NS22TransformInputIteratorIb7NonZeroIsEPslEEPllNS8_6detail34convert_binary_result_type_wrapperINS8_3SumESD_lEEEE10hipError_tPvRmT1_T2_T3_mT4_P12ihipStream_tbEUlT_E1_NS1_11comp_targetILNS1_3genE0ELNS1_11target_archE4294967295ELNS1_3gpuE0ELNS1_3repE0EEENS1_30default_config_static_selectorELNS0_4arch9wavefront6targetE0EEEvSM_
    .private_segment_fixed_size: 0
    .sgpr_count:     0
    .sgpr_spill_count: 0
    .symbol:         _ZN7rocprim17ROCPRIM_400000_NS6detail17trampoline_kernelINS0_14default_configENS1_22reduce_config_selectorIbEEZNS1_11reduce_implILb1ES3_N6hipcub16HIPCUB_304000_NS22TransformInputIteratorIb7NonZeroIsEPslEEPllNS8_6detail34convert_binary_result_type_wrapperINS8_3SumESD_lEEEE10hipError_tPvRmT1_T2_T3_mT4_P12ihipStream_tbEUlT_E1_NS1_11comp_targetILNS1_3genE0ELNS1_11target_archE4294967295ELNS1_3gpuE0ELNS1_3repE0EEENS1_30default_config_static_selectorELNS0_4arch9wavefront6targetE0EEEvSM_.kd
    .uniform_work_group_size: 1
    .uses_dynamic_stack: false
    .vgpr_count:     0
    .vgpr_spill_count: 0
    .wavefront_size: 32
    .workgroup_processor_mode: 1
  - .args:
      - .offset:         0
        .size:           56
        .value_kind:     by_value
    .group_segment_fixed_size: 0
    .kernarg_segment_align: 8
    .kernarg_segment_size: 56
    .language:       OpenCL C
    .language_version:
      - 2
      - 0
    .max_flat_workgroup_size: 256
    .name:           _ZN7rocprim17ROCPRIM_400000_NS6detail17trampoline_kernelINS0_14default_configENS1_22reduce_config_selectorIbEEZNS1_11reduce_implILb1ES3_N6hipcub16HIPCUB_304000_NS22TransformInputIteratorIb7NonZeroIsEPslEEPllNS8_6detail34convert_binary_result_type_wrapperINS8_3SumESD_lEEEE10hipError_tPvRmT1_T2_T3_mT4_P12ihipStream_tbEUlT_E1_NS1_11comp_targetILNS1_3genE5ELNS1_11target_archE942ELNS1_3gpuE9ELNS1_3repE0EEENS1_30default_config_static_selectorELNS0_4arch9wavefront6targetE0EEEvSM_
    .private_segment_fixed_size: 0
    .sgpr_count:     0
    .sgpr_spill_count: 0
    .symbol:         _ZN7rocprim17ROCPRIM_400000_NS6detail17trampoline_kernelINS0_14default_configENS1_22reduce_config_selectorIbEEZNS1_11reduce_implILb1ES3_N6hipcub16HIPCUB_304000_NS22TransformInputIteratorIb7NonZeroIsEPslEEPllNS8_6detail34convert_binary_result_type_wrapperINS8_3SumESD_lEEEE10hipError_tPvRmT1_T2_T3_mT4_P12ihipStream_tbEUlT_E1_NS1_11comp_targetILNS1_3genE5ELNS1_11target_archE942ELNS1_3gpuE9ELNS1_3repE0EEENS1_30default_config_static_selectorELNS0_4arch9wavefront6targetE0EEEvSM_.kd
    .uniform_work_group_size: 1
    .uses_dynamic_stack: false
    .vgpr_count:     0
    .vgpr_spill_count: 0
    .wavefront_size: 32
    .workgroup_processor_mode: 1
  - .args:
      - .offset:         0
        .size:           56
        .value_kind:     by_value
    .group_segment_fixed_size: 0
    .kernarg_segment_align: 8
    .kernarg_segment_size: 56
    .language:       OpenCL C
    .language_version:
      - 2
      - 0
    .max_flat_workgroup_size: 128
    .name:           _ZN7rocprim17ROCPRIM_400000_NS6detail17trampoline_kernelINS0_14default_configENS1_22reduce_config_selectorIbEEZNS1_11reduce_implILb1ES3_N6hipcub16HIPCUB_304000_NS22TransformInputIteratorIb7NonZeroIsEPslEEPllNS8_6detail34convert_binary_result_type_wrapperINS8_3SumESD_lEEEE10hipError_tPvRmT1_T2_T3_mT4_P12ihipStream_tbEUlT_E1_NS1_11comp_targetILNS1_3genE4ELNS1_11target_archE910ELNS1_3gpuE8ELNS1_3repE0EEENS1_30default_config_static_selectorELNS0_4arch9wavefront6targetE0EEEvSM_
    .private_segment_fixed_size: 0
    .sgpr_count:     0
    .sgpr_spill_count: 0
    .symbol:         _ZN7rocprim17ROCPRIM_400000_NS6detail17trampoline_kernelINS0_14default_configENS1_22reduce_config_selectorIbEEZNS1_11reduce_implILb1ES3_N6hipcub16HIPCUB_304000_NS22TransformInputIteratorIb7NonZeroIsEPslEEPllNS8_6detail34convert_binary_result_type_wrapperINS8_3SumESD_lEEEE10hipError_tPvRmT1_T2_T3_mT4_P12ihipStream_tbEUlT_E1_NS1_11comp_targetILNS1_3genE4ELNS1_11target_archE910ELNS1_3gpuE8ELNS1_3repE0EEENS1_30default_config_static_selectorELNS0_4arch9wavefront6targetE0EEEvSM_.kd
    .uniform_work_group_size: 1
    .uses_dynamic_stack: false
    .vgpr_count:     0
    .vgpr_spill_count: 0
    .wavefront_size: 32
    .workgroup_processor_mode: 1
  - .args:
      - .offset:         0
        .size:           56
        .value_kind:     by_value
    .group_segment_fixed_size: 0
    .kernarg_segment_align: 8
    .kernarg_segment_size: 56
    .language:       OpenCL C
    .language_version:
      - 2
      - 0
    .max_flat_workgroup_size: 256
    .name:           _ZN7rocprim17ROCPRIM_400000_NS6detail17trampoline_kernelINS0_14default_configENS1_22reduce_config_selectorIbEEZNS1_11reduce_implILb1ES3_N6hipcub16HIPCUB_304000_NS22TransformInputIteratorIb7NonZeroIsEPslEEPllNS8_6detail34convert_binary_result_type_wrapperINS8_3SumESD_lEEEE10hipError_tPvRmT1_T2_T3_mT4_P12ihipStream_tbEUlT_E1_NS1_11comp_targetILNS1_3genE3ELNS1_11target_archE908ELNS1_3gpuE7ELNS1_3repE0EEENS1_30default_config_static_selectorELNS0_4arch9wavefront6targetE0EEEvSM_
    .private_segment_fixed_size: 0
    .sgpr_count:     0
    .sgpr_spill_count: 0
    .symbol:         _ZN7rocprim17ROCPRIM_400000_NS6detail17trampoline_kernelINS0_14default_configENS1_22reduce_config_selectorIbEEZNS1_11reduce_implILb1ES3_N6hipcub16HIPCUB_304000_NS22TransformInputIteratorIb7NonZeroIsEPslEEPllNS8_6detail34convert_binary_result_type_wrapperINS8_3SumESD_lEEEE10hipError_tPvRmT1_T2_T3_mT4_P12ihipStream_tbEUlT_E1_NS1_11comp_targetILNS1_3genE3ELNS1_11target_archE908ELNS1_3gpuE7ELNS1_3repE0EEENS1_30default_config_static_selectorELNS0_4arch9wavefront6targetE0EEEvSM_.kd
    .uniform_work_group_size: 1
    .uses_dynamic_stack: false
    .vgpr_count:     0
    .vgpr_spill_count: 0
    .wavefront_size: 32
    .workgroup_processor_mode: 1
  - .args:
      - .offset:         0
        .size:           56
        .value_kind:     by_value
    .group_segment_fixed_size: 0
    .kernarg_segment_align: 8
    .kernarg_segment_size: 56
    .language:       OpenCL C
    .language_version:
      - 2
      - 0
    .max_flat_workgroup_size: 128
    .name:           _ZN7rocprim17ROCPRIM_400000_NS6detail17trampoline_kernelINS0_14default_configENS1_22reduce_config_selectorIbEEZNS1_11reduce_implILb1ES3_N6hipcub16HIPCUB_304000_NS22TransformInputIteratorIb7NonZeroIsEPslEEPllNS8_6detail34convert_binary_result_type_wrapperINS8_3SumESD_lEEEE10hipError_tPvRmT1_T2_T3_mT4_P12ihipStream_tbEUlT_E1_NS1_11comp_targetILNS1_3genE2ELNS1_11target_archE906ELNS1_3gpuE6ELNS1_3repE0EEENS1_30default_config_static_selectorELNS0_4arch9wavefront6targetE0EEEvSM_
    .private_segment_fixed_size: 0
    .sgpr_count:     0
    .sgpr_spill_count: 0
    .symbol:         _ZN7rocprim17ROCPRIM_400000_NS6detail17trampoline_kernelINS0_14default_configENS1_22reduce_config_selectorIbEEZNS1_11reduce_implILb1ES3_N6hipcub16HIPCUB_304000_NS22TransformInputIteratorIb7NonZeroIsEPslEEPllNS8_6detail34convert_binary_result_type_wrapperINS8_3SumESD_lEEEE10hipError_tPvRmT1_T2_T3_mT4_P12ihipStream_tbEUlT_E1_NS1_11comp_targetILNS1_3genE2ELNS1_11target_archE906ELNS1_3gpuE6ELNS1_3repE0EEENS1_30default_config_static_selectorELNS0_4arch9wavefront6targetE0EEEvSM_.kd
    .uniform_work_group_size: 1
    .uses_dynamic_stack: false
    .vgpr_count:     0
    .vgpr_spill_count: 0
    .wavefront_size: 32
    .workgroup_processor_mode: 1
  - .args:
      - .offset:         0
        .size:           56
        .value_kind:     by_value
    .group_segment_fixed_size: 0
    .kernarg_segment_align: 8
    .kernarg_segment_size: 56
    .language:       OpenCL C
    .language_version:
      - 2
      - 0
    .max_flat_workgroup_size: 256
    .name:           _ZN7rocprim17ROCPRIM_400000_NS6detail17trampoline_kernelINS0_14default_configENS1_22reduce_config_selectorIbEEZNS1_11reduce_implILb1ES3_N6hipcub16HIPCUB_304000_NS22TransformInputIteratorIb7NonZeroIsEPslEEPllNS8_6detail34convert_binary_result_type_wrapperINS8_3SumESD_lEEEE10hipError_tPvRmT1_T2_T3_mT4_P12ihipStream_tbEUlT_E1_NS1_11comp_targetILNS1_3genE10ELNS1_11target_archE1201ELNS1_3gpuE5ELNS1_3repE0EEENS1_30default_config_static_selectorELNS0_4arch9wavefront6targetE0EEEvSM_
    .private_segment_fixed_size: 0
    .sgpr_count:     0
    .sgpr_spill_count: 0
    .symbol:         _ZN7rocprim17ROCPRIM_400000_NS6detail17trampoline_kernelINS0_14default_configENS1_22reduce_config_selectorIbEEZNS1_11reduce_implILb1ES3_N6hipcub16HIPCUB_304000_NS22TransformInputIteratorIb7NonZeroIsEPslEEPllNS8_6detail34convert_binary_result_type_wrapperINS8_3SumESD_lEEEE10hipError_tPvRmT1_T2_T3_mT4_P12ihipStream_tbEUlT_E1_NS1_11comp_targetILNS1_3genE10ELNS1_11target_archE1201ELNS1_3gpuE5ELNS1_3repE0EEENS1_30default_config_static_selectorELNS0_4arch9wavefront6targetE0EEEvSM_.kd
    .uniform_work_group_size: 1
    .uses_dynamic_stack: false
    .vgpr_count:     0
    .vgpr_spill_count: 0
    .wavefront_size: 32
    .workgroup_processor_mode: 1
  - .args:
      - .offset:         0
        .size:           56
        .value_kind:     by_value
    .group_segment_fixed_size: 0
    .kernarg_segment_align: 8
    .kernarg_segment_size: 56
    .language:       OpenCL C
    .language_version:
      - 2
      - 0
    .max_flat_workgroup_size: 256
    .name:           _ZN7rocprim17ROCPRIM_400000_NS6detail17trampoline_kernelINS0_14default_configENS1_22reduce_config_selectorIbEEZNS1_11reduce_implILb1ES3_N6hipcub16HIPCUB_304000_NS22TransformInputIteratorIb7NonZeroIsEPslEEPllNS8_6detail34convert_binary_result_type_wrapperINS8_3SumESD_lEEEE10hipError_tPvRmT1_T2_T3_mT4_P12ihipStream_tbEUlT_E1_NS1_11comp_targetILNS1_3genE10ELNS1_11target_archE1200ELNS1_3gpuE4ELNS1_3repE0EEENS1_30default_config_static_selectorELNS0_4arch9wavefront6targetE0EEEvSM_
    .private_segment_fixed_size: 0
    .sgpr_count:     0
    .sgpr_spill_count: 0
    .symbol:         _ZN7rocprim17ROCPRIM_400000_NS6detail17trampoline_kernelINS0_14default_configENS1_22reduce_config_selectorIbEEZNS1_11reduce_implILb1ES3_N6hipcub16HIPCUB_304000_NS22TransformInputIteratorIb7NonZeroIsEPslEEPllNS8_6detail34convert_binary_result_type_wrapperINS8_3SumESD_lEEEE10hipError_tPvRmT1_T2_T3_mT4_P12ihipStream_tbEUlT_E1_NS1_11comp_targetILNS1_3genE10ELNS1_11target_archE1200ELNS1_3gpuE4ELNS1_3repE0EEENS1_30default_config_static_selectorELNS0_4arch9wavefront6targetE0EEEvSM_.kd
    .uniform_work_group_size: 1
    .uses_dynamic_stack: false
    .vgpr_count:     0
    .vgpr_spill_count: 0
    .wavefront_size: 32
    .workgroup_processor_mode: 1
  - .args:
      - .offset:         0
        .size:           56
        .value_kind:     by_value
    .group_segment_fixed_size: 288
    .kernarg_segment_align: 8
    .kernarg_segment_size: 56
    .language:       OpenCL C
    .language_version:
      - 2
      - 0
    .max_flat_workgroup_size: 128
    .name:           _ZN7rocprim17ROCPRIM_400000_NS6detail17trampoline_kernelINS0_14default_configENS1_22reduce_config_selectorIbEEZNS1_11reduce_implILb1ES3_N6hipcub16HIPCUB_304000_NS22TransformInputIteratorIb7NonZeroIsEPslEEPllNS8_6detail34convert_binary_result_type_wrapperINS8_3SumESD_lEEEE10hipError_tPvRmT1_T2_T3_mT4_P12ihipStream_tbEUlT_E1_NS1_11comp_targetILNS1_3genE9ELNS1_11target_archE1100ELNS1_3gpuE3ELNS1_3repE0EEENS1_30default_config_static_selectorELNS0_4arch9wavefront6targetE0EEEvSM_
    .private_segment_fixed_size: 20
    .sgpr_count:     31
    .sgpr_spill_count: 0
    .symbol:         _ZN7rocprim17ROCPRIM_400000_NS6detail17trampoline_kernelINS0_14default_configENS1_22reduce_config_selectorIbEEZNS1_11reduce_implILb1ES3_N6hipcub16HIPCUB_304000_NS22TransformInputIteratorIb7NonZeroIsEPslEEPllNS8_6detail34convert_binary_result_type_wrapperINS8_3SumESD_lEEEE10hipError_tPvRmT1_T2_T3_mT4_P12ihipStream_tbEUlT_E1_NS1_11comp_targetILNS1_3genE9ELNS1_11target_archE1100ELNS1_3gpuE3ELNS1_3repE0EEENS1_30default_config_static_selectorELNS0_4arch9wavefront6targetE0EEEvSM_.kd
    .uniform_work_group_size: 1
    .uses_dynamic_stack: false
    .vgpr_count:     256
    .vgpr_spill_count: 6
    .wavefront_size: 32
    .workgroup_processor_mode: 1
  - .args:
      - .offset:         0
        .size:           56
        .value_kind:     by_value
    .group_segment_fixed_size: 0
    .kernarg_segment_align: 8
    .kernarg_segment_size: 56
    .language:       OpenCL C
    .language_version:
      - 2
      - 0
    .max_flat_workgroup_size: 256
    .name:           _ZN7rocprim17ROCPRIM_400000_NS6detail17trampoline_kernelINS0_14default_configENS1_22reduce_config_selectorIbEEZNS1_11reduce_implILb1ES3_N6hipcub16HIPCUB_304000_NS22TransformInputIteratorIb7NonZeroIsEPslEEPllNS8_6detail34convert_binary_result_type_wrapperINS8_3SumESD_lEEEE10hipError_tPvRmT1_T2_T3_mT4_P12ihipStream_tbEUlT_E1_NS1_11comp_targetILNS1_3genE8ELNS1_11target_archE1030ELNS1_3gpuE2ELNS1_3repE0EEENS1_30default_config_static_selectorELNS0_4arch9wavefront6targetE0EEEvSM_
    .private_segment_fixed_size: 0
    .sgpr_count:     0
    .sgpr_spill_count: 0
    .symbol:         _ZN7rocprim17ROCPRIM_400000_NS6detail17trampoline_kernelINS0_14default_configENS1_22reduce_config_selectorIbEEZNS1_11reduce_implILb1ES3_N6hipcub16HIPCUB_304000_NS22TransformInputIteratorIb7NonZeroIsEPslEEPllNS8_6detail34convert_binary_result_type_wrapperINS8_3SumESD_lEEEE10hipError_tPvRmT1_T2_T3_mT4_P12ihipStream_tbEUlT_E1_NS1_11comp_targetILNS1_3genE8ELNS1_11target_archE1030ELNS1_3gpuE2ELNS1_3repE0EEENS1_30default_config_static_selectorELNS0_4arch9wavefront6targetE0EEEvSM_.kd
    .uniform_work_group_size: 1
    .uses_dynamic_stack: false
    .vgpr_count:     0
    .vgpr_spill_count: 0
    .wavefront_size: 32
    .workgroup_processor_mode: 1
  - .args:
      - .offset:         0
        .size:           120
        .value_kind:     by_value
    .group_segment_fixed_size: 0
    .kernarg_segment_align: 8
    .kernarg_segment_size: 120
    .language:       OpenCL C
    .language_version:
      - 2
      - 0
    .max_flat_workgroup_size: 128
    .name:           _ZN7rocprim17ROCPRIM_400000_NS6detail17trampoline_kernelINS0_14default_configENS1_25partition_config_selectorILNS1_17partition_subalgoE5ElNS0_10empty_typeEbEEZZNS1_14partition_implILS5_5ELb0ES3_mN6hipcub16HIPCUB_304000_NS21CountingInputIteratorIllEEPS6_NSA_22TransformInputIteratorIb7NonZeroIsEPslEENS0_5tupleIJPlS6_EEENSJ_IJSD_SD_EEES6_SK_JS6_EEE10hipError_tPvRmT3_T4_T5_T6_T7_T9_mT8_P12ihipStream_tbDpT10_ENKUlT_T0_E_clISt17integral_constantIbLb0EES16_EEDaS11_S12_EUlS11_E_NS1_11comp_targetILNS1_3genE0ELNS1_11target_archE4294967295ELNS1_3gpuE0ELNS1_3repE0EEENS1_30default_config_static_selectorELNS0_4arch9wavefront6targetE0EEEvT1_
    .private_segment_fixed_size: 0
    .sgpr_count:     0
    .sgpr_spill_count: 0
    .symbol:         _ZN7rocprim17ROCPRIM_400000_NS6detail17trampoline_kernelINS0_14default_configENS1_25partition_config_selectorILNS1_17partition_subalgoE5ElNS0_10empty_typeEbEEZZNS1_14partition_implILS5_5ELb0ES3_mN6hipcub16HIPCUB_304000_NS21CountingInputIteratorIllEEPS6_NSA_22TransformInputIteratorIb7NonZeroIsEPslEENS0_5tupleIJPlS6_EEENSJ_IJSD_SD_EEES6_SK_JS6_EEE10hipError_tPvRmT3_T4_T5_T6_T7_T9_mT8_P12ihipStream_tbDpT10_ENKUlT_T0_E_clISt17integral_constantIbLb0EES16_EEDaS11_S12_EUlS11_E_NS1_11comp_targetILNS1_3genE0ELNS1_11target_archE4294967295ELNS1_3gpuE0ELNS1_3repE0EEENS1_30default_config_static_selectorELNS0_4arch9wavefront6targetE0EEEvT1_.kd
    .uniform_work_group_size: 1
    .uses_dynamic_stack: false
    .vgpr_count:     0
    .vgpr_spill_count: 0
    .wavefront_size: 32
    .workgroup_processor_mode: 1
  - .args:
      - .offset:         0
        .size:           120
        .value_kind:     by_value
    .group_segment_fixed_size: 0
    .kernarg_segment_align: 8
    .kernarg_segment_size: 120
    .language:       OpenCL C
    .language_version:
      - 2
      - 0
    .max_flat_workgroup_size: 512
    .name:           _ZN7rocprim17ROCPRIM_400000_NS6detail17trampoline_kernelINS0_14default_configENS1_25partition_config_selectorILNS1_17partition_subalgoE5ElNS0_10empty_typeEbEEZZNS1_14partition_implILS5_5ELb0ES3_mN6hipcub16HIPCUB_304000_NS21CountingInputIteratorIllEEPS6_NSA_22TransformInputIteratorIb7NonZeroIsEPslEENS0_5tupleIJPlS6_EEENSJ_IJSD_SD_EEES6_SK_JS6_EEE10hipError_tPvRmT3_T4_T5_T6_T7_T9_mT8_P12ihipStream_tbDpT10_ENKUlT_T0_E_clISt17integral_constantIbLb0EES16_EEDaS11_S12_EUlS11_E_NS1_11comp_targetILNS1_3genE5ELNS1_11target_archE942ELNS1_3gpuE9ELNS1_3repE0EEENS1_30default_config_static_selectorELNS0_4arch9wavefront6targetE0EEEvT1_
    .private_segment_fixed_size: 0
    .sgpr_count:     0
    .sgpr_spill_count: 0
    .symbol:         _ZN7rocprim17ROCPRIM_400000_NS6detail17trampoline_kernelINS0_14default_configENS1_25partition_config_selectorILNS1_17partition_subalgoE5ElNS0_10empty_typeEbEEZZNS1_14partition_implILS5_5ELb0ES3_mN6hipcub16HIPCUB_304000_NS21CountingInputIteratorIllEEPS6_NSA_22TransformInputIteratorIb7NonZeroIsEPslEENS0_5tupleIJPlS6_EEENSJ_IJSD_SD_EEES6_SK_JS6_EEE10hipError_tPvRmT3_T4_T5_T6_T7_T9_mT8_P12ihipStream_tbDpT10_ENKUlT_T0_E_clISt17integral_constantIbLb0EES16_EEDaS11_S12_EUlS11_E_NS1_11comp_targetILNS1_3genE5ELNS1_11target_archE942ELNS1_3gpuE9ELNS1_3repE0EEENS1_30default_config_static_selectorELNS0_4arch9wavefront6targetE0EEEvT1_.kd
    .uniform_work_group_size: 1
    .uses_dynamic_stack: false
    .vgpr_count:     0
    .vgpr_spill_count: 0
    .wavefront_size: 32
    .workgroup_processor_mode: 1
  - .args:
      - .offset:         0
        .size:           120
        .value_kind:     by_value
    .group_segment_fixed_size: 0
    .kernarg_segment_align: 8
    .kernarg_segment_size: 120
    .language:       OpenCL C
    .language_version:
      - 2
      - 0
    .max_flat_workgroup_size: 192
    .name:           _ZN7rocprim17ROCPRIM_400000_NS6detail17trampoline_kernelINS0_14default_configENS1_25partition_config_selectorILNS1_17partition_subalgoE5ElNS0_10empty_typeEbEEZZNS1_14partition_implILS5_5ELb0ES3_mN6hipcub16HIPCUB_304000_NS21CountingInputIteratorIllEEPS6_NSA_22TransformInputIteratorIb7NonZeroIsEPslEENS0_5tupleIJPlS6_EEENSJ_IJSD_SD_EEES6_SK_JS6_EEE10hipError_tPvRmT3_T4_T5_T6_T7_T9_mT8_P12ihipStream_tbDpT10_ENKUlT_T0_E_clISt17integral_constantIbLb0EES16_EEDaS11_S12_EUlS11_E_NS1_11comp_targetILNS1_3genE4ELNS1_11target_archE910ELNS1_3gpuE8ELNS1_3repE0EEENS1_30default_config_static_selectorELNS0_4arch9wavefront6targetE0EEEvT1_
    .private_segment_fixed_size: 0
    .sgpr_count:     0
    .sgpr_spill_count: 0
    .symbol:         _ZN7rocprim17ROCPRIM_400000_NS6detail17trampoline_kernelINS0_14default_configENS1_25partition_config_selectorILNS1_17partition_subalgoE5ElNS0_10empty_typeEbEEZZNS1_14partition_implILS5_5ELb0ES3_mN6hipcub16HIPCUB_304000_NS21CountingInputIteratorIllEEPS6_NSA_22TransformInputIteratorIb7NonZeroIsEPslEENS0_5tupleIJPlS6_EEENSJ_IJSD_SD_EEES6_SK_JS6_EEE10hipError_tPvRmT3_T4_T5_T6_T7_T9_mT8_P12ihipStream_tbDpT10_ENKUlT_T0_E_clISt17integral_constantIbLb0EES16_EEDaS11_S12_EUlS11_E_NS1_11comp_targetILNS1_3genE4ELNS1_11target_archE910ELNS1_3gpuE8ELNS1_3repE0EEENS1_30default_config_static_selectorELNS0_4arch9wavefront6targetE0EEEvT1_.kd
    .uniform_work_group_size: 1
    .uses_dynamic_stack: false
    .vgpr_count:     0
    .vgpr_spill_count: 0
    .wavefront_size: 32
    .workgroup_processor_mode: 1
  - .args:
      - .offset:         0
        .size:           120
        .value_kind:     by_value
    .group_segment_fixed_size: 0
    .kernarg_segment_align: 8
    .kernarg_segment_size: 120
    .language:       OpenCL C
    .language_version:
      - 2
      - 0
    .max_flat_workgroup_size: 128
    .name:           _ZN7rocprim17ROCPRIM_400000_NS6detail17trampoline_kernelINS0_14default_configENS1_25partition_config_selectorILNS1_17partition_subalgoE5ElNS0_10empty_typeEbEEZZNS1_14partition_implILS5_5ELb0ES3_mN6hipcub16HIPCUB_304000_NS21CountingInputIteratorIllEEPS6_NSA_22TransformInputIteratorIb7NonZeroIsEPslEENS0_5tupleIJPlS6_EEENSJ_IJSD_SD_EEES6_SK_JS6_EEE10hipError_tPvRmT3_T4_T5_T6_T7_T9_mT8_P12ihipStream_tbDpT10_ENKUlT_T0_E_clISt17integral_constantIbLb0EES16_EEDaS11_S12_EUlS11_E_NS1_11comp_targetILNS1_3genE3ELNS1_11target_archE908ELNS1_3gpuE7ELNS1_3repE0EEENS1_30default_config_static_selectorELNS0_4arch9wavefront6targetE0EEEvT1_
    .private_segment_fixed_size: 0
    .sgpr_count:     0
    .sgpr_spill_count: 0
    .symbol:         _ZN7rocprim17ROCPRIM_400000_NS6detail17trampoline_kernelINS0_14default_configENS1_25partition_config_selectorILNS1_17partition_subalgoE5ElNS0_10empty_typeEbEEZZNS1_14partition_implILS5_5ELb0ES3_mN6hipcub16HIPCUB_304000_NS21CountingInputIteratorIllEEPS6_NSA_22TransformInputIteratorIb7NonZeroIsEPslEENS0_5tupleIJPlS6_EEENSJ_IJSD_SD_EEES6_SK_JS6_EEE10hipError_tPvRmT3_T4_T5_T6_T7_T9_mT8_P12ihipStream_tbDpT10_ENKUlT_T0_E_clISt17integral_constantIbLb0EES16_EEDaS11_S12_EUlS11_E_NS1_11comp_targetILNS1_3genE3ELNS1_11target_archE908ELNS1_3gpuE7ELNS1_3repE0EEENS1_30default_config_static_selectorELNS0_4arch9wavefront6targetE0EEEvT1_.kd
    .uniform_work_group_size: 1
    .uses_dynamic_stack: false
    .vgpr_count:     0
    .vgpr_spill_count: 0
    .wavefront_size: 32
    .workgroup_processor_mode: 1
  - .args:
      - .offset:         0
        .size:           120
        .value_kind:     by_value
    .group_segment_fixed_size: 0
    .kernarg_segment_align: 8
    .kernarg_segment_size: 120
    .language:       OpenCL C
    .language_version:
      - 2
      - 0
    .max_flat_workgroup_size: 256
    .name:           _ZN7rocprim17ROCPRIM_400000_NS6detail17trampoline_kernelINS0_14default_configENS1_25partition_config_selectorILNS1_17partition_subalgoE5ElNS0_10empty_typeEbEEZZNS1_14partition_implILS5_5ELb0ES3_mN6hipcub16HIPCUB_304000_NS21CountingInputIteratorIllEEPS6_NSA_22TransformInputIteratorIb7NonZeroIsEPslEENS0_5tupleIJPlS6_EEENSJ_IJSD_SD_EEES6_SK_JS6_EEE10hipError_tPvRmT3_T4_T5_T6_T7_T9_mT8_P12ihipStream_tbDpT10_ENKUlT_T0_E_clISt17integral_constantIbLb0EES16_EEDaS11_S12_EUlS11_E_NS1_11comp_targetILNS1_3genE2ELNS1_11target_archE906ELNS1_3gpuE6ELNS1_3repE0EEENS1_30default_config_static_selectorELNS0_4arch9wavefront6targetE0EEEvT1_
    .private_segment_fixed_size: 0
    .sgpr_count:     0
    .sgpr_spill_count: 0
    .symbol:         _ZN7rocprim17ROCPRIM_400000_NS6detail17trampoline_kernelINS0_14default_configENS1_25partition_config_selectorILNS1_17partition_subalgoE5ElNS0_10empty_typeEbEEZZNS1_14partition_implILS5_5ELb0ES3_mN6hipcub16HIPCUB_304000_NS21CountingInputIteratorIllEEPS6_NSA_22TransformInputIteratorIb7NonZeroIsEPslEENS0_5tupleIJPlS6_EEENSJ_IJSD_SD_EEES6_SK_JS6_EEE10hipError_tPvRmT3_T4_T5_T6_T7_T9_mT8_P12ihipStream_tbDpT10_ENKUlT_T0_E_clISt17integral_constantIbLb0EES16_EEDaS11_S12_EUlS11_E_NS1_11comp_targetILNS1_3genE2ELNS1_11target_archE906ELNS1_3gpuE6ELNS1_3repE0EEENS1_30default_config_static_selectorELNS0_4arch9wavefront6targetE0EEEvT1_.kd
    .uniform_work_group_size: 1
    .uses_dynamic_stack: false
    .vgpr_count:     0
    .vgpr_spill_count: 0
    .wavefront_size: 32
    .workgroup_processor_mode: 1
  - .args:
      - .offset:         0
        .size:           120
        .value_kind:     by_value
    .group_segment_fixed_size: 0
    .kernarg_segment_align: 8
    .kernarg_segment_size: 120
    .language:       OpenCL C
    .language_version:
      - 2
      - 0
    .max_flat_workgroup_size: 256
    .name:           _ZN7rocprim17ROCPRIM_400000_NS6detail17trampoline_kernelINS0_14default_configENS1_25partition_config_selectorILNS1_17partition_subalgoE5ElNS0_10empty_typeEbEEZZNS1_14partition_implILS5_5ELb0ES3_mN6hipcub16HIPCUB_304000_NS21CountingInputIteratorIllEEPS6_NSA_22TransformInputIteratorIb7NonZeroIsEPslEENS0_5tupleIJPlS6_EEENSJ_IJSD_SD_EEES6_SK_JS6_EEE10hipError_tPvRmT3_T4_T5_T6_T7_T9_mT8_P12ihipStream_tbDpT10_ENKUlT_T0_E_clISt17integral_constantIbLb0EES16_EEDaS11_S12_EUlS11_E_NS1_11comp_targetILNS1_3genE10ELNS1_11target_archE1200ELNS1_3gpuE4ELNS1_3repE0EEENS1_30default_config_static_selectorELNS0_4arch9wavefront6targetE0EEEvT1_
    .private_segment_fixed_size: 0
    .sgpr_count:     0
    .sgpr_spill_count: 0
    .symbol:         _ZN7rocprim17ROCPRIM_400000_NS6detail17trampoline_kernelINS0_14default_configENS1_25partition_config_selectorILNS1_17partition_subalgoE5ElNS0_10empty_typeEbEEZZNS1_14partition_implILS5_5ELb0ES3_mN6hipcub16HIPCUB_304000_NS21CountingInputIteratorIllEEPS6_NSA_22TransformInputIteratorIb7NonZeroIsEPslEENS0_5tupleIJPlS6_EEENSJ_IJSD_SD_EEES6_SK_JS6_EEE10hipError_tPvRmT3_T4_T5_T6_T7_T9_mT8_P12ihipStream_tbDpT10_ENKUlT_T0_E_clISt17integral_constantIbLb0EES16_EEDaS11_S12_EUlS11_E_NS1_11comp_targetILNS1_3genE10ELNS1_11target_archE1200ELNS1_3gpuE4ELNS1_3repE0EEENS1_30default_config_static_selectorELNS0_4arch9wavefront6targetE0EEEvT1_.kd
    .uniform_work_group_size: 1
    .uses_dynamic_stack: false
    .vgpr_count:     0
    .vgpr_spill_count: 0
    .wavefront_size: 32
    .workgroup_processor_mode: 1
  - .args:
      - .offset:         0
        .size:           120
        .value_kind:     by_value
    .group_segment_fixed_size: 6160
    .kernarg_segment_align: 8
    .kernarg_segment_size: 120
    .language:       OpenCL C
    .language_version:
      - 2
      - 0
    .max_flat_workgroup_size: 128
    .name:           _ZN7rocprim17ROCPRIM_400000_NS6detail17trampoline_kernelINS0_14default_configENS1_25partition_config_selectorILNS1_17partition_subalgoE5ElNS0_10empty_typeEbEEZZNS1_14partition_implILS5_5ELb0ES3_mN6hipcub16HIPCUB_304000_NS21CountingInputIteratorIllEEPS6_NSA_22TransformInputIteratorIb7NonZeroIsEPslEENS0_5tupleIJPlS6_EEENSJ_IJSD_SD_EEES6_SK_JS6_EEE10hipError_tPvRmT3_T4_T5_T6_T7_T9_mT8_P12ihipStream_tbDpT10_ENKUlT_T0_E_clISt17integral_constantIbLb0EES16_EEDaS11_S12_EUlS11_E_NS1_11comp_targetILNS1_3genE9ELNS1_11target_archE1100ELNS1_3gpuE3ELNS1_3repE0EEENS1_30default_config_static_selectorELNS0_4arch9wavefront6targetE0EEEvT1_
    .private_segment_fixed_size: 0
    .sgpr_count:     23
    .sgpr_spill_count: 0
    .symbol:         _ZN7rocprim17ROCPRIM_400000_NS6detail17trampoline_kernelINS0_14default_configENS1_25partition_config_selectorILNS1_17partition_subalgoE5ElNS0_10empty_typeEbEEZZNS1_14partition_implILS5_5ELb0ES3_mN6hipcub16HIPCUB_304000_NS21CountingInputIteratorIllEEPS6_NSA_22TransformInputIteratorIb7NonZeroIsEPslEENS0_5tupleIJPlS6_EEENSJ_IJSD_SD_EEES6_SK_JS6_EEE10hipError_tPvRmT3_T4_T5_T6_T7_T9_mT8_P12ihipStream_tbDpT10_ENKUlT_T0_E_clISt17integral_constantIbLb0EES16_EEDaS11_S12_EUlS11_E_NS1_11comp_targetILNS1_3genE9ELNS1_11target_archE1100ELNS1_3gpuE3ELNS1_3repE0EEENS1_30default_config_static_selectorELNS0_4arch9wavefront6targetE0EEEvT1_.kd
    .uniform_work_group_size: 1
    .uses_dynamic_stack: false
    .vgpr_count:     57
    .vgpr_spill_count: 0
    .wavefront_size: 32
    .workgroup_processor_mode: 1
  - .args:
      - .offset:         0
        .size:           120
        .value_kind:     by_value
    .group_segment_fixed_size: 0
    .kernarg_segment_align: 8
    .kernarg_segment_size: 120
    .language:       OpenCL C
    .language_version:
      - 2
      - 0
    .max_flat_workgroup_size: 512
    .name:           _ZN7rocprim17ROCPRIM_400000_NS6detail17trampoline_kernelINS0_14default_configENS1_25partition_config_selectorILNS1_17partition_subalgoE5ElNS0_10empty_typeEbEEZZNS1_14partition_implILS5_5ELb0ES3_mN6hipcub16HIPCUB_304000_NS21CountingInputIteratorIllEEPS6_NSA_22TransformInputIteratorIb7NonZeroIsEPslEENS0_5tupleIJPlS6_EEENSJ_IJSD_SD_EEES6_SK_JS6_EEE10hipError_tPvRmT3_T4_T5_T6_T7_T9_mT8_P12ihipStream_tbDpT10_ENKUlT_T0_E_clISt17integral_constantIbLb0EES16_EEDaS11_S12_EUlS11_E_NS1_11comp_targetILNS1_3genE8ELNS1_11target_archE1030ELNS1_3gpuE2ELNS1_3repE0EEENS1_30default_config_static_selectorELNS0_4arch9wavefront6targetE0EEEvT1_
    .private_segment_fixed_size: 0
    .sgpr_count:     0
    .sgpr_spill_count: 0
    .symbol:         _ZN7rocprim17ROCPRIM_400000_NS6detail17trampoline_kernelINS0_14default_configENS1_25partition_config_selectorILNS1_17partition_subalgoE5ElNS0_10empty_typeEbEEZZNS1_14partition_implILS5_5ELb0ES3_mN6hipcub16HIPCUB_304000_NS21CountingInputIteratorIllEEPS6_NSA_22TransformInputIteratorIb7NonZeroIsEPslEENS0_5tupleIJPlS6_EEENSJ_IJSD_SD_EEES6_SK_JS6_EEE10hipError_tPvRmT3_T4_T5_T6_T7_T9_mT8_P12ihipStream_tbDpT10_ENKUlT_T0_E_clISt17integral_constantIbLb0EES16_EEDaS11_S12_EUlS11_E_NS1_11comp_targetILNS1_3genE8ELNS1_11target_archE1030ELNS1_3gpuE2ELNS1_3repE0EEENS1_30default_config_static_selectorELNS0_4arch9wavefront6targetE0EEEvT1_.kd
    .uniform_work_group_size: 1
    .uses_dynamic_stack: false
    .vgpr_count:     0
    .vgpr_spill_count: 0
    .wavefront_size: 32
    .workgroup_processor_mode: 1
  - .args:
      - .offset:         0
        .size:           136
        .value_kind:     by_value
    .group_segment_fixed_size: 0
    .kernarg_segment_align: 8
    .kernarg_segment_size: 136
    .language:       OpenCL C
    .language_version:
      - 2
      - 0
    .max_flat_workgroup_size: 128
    .name:           _ZN7rocprim17ROCPRIM_400000_NS6detail17trampoline_kernelINS0_14default_configENS1_25partition_config_selectorILNS1_17partition_subalgoE5ElNS0_10empty_typeEbEEZZNS1_14partition_implILS5_5ELb0ES3_mN6hipcub16HIPCUB_304000_NS21CountingInputIteratorIllEEPS6_NSA_22TransformInputIteratorIb7NonZeroIsEPslEENS0_5tupleIJPlS6_EEENSJ_IJSD_SD_EEES6_SK_JS6_EEE10hipError_tPvRmT3_T4_T5_T6_T7_T9_mT8_P12ihipStream_tbDpT10_ENKUlT_T0_E_clISt17integral_constantIbLb1EES16_EEDaS11_S12_EUlS11_E_NS1_11comp_targetILNS1_3genE0ELNS1_11target_archE4294967295ELNS1_3gpuE0ELNS1_3repE0EEENS1_30default_config_static_selectorELNS0_4arch9wavefront6targetE0EEEvT1_
    .private_segment_fixed_size: 0
    .sgpr_count:     0
    .sgpr_spill_count: 0
    .symbol:         _ZN7rocprim17ROCPRIM_400000_NS6detail17trampoline_kernelINS0_14default_configENS1_25partition_config_selectorILNS1_17partition_subalgoE5ElNS0_10empty_typeEbEEZZNS1_14partition_implILS5_5ELb0ES3_mN6hipcub16HIPCUB_304000_NS21CountingInputIteratorIllEEPS6_NSA_22TransformInputIteratorIb7NonZeroIsEPslEENS0_5tupleIJPlS6_EEENSJ_IJSD_SD_EEES6_SK_JS6_EEE10hipError_tPvRmT3_T4_T5_T6_T7_T9_mT8_P12ihipStream_tbDpT10_ENKUlT_T0_E_clISt17integral_constantIbLb1EES16_EEDaS11_S12_EUlS11_E_NS1_11comp_targetILNS1_3genE0ELNS1_11target_archE4294967295ELNS1_3gpuE0ELNS1_3repE0EEENS1_30default_config_static_selectorELNS0_4arch9wavefront6targetE0EEEvT1_.kd
    .uniform_work_group_size: 1
    .uses_dynamic_stack: false
    .vgpr_count:     0
    .vgpr_spill_count: 0
    .wavefront_size: 32
    .workgroup_processor_mode: 1
  - .args:
      - .offset:         0
        .size:           136
        .value_kind:     by_value
    .group_segment_fixed_size: 0
    .kernarg_segment_align: 8
    .kernarg_segment_size: 136
    .language:       OpenCL C
    .language_version:
      - 2
      - 0
    .max_flat_workgroup_size: 512
    .name:           _ZN7rocprim17ROCPRIM_400000_NS6detail17trampoline_kernelINS0_14default_configENS1_25partition_config_selectorILNS1_17partition_subalgoE5ElNS0_10empty_typeEbEEZZNS1_14partition_implILS5_5ELb0ES3_mN6hipcub16HIPCUB_304000_NS21CountingInputIteratorIllEEPS6_NSA_22TransformInputIteratorIb7NonZeroIsEPslEENS0_5tupleIJPlS6_EEENSJ_IJSD_SD_EEES6_SK_JS6_EEE10hipError_tPvRmT3_T4_T5_T6_T7_T9_mT8_P12ihipStream_tbDpT10_ENKUlT_T0_E_clISt17integral_constantIbLb1EES16_EEDaS11_S12_EUlS11_E_NS1_11comp_targetILNS1_3genE5ELNS1_11target_archE942ELNS1_3gpuE9ELNS1_3repE0EEENS1_30default_config_static_selectorELNS0_4arch9wavefront6targetE0EEEvT1_
    .private_segment_fixed_size: 0
    .sgpr_count:     0
    .sgpr_spill_count: 0
    .symbol:         _ZN7rocprim17ROCPRIM_400000_NS6detail17trampoline_kernelINS0_14default_configENS1_25partition_config_selectorILNS1_17partition_subalgoE5ElNS0_10empty_typeEbEEZZNS1_14partition_implILS5_5ELb0ES3_mN6hipcub16HIPCUB_304000_NS21CountingInputIteratorIllEEPS6_NSA_22TransformInputIteratorIb7NonZeroIsEPslEENS0_5tupleIJPlS6_EEENSJ_IJSD_SD_EEES6_SK_JS6_EEE10hipError_tPvRmT3_T4_T5_T6_T7_T9_mT8_P12ihipStream_tbDpT10_ENKUlT_T0_E_clISt17integral_constantIbLb1EES16_EEDaS11_S12_EUlS11_E_NS1_11comp_targetILNS1_3genE5ELNS1_11target_archE942ELNS1_3gpuE9ELNS1_3repE0EEENS1_30default_config_static_selectorELNS0_4arch9wavefront6targetE0EEEvT1_.kd
    .uniform_work_group_size: 1
    .uses_dynamic_stack: false
    .vgpr_count:     0
    .vgpr_spill_count: 0
    .wavefront_size: 32
    .workgroup_processor_mode: 1
  - .args:
      - .offset:         0
        .size:           136
        .value_kind:     by_value
    .group_segment_fixed_size: 0
    .kernarg_segment_align: 8
    .kernarg_segment_size: 136
    .language:       OpenCL C
    .language_version:
      - 2
      - 0
    .max_flat_workgroup_size: 192
    .name:           _ZN7rocprim17ROCPRIM_400000_NS6detail17trampoline_kernelINS0_14default_configENS1_25partition_config_selectorILNS1_17partition_subalgoE5ElNS0_10empty_typeEbEEZZNS1_14partition_implILS5_5ELb0ES3_mN6hipcub16HIPCUB_304000_NS21CountingInputIteratorIllEEPS6_NSA_22TransformInputIteratorIb7NonZeroIsEPslEENS0_5tupleIJPlS6_EEENSJ_IJSD_SD_EEES6_SK_JS6_EEE10hipError_tPvRmT3_T4_T5_T6_T7_T9_mT8_P12ihipStream_tbDpT10_ENKUlT_T0_E_clISt17integral_constantIbLb1EES16_EEDaS11_S12_EUlS11_E_NS1_11comp_targetILNS1_3genE4ELNS1_11target_archE910ELNS1_3gpuE8ELNS1_3repE0EEENS1_30default_config_static_selectorELNS0_4arch9wavefront6targetE0EEEvT1_
    .private_segment_fixed_size: 0
    .sgpr_count:     0
    .sgpr_spill_count: 0
    .symbol:         _ZN7rocprim17ROCPRIM_400000_NS6detail17trampoline_kernelINS0_14default_configENS1_25partition_config_selectorILNS1_17partition_subalgoE5ElNS0_10empty_typeEbEEZZNS1_14partition_implILS5_5ELb0ES3_mN6hipcub16HIPCUB_304000_NS21CountingInputIteratorIllEEPS6_NSA_22TransformInputIteratorIb7NonZeroIsEPslEENS0_5tupleIJPlS6_EEENSJ_IJSD_SD_EEES6_SK_JS6_EEE10hipError_tPvRmT3_T4_T5_T6_T7_T9_mT8_P12ihipStream_tbDpT10_ENKUlT_T0_E_clISt17integral_constantIbLb1EES16_EEDaS11_S12_EUlS11_E_NS1_11comp_targetILNS1_3genE4ELNS1_11target_archE910ELNS1_3gpuE8ELNS1_3repE0EEENS1_30default_config_static_selectorELNS0_4arch9wavefront6targetE0EEEvT1_.kd
    .uniform_work_group_size: 1
    .uses_dynamic_stack: false
    .vgpr_count:     0
    .vgpr_spill_count: 0
    .wavefront_size: 32
    .workgroup_processor_mode: 1
  - .args:
      - .offset:         0
        .size:           136
        .value_kind:     by_value
    .group_segment_fixed_size: 0
    .kernarg_segment_align: 8
    .kernarg_segment_size: 136
    .language:       OpenCL C
    .language_version:
      - 2
      - 0
    .max_flat_workgroup_size: 128
    .name:           _ZN7rocprim17ROCPRIM_400000_NS6detail17trampoline_kernelINS0_14default_configENS1_25partition_config_selectorILNS1_17partition_subalgoE5ElNS0_10empty_typeEbEEZZNS1_14partition_implILS5_5ELb0ES3_mN6hipcub16HIPCUB_304000_NS21CountingInputIteratorIllEEPS6_NSA_22TransformInputIteratorIb7NonZeroIsEPslEENS0_5tupleIJPlS6_EEENSJ_IJSD_SD_EEES6_SK_JS6_EEE10hipError_tPvRmT3_T4_T5_T6_T7_T9_mT8_P12ihipStream_tbDpT10_ENKUlT_T0_E_clISt17integral_constantIbLb1EES16_EEDaS11_S12_EUlS11_E_NS1_11comp_targetILNS1_3genE3ELNS1_11target_archE908ELNS1_3gpuE7ELNS1_3repE0EEENS1_30default_config_static_selectorELNS0_4arch9wavefront6targetE0EEEvT1_
    .private_segment_fixed_size: 0
    .sgpr_count:     0
    .sgpr_spill_count: 0
    .symbol:         _ZN7rocprim17ROCPRIM_400000_NS6detail17trampoline_kernelINS0_14default_configENS1_25partition_config_selectorILNS1_17partition_subalgoE5ElNS0_10empty_typeEbEEZZNS1_14partition_implILS5_5ELb0ES3_mN6hipcub16HIPCUB_304000_NS21CountingInputIteratorIllEEPS6_NSA_22TransformInputIteratorIb7NonZeroIsEPslEENS0_5tupleIJPlS6_EEENSJ_IJSD_SD_EEES6_SK_JS6_EEE10hipError_tPvRmT3_T4_T5_T6_T7_T9_mT8_P12ihipStream_tbDpT10_ENKUlT_T0_E_clISt17integral_constantIbLb1EES16_EEDaS11_S12_EUlS11_E_NS1_11comp_targetILNS1_3genE3ELNS1_11target_archE908ELNS1_3gpuE7ELNS1_3repE0EEENS1_30default_config_static_selectorELNS0_4arch9wavefront6targetE0EEEvT1_.kd
    .uniform_work_group_size: 1
    .uses_dynamic_stack: false
    .vgpr_count:     0
    .vgpr_spill_count: 0
    .wavefront_size: 32
    .workgroup_processor_mode: 1
  - .args:
      - .offset:         0
        .size:           136
        .value_kind:     by_value
    .group_segment_fixed_size: 0
    .kernarg_segment_align: 8
    .kernarg_segment_size: 136
    .language:       OpenCL C
    .language_version:
      - 2
      - 0
    .max_flat_workgroup_size: 256
    .name:           _ZN7rocprim17ROCPRIM_400000_NS6detail17trampoline_kernelINS0_14default_configENS1_25partition_config_selectorILNS1_17partition_subalgoE5ElNS0_10empty_typeEbEEZZNS1_14partition_implILS5_5ELb0ES3_mN6hipcub16HIPCUB_304000_NS21CountingInputIteratorIllEEPS6_NSA_22TransformInputIteratorIb7NonZeroIsEPslEENS0_5tupleIJPlS6_EEENSJ_IJSD_SD_EEES6_SK_JS6_EEE10hipError_tPvRmT3_T4_T5_T6_T7_T9_mT8_P12ihipStream_tbDpT10_ENKUlT_T0_E_clISt17integral_constantIbLb1EES16_EEDaS11_S12_EUlS11_E_NS1_11comp_targetILNS1_3genE2ELNS1_11target_archE906ELNS1_3gpuE6ELNS1_3repE0EEENS1_30default_config_static_selectorELNS0_4arch9wavefront6targetE0EEEvT1_
    .private_segment_fixed_size: 0
    .sgpr_count:     0
    .sgpr_spill_count: 0
    .symbol:         _ZN7rocprim17ROCPRIM_400000_NS6detail17trampoline_kernelINS0_14default_configENS1_25partition_config_selectorILNS1_17partition_subalgoE5ElNS0_10empty_typeEbEEZZNS1_14partition_implILS5_5ELb0ES3_mN6hipcub16HIPCUB_304000_NS21CountingInputIteratorIllEEPS6_NSA_22TransformInputIteratorIb7NonZeroIsEPslEENS0_5tupleIJPlS6_EEENSJ_IJSD_SD_EEES6_SK_JS6_EEE10hipError_tPvRmT3_T4_T5_T6_T7_T9_mT8_P12ihipStream_tbDpT10_ENKUlT_T0_E_clISt17integral_constantIbLb1EES16_EEDaS11_S12_EUlS11_E_NS1_11comp_targetILNS1_3genE2ELNS1_11target_archE906ELNS1_3gpuE6ELNS1_3repE0EEENS1_30default_config_static_selectorELNS0_4arch9wavefront6targetE0EEEvT1_.kd
    .uniform_work_group_size: 1
    .uses_dynamic_stack: false
    .vgpr_count:     0
    .vgpr_spill_count: 0
    .wavefront_size: 32
    .workgroup_processor_mode: 1
  - .args:
      - .offset:         0
        .size:           136
        .value_kind:     by_value
    .group_segment_fixed_size: 0
    .kernarg_segment_align: 8
    .kernarg_segment_size: 136
    .language:       OpenCL C
    .language_version:
      - 2
      - 0
    .max_flat_workgroup_size: 256
    .name:           _ZN7rocprim17ROCPRIM_400000_NS6detail17trampoline_kernelINS0_14default_configENS1_25partition_config_selectorILNS1_17partition_subalgoE5ElNS0_10empty_typeEbEEZZNS1_14partition_implILS5_5ELb0ES3_mN6hipcub16HIPCUB_304000_NS21CountingInputIteratorIllEEPS6_NSA_22TransformInputIteratorIb7NonZeroIsEPslEENS0_5tupleIJPlS6_EEENSJ_IJSD_SD_EEES6_SK_JS6_EEE10hipError_tPvRmT3_T4_T5_T6_T7_T9_mT8_P12ihipStream_tbDpT10_ENKUlT_T0_E_clISt17integral_constantIbLb1EES16_EEDaS11_S12_EUlS11_E_NS1_11comp_targetILNS1_3genE10ELNS1_11target_archE1200ELNS1_3gpuE4ELNS1_3repE0EEENS1_30default_config_static_selectorELNS0_4arch9wavefront6targetE0EEEvT1_
    .private_segment_fixed_size: 0
    .sgpr_count:     0
    .sgpr_spill_count: 0
    .symbol:         _ZN7rocprim17ROCPRIM_400000_NS6detail17trampoline_kernelINS0_14default_configENS1_25partition_config_selectorILNS1_17partition_subalgoE5ElNS0_10empty_typeEbEEZZNS1_14partition_implILS5_5ELb0ES3_mN6hipcub16HIPCUB_304000_NS21CountingInputIteratorIllEEPS6_NSA_22TransformInputIteratorIb7NonZeroIsEPslEENS0_5tupleIJPlS6_EEENSJ_IJSD_SD_EEES6_SK_JS6_EEE10hipError_tPvRmT3_T4_T5_T6_T7_T9_mT8_P12ihipStream_tbDpT10_ENKUlT_T0_E_clISt17integral_constantIbLb1EES16_EEDaS11_S12_EUlS11_E_NS1_11comp_targetILNS1_3genE10ELNS1_11target_archE1200ELNS1_3gpuE4ELNS1_3repE0EEENS1_30default_config_static_selectorELNS0_4arch9wavefront6targetE0EEEvT1_.kd
    .uniform_work_group_size: 1
    .uses_dynamic_stack: false
    .vgpr_count:     0
    .vgpr_spill_count: 0
    .wavefront_size: 32
    .workgroup_processor_mode: 1
  - .args:
      - .offset:         0
        .size:           136
        .value_kind:     by_value
    .group_segment_fixed_size: 6160
    .kernarg_segment_align: 8
    .kernarg_segment_size: 136
    .language:       OpenCL C
    .language_version:
      - 2
      - 0
    .max_flat_workgroup_size: 128
    .name:           _ZN7rocprim17ROCPRIM_400000_NS6detail17trampoline_kernelINS0_14default_configENS1_25partition_config_selectorILNS1_17partition_subalgoE5ElNS0_10empty_typeEbEEZZNS1_14partition_implILS5_5ELb0ES3_mN6hipcub16HIPCUB_304000_NS21CountingInputIteratorIllEEPS6_NSA_22TransformInputIteratorIb7NonZeroIsEPslEENS0_5tupleIJPlS6_EEENSJ_IJSD_SD_EEES6_SK_JS6_EEE10hipError_tPvRmT3_T4_T5_T6_T7_T9_mT8_P12ihipStream_tbDpT10_ENKUlT_T0_E_clISt17integral_constantIbLb1EES16_EEDaS11_S12_EUlS11_E_NS1_11comp_targetILNS1_3genE9ELNS1_11target_archE1100ELNS1_3gpuE3ELNS1_3repE0EEENS1_30default_config_static_selectorELNS0_4arch9wavefront6targetE0EEEvT1_
    .private_segment_fixed_size: 0
    .sgpr_count:     26
    .sgpr_spill_count: 0
    .symbol:         _ZN7rocprim17ROCPRIM_400000_NS6detail17trampoline_kernelINS0_14default_configENS1_25partition_config_selectorILNS1_17partition_subalgoE5ElNS0_10empty_typeEbEEZZNS1_14partition_implILS5_5ELb0ES3_mN6hipcub16HIPCUB_304000_NS21CountingInputIteratorIllEEPS6_NSA_22TransformInputIteratorIb7NonZeroIsEPslEENS0_5tupleIJPlS6_EEENSJ_IJSD_SD_EEES6_SK_JS6_EEE10hipError_tPvRmT3_T4_T5_T6_T7_T9_mT8_P12ihipStream_tbDpT10_ENKUlT_T0_E_clISt17integral_constantIbLb1EES16_EEDaS11_S12_EUlS11_E_NS1_11comp_targetILNS1_3genE9ELNS1_11target_archE1100ELNS1_3gpuE3ELNS1_3repE0EEENS1_30default_config_static_selectorELNS0_4arch9wavefront6targetE0EEEvT1_.kd
    .uniform_work_group_size: 1
    .uses_dynamic_stack: false
    .vgpr_count:     57
    .vgpr_spill_count: 0
    .wavefront_size: 32
    .workgroup_processor_mode: 1
  - .args:
      - .offset:         0
        .size:           136
        .value_kind:     by_value
    .group_segment_fixed_size: 0
    .kernarg_segment_align: 8
    .kernarg_segment_size: 136
    .language:       OpenCL C
    .language_version:
      - 2
      - 0
    .max_flat_workgroup_size: 512
    .name:           _ZN7rocprim17ROCPRIM_400000_NS6detail17trampoline_kernelINS0_14default_configENS1_25partition_config_selectorILNS1_17partition_subalgoE5ElNS0_10empty_typeEbEEZZNS1_14partition_implILS5_5ELb0ES3_mN6hipcub16HIPCUB_304000_NS21CountingInputIteratorIllEEPS6_NSA_22TransformInputIteratorIb7NonZeroIsEPslEENS0_5tupleIJPlS6_EEENSJ_IJSD_SD_EEES6_SK_JS6_EEE10hipError_tPvRmT3_T4_T5_T6_T7_T9_mT8_P12ihipStream_tbDpT10_ENKUlT_T0_E_clISt17integral_constantIbLb1EES16_EEDaS11_S12_EUlS11_E_NS1_11comp_targetILNS1_3genE8ELNS1_11target_archE1030ELNS1_3gpuE2ELNS1_3repE0EEENS1_30default_config_static_selectorELNS0_4arch9wavefront6targetE0EEEvT1_
    .private_segment_fixed_size: 0
    .sgpr_count:     0
    .sgpr_spill_count: 0
    .symbol:         _ZN7rocprim17ROCPRIM_400000_NS6detail17trampoline_kernelINS0_14default_configENS1_25partition_config_selectorILNS1_17partition_subalgoE5ElNS0_10empty_typeEbEEZZNS1_14partition_implILS5_5ELb0ES3_mN6hipcub16HIPCUB_304000_NS21CountingInputIteratorIllEEPS6_NSA_22TransformInputIteratorIb7NonZeroIsEPslEENS0_5tupleIJPlS6_EEENSJ_IJSD_SD_EEES6_SK_JS6_EEE10hipError_tPvRmT3_T4_T5_T6_T7_T9_mT8_P12ihipStream_tbDpT10_ENKUlT_T0_E_clISt17integral_constantIbLb1EES16_EEDaS11_S12_EUlS11_E_NS1_11comp_targetILNS1_3genE8ELNS1_11target_archE1030ELNS1_3gpuE2ELNS1_3repE0EEENS1_30default_config_static_selectorELNS0_4arch9wavefront6targetE0EEEvT1_.kd
    .uniform_work_group_size: 1
    .uses_dynamic_stack: false
    .vgpr_count:     0
    .vgpr_spill_count: 0
    .wavefront_size: 32
    .workgroup_processor_mode: 1
  - .args:
      - .offset:         0
        .size:           120
        .value_kind:     by_value
    .group_segment_fixed_size: 0
    .kernarg_segment_align: 8
    .kernarg_segment_size: 120
    .language:       OpenCL C
    .language_version:
      - 2
      - 0
    .max_flat_workgroup_size: 128
    .name:           _ZN7rocprim17ROCPRIM_400000_NS6detail17trampoline_kernelINS0_14default_configENS1_25partition_config_selectorILNS1_17partition_subalgoE5ElNS0_10empty_typeEbEEZZNS1_14partition_implILS5_5ELb0ES3_mN6hipcub16HIPCUB_304000_NS21CountingInputIteratorIllEEPS6_NSA_22TransformInputIteratorIb7NonZeroIsEPslEENS0_5tupleIJPlS6_EEENSJ_IJSD_SD_EEES6_SK_JS6_EEE10hipError_tPvRmT3_T4_T5_T6_T7_T9_mT8_P12ihipStream_tbDpT10_ENKUlT_T0_E_clISt17integral_constantIbLb1EES15_IbLb0EEEEDaS11_S12_EUlS11_E_NS1_11comp_targetILNS1_3genE0ELNS1_11target_archE4294967295ELNS1_3gpuE0ELNS1_3repE0EEENS1_30default_config_static_selectorELNS0_4arch9wavefront6targetE0EEEvT1_
    .private_segment_fixed_size: 0
    .sgpr_count:     0
    .sgpr_spill_count: 0
    .symbol:         _ZN7rocprim17ROCPRIM_400000_NS6detail17trampoline_kernelINS0_14default_configENS1_25partition_config_selectorILNS1_17partition_subalgoE5ElNS0_10empty_typeEbEEZZNS1_14partition_implILS5_5ELb0ES3_mN6hipcub16HIPCUB_304000_NS21CountingInputIteratorIllEEPS6_NSA_22TransformInputIteratorIb7NonZeroIsEPslEENS0_5tupleIJPlS6_EEENSJ_IJSD_SD_EEES6_SK_JS6_EEE10hipError_tPvRmT3_T4_T5_T6_T7_T9_mT8_P12ihipStream_tbDpT10_ENKUlT_T0_E_clISt17integral_constantIbLb1EES15_IbLb0EEEEDaS11_S12_EUlS11_E_NS1_11comp_targetILNS1_3genE0ELNS1_11target_archE4294967295ELNS1_3gpuE0ELNS1_3repE0EEENS1_30default_config_static_selectorELNS0_4arch9wavefront6targetE0EEEvT1_.kd
    .uniform_work_group_size: 1
    .uses_dynamic_stack: false
    .vgpr_count:     0
    .vgpr_spill_count: 0
    .wavefront_size: 32
    .workgroup_processor_mode: 1
  - .args:
      - .offset:         0
        .size:           120
        .value_kind:     by_value
    .group_segment_fixed_size: 0
    .kernarg_segment_align: 8
    .kernarg_segment_size: 120
    .language:       OpenCL C
    .language_version:
      - 2
      - 0
    .max_flat_workgroup_size: 512
    .name:           _ZN7rocprim17ROCPRIM_400000_NS6detail17trampoline_kernelINS0_14default_configENS1_25partition_config_selectorILNS1_17partition_subalgoE5ElNS0_10empty_typeEbEEZZNS1_14partition_implILS5_5ELb0ES3_mN6hipcub16HIPCUB_304000_NS21CountingInputIteratorIllEEPS6_NSA_22TransformInputIteratorIb7NonZeroIsEPslEENS0_5tupleIJPlS6_EEENSJ_IJSD_SD_EEES6_SK_JS6_EEE10hipError_tPvRmT3_T4_T5_T6_T7_T9_mT8_P12ihipStream_tbDpT10_ENKUlT_T0_E_clISt17integral_constantIbLb1EES15_IbLb0EEEEDaS11_S12_EUlS11_E_NS1_11comp_targetILNS1_3genE5ELNS1_11target_archE942ELNS1_3gpuE9ELNS1_3repE0EEENS1_30default_config_static_selectorELNS0_4arch9wavefront6targetE0EEEvT1_
    .private_segment_fixed_size: 0
    .sgpr_count:     0
    .sgpr_spill_count: 0
    .symbol:         _ZN7rocprim17ROCPRIM_400000_NS6detail17trampoline_kernelINS0_14default_configENS1_25partition_config_selectorILNS1_17partition_subalgoE5ElNS0_10empty_typeEbEEZZNS1_14partition_implILS5_5ELb0ES3_mN6hipcub16HIPCUB_304000_NS21CountingInputIteratorIllEEPS6_NSA_22TransformInputIteratorIb7NonZeroIsEPslEENS0_5tupleIJPlS6_EEENSJ_IJSD_SD_EEES6_SK_JS6_EEE10hipError_tPvRmT3_T4_T5_T6_T7_T9_mT8_P12ihipStream_tbDpT10_ENKUlT_T0_E_clISt17integral_constantIbLb1EES15_IbLb0EEEEDaS11_S12_EUlS11_E_NS1_11comp_targetILNS1_3genE5ELNS1_11target_archE942ELNS1_3gpuE9ELNS1_3repE0EEENS1_30default_config_static_selectorELNS0_4arch9wavefront6targetE0EEEvT1_.kd
    .uniform_work_group_size: 1
    .uses_dynamic_stack: false
    .vgpr_count:     0
    .vgpr_spill_count: 0
    .wavefront_size: 32
    .workgroup_processor_mode: 1
  - .args:
      - .offset:         0
        .size:           120
        .value_kind:     by_value
    .group_segment_fixed_size: 0
    .kernarg_segment_align: 8
    .kernarg_segment_size: 120
    .language:       OpenCL C
    .language_version:
      - 2
      - 0
    .max_flat_workgroup_size: 192
    .name:           _ZN7rocprim17ROCPRIM_400000_NS6detail17trampoline_kernelINS0_14default_configENS1_25partition_config_selectorILNS1_17partition_subalgoE5ElNS0_10empty_typeEbEEZZNS1_14partition_implILS5_5ELb0ES3_mN6hipcub16HIPCUB_304000_NS21CountingInputIteratorIllEEPS6_NSA_22TransformInputIteratorIb7NonZeroIsEPslEENS0_5tupleIJPlS6_EEENSJ_IJSD_SD_EEES6_SK_JS6_EEE10hipError_tPvRmT3_T4_T5_T6_T7_T9_mT8_P12ihipStream_tbDpT10_ENKUlT_T0_E_clISt17integral_constantIbLb1EES15_IbLb0EEEEDaS11_S12_EUlS11_E_NS1_11comp_targetILNS1_3genE4ELNS1_11target_archE910ELNS1_3gpuE8ELNS1_3repE0EEENS1_30default_config_static_selectorELNS0_4arch9wavefront6targetE0EEEvT1_
    .private_segment_fixed_size: 0
    .sgpr_count:     0
    .sgpr_spill_count: 0
    .symbol:         _ZN7rocprim17ROCPRIM_400000_NS6detail17trampoline_kernelINS0_14default_configENS1_25partition_config_selectorILNS1_17partition_subalgoE5ElNS0_10empty_typeEbEEZZNS1_14partition_implILS5_5ELb0ES3_mN6hipcub16HIPCUB_304000_NS21CountingInputIteratorIllEEPS6_NSA_22TransformInputIteratorIb7NonZeroIsEPslEENS0_5tupleIJPlS6_EEENSJ_IJSD_SD_EEES6_SK_JS6_EEE10hipError_tPvRmT3_T4_T5_T6_T7_T9_mT8_P12ihipStream_tbDpT10_ENKUlT_T0_E_clISt17integral_constantIbLb1EES15_IbLb0EEEEDaS11_S12_EUlS11_E_NS1_11comp_targetILNS1_3genE4ELNS1_11target_archE910ELNS1_3gpuE8ELNS1_3repE0EEENS1_30default_config_static_selectorELNS0_4arch9wavefront6targetE0EEEvT1_.kd
    .uniform_work_group_size: 1
    .uses_dynamic_stack: false
    .vgpr_count:     0
    .vgpr_spill_count: 0
    .wavefront_size: 32
    .workgroup_processor_mode: 1
  - .args:
      - .offset:         0
        .size:           120
        .value_kind:     by_value
    .group_segment_fixed_size: 0
    .kernarg_segment_align: 8
    .kernarg_segment_size: 120
    .language:       OpenCL C
    .language_version:
      - 2
      - 0
    .max_flat_workgroup_size: 128
    .name:           _ZN7rocprim17ROCPRIM_400000_NS6detail17trampoline_kernelINS0_14default_configENS1_25partition_config_selectorILNS1_17partition_subalgoE5ElNS0_10empty_typeEbEEZZNS1_14partition_implILS5_5ELb0ES3_mN6hipcub16HIPCUB_304000_NS21CountingInputIteratorIllEEPS6_NSA_22TransformInputIteratorIb7NonZeroIsEPslEENS0_5tupleIJPlS6_EEENSJ_IJSD_SD_EEES6_SK_JS6_EEE10hipError_tPvRmT3_T4_T5_T6_T7_T9_mT8_P12ihipStream_tbDpT10_ENKUlT_T0_E_clISt17integral_constantIbLb1EES15_IbLb0EEEEDaS11_S12_EUlS11_E_NS1_11comp_targetILNS1_3genE3ELNS1_11target_archE908ELNS1_3gpuE7ELNS1_3repE0EEENS1_30default_config_static_selectorELNS0_4arch9wavefront6targetE0EEEvT1_
    .private_segment_fixed_size: 0
    .sgpr_count:     0
    .sgpr_spill_count: 0
    .symbol:         _ZN7rocprim17ROCPRIM_400000_NS6detail17trampoline_kernelINS0_14default_configENS1_25partition_config_selectorILNS1_17partition_subalgoE5ElNS0_10empty_typeEbEEZZNS1_14partition_implILS5_5ELb0ES3_mN6hipcub16HIPCUB_304000_NS21CountingInputIteratorIllEEPS6_NSA_22TransformInputIteratorIb7NonZeroIsEPslEENS0_5tupleIJPlS6_EEENSJ_IJSD_SD_EEES6_SK_JS6_EEE10hipError_tPvRmT3_T4_T5_T6_T7_T9_mT8_P12ihipStream_tbDpT10_ENKUlT_T0_E_clISt17integral_constantIbLb1EES15_IbLb0EEEEDaS11_S12_EUlS11_E_NS1_11comp_targetILNS1_3genE3ELNS1_11target_archE908ELNS1_3gpuE7ELNS1_3repE0EEENS1_30default_config_static_selectorELNS0_4arch9wavefront6targetE0EEEvT1_.kd
    .uniform_work_group_size: 1
    .uses_dynamic_stack: false
    .vgpr_count:     0
    .vgpr_spill_count: 0
    .wavefront_size: 32
    .workgroup_processor_mode: 1
  - .args:
      - .offset:         0
        .size:           120
        .value_kind:     by_value
    .group_segment_fixed_size: 0
    .kernarg_segment_align: 8
    .kernarg_segment_size: 120
    .language:       OpenCL C
    .language_version:
      - 2
      - 0
    .max_flat_workgroup_size: 256
    .name:           _ZN7rocprim17ROCPRIM_400000_NS6detail17trampoline_kernelINS0_14default_configENS1_25partition_config_selectorILNS1_17partition_subalgoE5ElNS0_10empty_typeEbEEZZNS1_14partition_implILS5_5ELb0ES3_mN6hipcub16HIPCUB_304000_NS21CountingInputIteratorIllEEPS6_NSA_22TransformInputIteratorIb7NonZeroIsEPslEENS0_5tupleIJPlS6_EEENSJ_IJSD_SD_EEES6_SK_JS6_EEE10hipError_tPvRmT3_T4_T5_T6_T7_T9_mT8_P12ihipStream_tbDpT10_ENKUlT_T0_E_clISt17integral_constantIbLb1EES15_IbLb0EEEEDaS11_S12_EUlS11_E_NS1_11comp_targetILNS1_3genE2ELNS1_11target_archE906ELNS1_3gpuE6ELNS1_3repE0EEENS1_30default_config_static_selectorELNS0_4arch9wavefront6targetE0EEEvT1_
    .private_segment_fixed_size: 0
    .sgpr_count:     0
    .sgpr_spill_count: 0
    .symbol:         _ZN7rocprim17ROCPRIM_400000_NS6detail17trampoline_kernelINS0_14default_configENS1_25partition_config_selectorILNS1_17partition_subalgoE5ElNS0_10empty_typeEbEEZZNS1_14partition_implILS5_5ELb0ES3_mN6hipcub16HIPCUB_304000_NS21CountingInputIteratorIllEEPS6_NSA_22TransformInputIteratorIb7NonZeroIsEPslEENS0_5tupleIJPlS6_EEENSJ_IJSD_SD_EEES6_SK_JS6_EEE10hipError_tPvRmT3_T4_T5_T6_T7_T9_mT8_P12ihipStream_tbDpT10_ENKUlT_T0_E_clISt17integral_constantIbLb1EES15_IbLb0EEEEDaS11_S12_EUlS11_E_NS1_11comp_targetILNS1_3genE2ELNS1_11target_archE906ELNS1_3gpuE6ELNS1_3repE0EEENS1_30default_config_static_selectorELNS0_4arch9wavefront6targetE0EEEvT1_.kd
    .uniform_work_group_size: 1
    .uses_dynamic_stack: false
    .vgpr_count:     0
    .vgpr_spill_count: 0
    .wavefront_size: 32
    .workgroup_processor_mode: 1
  - .args:
      - .offset:         0
        .size:           120
        .value_kind:     by_value
    .group_segment_fixed_size: 0
    .kernarg_segment_align: 8
    .kernarg_segment_size: 120
    .language:       OpenCL C
    .language_version:
      - 2
      - 0
    .max_flat_workgroup_size: 256
    .name:           _ZN7rocprim17ROCPRIM_400000_NS6detail17trampoline_kernelINS0_14default_configENS1_25partition_config_selectorILNS1_17partition_subalgoE5ElNS0_10empty_typeEbEEZZNS1_14partition_implILS5_5ELb0ES3_mN6hipcub16HIPCUB_304000_NS21CountingInputIteratorIllEEPS6_NSA_22TransformInputIteratorIb7NonZeroIsEPslEENS0_5tupleIJPlS6_EEENSJ_IJSD_SD_EEES6_SK_JS6_EEE10hipError_tPvRmT3_T4_T5_T6_T7_T9_mT8_P12ihipStream_tbDpT10_ENKUlT_T0_E_clISt17integral_constantIbLb1EES15_IbLb0EEEEDaS11_S12_EUlS11_E_NS1_11comp_targetILNS1_3genE10ELNS1_11target_archE1200ELNS1_3gpuE4ELNS1_3repE0EEENS1_30default_config_static_selectorELNS0_4arch9wavefront6targetE0EEEvT1_
    .private_segment_fixed_size: 0
    .sgpr_count:     0
    .sgpr_spill_count: 0
    .symbol:         _ZN7rocprim17ROCPRIM_400000_NS6detail17trampoline_kernelINS0_14default_configENS1_25partition_config_selectorILNS1_17partition_subalgoE5ElNS0_10empty_typeEbEEZZNS1_14partition_implILS5_5ELb0ES3_mN6hipcub16HIPCUB_304000_NS21CountingInputIteratorIllEEPS6_NSA_22TransformInputIteratorIb7NonZeroIsEPslEENS0_5tupleIJPlS6_EEENSJ_IJSD_SD_EEES6_SK_JS6_EEE10hipError_tPvRmT3_T4_T5_T6_T7_T9_mT8_P12ihipStream_tbDpT10_ENKUlT_T0_E_clISt17integral_constantIbLb1EES15_IbLb0EEEEDaS11_S12_EUlS11_E_NS1_11comp_targetILNS1_3genE10ELNS1_11target_archE1200ELNS1_3gpuE4ELNS1_3repE0EEENS1_30default_config_static_selectorELNS0_4arch9wavefront6targetE0EEEvT1_.kd
    .uniform_work_group_size: 1
    .uses_dynamic_stack: false
    .vgpr_count:     0
    .vgpr_spill_count: 0
    .wavefront_size: 32
    .workgroup_processor_mode: 1
  - .args:
      - .offset:         0
        .size:           120
        .value_kind:     by_value
    .group_segment_fixed_size: 6160
    .kernarg_segment_align: 8
    .kernarg_segment_size: 120
    .language:       OpenCL C
    .language_version:
      - 2
      - 0
    .max_flat_workgroup_size: 128
    .name:           _ZN7rocprim17ROCPRIM_400000_NS6detail17trampoline_kernelINS0_14default_configENS1_25partition_config_selectorILNS1_17partition_subalgoE5ElNS0_10empty_typeEbEEZZNS1_14partition_implILS5_5ELb0ES3_mN6hipcub16HIPCUB_304000_NS21CountingInputIteratorIllEEPS6_NSA_22TransformInputIteratorIb7NonZeroIsEPslEENS0_5tupleIJPlS6_EEENSJ_IJSD_SD_EEES6_SK_JS6_EEE10hipError_tPvRmT3_T4_T5_T6_T7_T9_mT8_P12ihipStream_tbDpT10_ENKUlT_T0_E_clISt17integral_constantIbLb1EES15_IbLb0EEEEDaS11_S12_EUlS11_E_NS1_11comp_targetILNS1_3genE9ELNS1_11target_archE1100ELNS1_3gpuE3ELNS1_3repE0EEENS1_30default_config_static_selectorELNS0_4arch9wavefront6targetE0EEEvT1_
    .private_segment_fixed_size: 0
    .sgpr_count:     23
    .sgpr_spill_count: 0
    .symbol:         _ZN7rocprim17ROCPRIM_400000_NS6detail17trampoline_kernelINS0_14default_configENS1_25partition_config_selectorILNS1_17partition_subalgoE5ElNS0_10empty_typeEbEEZZNS1_14partition_implILS5_5ELb0ES3_mN6hipcub16HIPCUB_304000_NS21CountingInputIteratorIllEEPS6_NSA_22TransformInputIteratorIb7NonZeroIsEPslEENS0_5tupleIJPlS6_EEENSJ_IJSD_SD_EEES6_SK_JS6_EEE10hipError_tPvRmT3_T4_T5_T6_T7_T9_mT8_P12ihipStream_tbDpT10_ENKUlT_T0_E_clISt17integral_constantIbLb1EES15_IbLb0EEEEDaS11_S12_EUlS11_E_NS1_11comp_targetILNS1_3genE9ELNS1_11target_archE1100ELNS1_3gpuE3ELNS1_3repE0EEENS1_30default_config_static_selectorELNS0_4arch9wavefront6targetE0EEEvT1_.kd
    .uniform_work_group_size: 1
    .uses_dynamic_stack: false
    .vgpr_count:     57
    .vgpr_spill_count: 0
    .wavefront_size: 32
    .workgroup_processor_mode: 1
  - .args:
      - .offset:         0
        .size:           120
        .value_kind:     by_value
    .group_segment_fixed_size: 0
    .kernarg_segment_align: 8
    .kernarg_segment_size: 120
    .language:       OpenCL C
    .language_version:
      - 2
      - 0
    .max_flat_workgroup_size: 512
    .name:           _ZN7rocprim17ROCPRIM_400000_NS6detail17trampoline_kernelINS0_14default_configENS1_25partition_config_selectorILNS1_17partition_subalgoE5ElNS0_10empty_typeEbEEZZNS1_14partition_implILS5_5ELb0ES3_mN6hipcub16HIPCUB_304000_NS21CountingInputIteratorIllEEPS6_NSA_22TransformInputIteratorIb7NonZeroIsEPslEENS0_5tupleIJPlS6_EEENSJ_IJSD_SD_EEES6_SK_JS6_EEE10hipError_tPvRmT3_T4_T5_T6_T7_T9_mT8_P12ihipStream_tbDpT10_ENKUlT_T0_E_clISt17integral_constantIbLb1EES15_IbLb0EEEEDaS11_S12_EUlS11_E_NS1_11comp_targetILNS1_3genE8ELNS1_11target_archE1030ELNS1_3gpuE2ELNS1_3repE0EEENS1_30default_config_static_selectorELNS0_4arch9wavefront6targetE0EEEvT1_
    .private_segment_fixed_size: 0
    .sgpr_count:     0
    .sgpr_spill_count: 0
    .symbol:         _ZN7rocprim17ROCPRIM_400000_NS6detail17trampoline_kernelINS0_14default_configENS1_25partition_config_selectorILNS1_17partition_subalgoE5ElNS0_10empty_typeEbEEZZNS1_14partition_implILS5_5ELb0ES3_mN6hipcub16HIPCUB_304000_NS21CountingInputIteratorIllEEPS6_NSA_22TransformInputIteratorIb7NonZeroIsEPslEENS0_5tupleIJPlS6_EEENSJ_IJSD_SD_EEES6_SK_JS6_EEE10hipError_tPvRmT3_T4_T5_T6_T7_T9_mT8_P12ihipStream_tbDpT10_ENKUlT_T0_E_clISt17integral_constantIbLb1EES15_IbLb0EEEEDaS11_S12_EUlS11_E_NS1_11comp_targetILNS1_3genE8ELNS1_11target_archE1030ELNS1_3gpuE2ELNS1_3repE0EEENS1_30default_config_static_selectorELNS0_4arch9wavefront6targetE0EEEvT1_.kd
    .uniform_work_group_size: 1
    .uses_dynamic_stack: false
    .vgpr_count:     0
    .vgpr_spill_count: 0
    .wavefront_size: 32
    .workgroup_processor_mode: 1
  - .args:
      - .offset:         0
        .size:           136
        .value_kind:     by_value
    .group_segment_fixed_size: 0
    .kernarg_segment_align: 8
    .kernarg_segment_size: 136
    .language:       OpenCL C
    .language_version:
      - 2
      - 0
    .max_flat_workgroup_size: 128
    .name:           _ZN7rocprim17ROCPRIM_400000_NS6detail17trampoline_kernelINS0_14default_configENS1_25partition_config_selectorILNS1_17partition_subalgoE5ElNS0_10empty_typeEbEEZZNS1_14partition_implILS5_5ELb0ES3_mN6hipcub16HIPCUB_304000_NS21CountingInputIteratorIllEEPS6_NSA_22TransformInputIteratorIb7NonZeroIsEPslEENS0_5tupleIJPlS6_EEENSJ_IJSD_SD_EEES6_SK_JS6_EEE10hipError_tPvRmT3_T4_T5_T6_T7_T9_mT8_P12ihipStream_tbDpT10_ENKUlT_T0_E_clISt17integral_constantIbLb0EES15_IbLb1EEEEDaS11_S12_EUlS11_E_NS1_11comp_targetILNS1_3genE0ELNS1_11target_archE4294967295ELNS1_3gpuE0ELNS1_3repE0EEENS1_30default_config_static_selectorELNS0_4arch9wavefront6targetE0EEEvT1_
    .private_segment_fixed_size: 0
    .sgpr_count:     0
    .sgpr_spill_count: 0
    .symbol:         _ZN7rocprim17ROCPRIM_400000_NS6detail17trampoline_kernelINS0_14default_configENS1_25partition_config_selectorILNS1_17partition_subalgoE5ElNS0_10empty_typeEbEEZZNS1_14partition_implILS5_5ELb0ES3_mN6hipcub16HIPCUB_304000_NS21CountingInputIteratorIllEEPS6_NSA_22TransformInputIteratorIb7NonZeroIsEPslEENS0_5tupleIJPlS6_EEENSJ_IJSD_SD_EEES6_SK_JS6_EEE10hipError_tPvRmT3_T4_T5_T6_T7_T9_mT8_P12ihipStream_tbDpT10_ENKUlT_T0_E_clISt17integral_constantIbLb0EES15_IbLb1EEEEDaS11_S12_EUlS11_E_NS1_11comp_targetILNS1_3genE0ELNS1_11target_archE4294967295ELNS1_3gpuE0ELNS1_3repE0EEENS1_30default_config_static_selectorELNS0_4arch9wavefront6targetE0EEEvT1_.kd
    .uniform_work_group_size: 1
    .uses_dynamic_stack: false
    .vgpr_count:     0
    .vgpr_spill_count: 0
    .wavefront_size: 32
    .workgroup_processor_mode: 1
  - .args:
      - .offset:         0
        .size:           136
        .value_kind:     by_value
    .group_segment_fixed_size: 0
    .kernarg_segment_align: 8
    .kernarg_segment_size: 136
    .language:       OpenCL C
    .language_version:
      - 2
      - 0
    .max_flat_workgroup_size: 512
    .name:           _ZN7rocprim17ROCPRIM_400000_NS6detail17trampoline_kernelINS0_14default_configENS1_25partition_config_selectorILNS1_17partition_subalgoE5ElNS0_10empty_typeEbEEZZNS1_14partition_implILS5_5ELb0ES3_mN6hipcub16HIPCUB_304000_NS21CountingInputIteratorIllEEPS6_NSA_22TransformInputIteratorIb7NonZeroIsEPslEENS0_5tupleIJPlS6_EEENSJ_IJSD_SD_EEES6_SK_JS6_EEE10hipError_tPvRmT3_T4_T5_T6_T7_T9_mT8_P12ihipStream_tbDpT10_ENKUlT_T0_E_clISt17integral_constantIbLb0EES15_IbLb1EEEEDaS11_S12_EUlS11_E_NS1_11comp_targetILNS1_3genE5ELNS1_11target_archE942ELNS1_3gpuE9ELNS1_3repE0EEENS1_30default_config_static_selectorELNS0_4arch9wavefront6targetE0EEEvT1_
    .private_segment_fixed_size: 0
    .sgpr_count:     0
    .sgpr_spill_count: 0
    .symbol:         _ZN7rocprim17ROCPRIM_400000_NS6detail17trampoline_kernelINS0_14default_configENS1_25partition_config_selectorILNS1_17partition_subalgoE5ElNS0_10empty_typeEbEEZZNS1_14partition_implILS5_5ELb0ES3_mN6hipcub16HIPCUB_304000_NS21CountingInputIteratorIllEEPS6_NSA_22TransformInputIteratorIb7NonZeroIsEPslEENS0_5tupleIJPlS6_EEENSJ_IJSD_SD_EEES6_SK_JS6_EEE10hipError_tPvRmT3_T4_T5_T6_T7_T9_mT8_P12ihipStream_tbDpT10_ENKUlT_T0_E_clISt17integral_constantIbLb0EES15_IbLb1EEEEDaS11_S12_EUlS11_E_NS1_11comp_targetILNS1_3genE5ELNS1_11target_archE942ELNS1_3gpuE9ELNS1_3repE0EEENS1_30default_config_static_selectorELNS0_4arch9wavefront6targetE0EEEvT1_.kd
    .uniform_work_group_size: 1
    .uses_dynamic_stack: false
    .vgpr_count:     0
    .vgpr_spill_count: 0
    .wavefront_size: 32
    .workgroup_processor_mode: 1
  - .args:
      - .offset:         0
        .size:           136
        .value_kind:     by_value
    .group_segment_fixed_size: 0
    .kernarg_segment_align: 8
    .kernarg_segment_size: 136
    .language:       OpenCL C
    .language_version:
      - 2
      - 0
    .max_flat_workgroup_size: 192
    .name:           _ZN7rocprim17ROCPRIM_400000_NS6detail17trampoline_kernelINS0_14default_configENS1_25partition_config_selectorILNS1_17partition_subalgoE5ElNS0_10empty_typeEbEEZZNS1_14partition_implILS5_5ELb0ES3_mN6hipcub16HIPCUB_304000_NS21CountingInputIteratorIllEEPS6_NSA_22TransformInputIteratorIb7NonZeroIsEPslEENS0_5tupleIJPlS6_EEENSJ_IJSD_SD_EEES6_SK_JS6_EEE10hipError_tPvRmT3_T4_T5_T6_T7_T9_mT8_P12ihipStream_tbDpT10_ENKUlT_T0_E_clISt17integral_constantIbLb0EES15_IbLb1EEEEDaS11_S12_EUlS11_E_NS1_11comp_targetILNS1_3genE4ELNS1_11target_archE910ELNS1_3gpuE8ELNS1_3repE0EEENS1_30default_config_static_selectorELNS0_4arch9wavefront6targetE0EEEvT1_
    .private_segment_fixed_size: 0
    .sgpr_count:     0
    .sgpr_spill_count: 0
    .symbol:         _ZN7rocprim17ROCPRIM_400000_NS6detail17trampoline_kernelINS0_14default_configENS1_25partition_config_selectorILNS1_17partition_subalgoE5ElNS0_10empty_typeEbEEZZNS1_14partition_implILS5_5ELb0ES3_mN6hipcub16HIPCUB_304000_NS21CountingInputIteratorIllEEPS6_NSA_22TransformInputIteratorIb7NonZeroIsEPslEENS0_5tupleIJPlS6_EEENSJ_IJSD_SD_EEES6_SK_JS6_EEE10hipError_tPvRmT3_T4_T5_T6_T7_T9_mT8_P12ihipStream_tbDpT10_ENKUlT_T0_E_clISt17integral_constantIbLb0EES15_IbLb1EEEEDaS11_S12_EUlS11_E_NS1_11comp_targetILNS1_3genE4ELNS1_11target_archE910ELNS1_3gpuE8ELNS1_3repE0EEENS1_30default_config_static_selectorELNS0_4arch9wavefront6targetE0EEEvT1_.kd
    .uniform_work_group_size: 1
    .uses_dynamic_stack: false
    .vgpr_count:     0
    .vgpr_spill_count: 0
    .wavefront_size: 32
    .workgroup_processor_mode: 1
  - .args:
      - .offset:         0
        .size:           136
        .value_kind:     by_value
    .group_segment_fixed_size: 0
    .kernarg_segment_align: 8
    .kernarg_segment_size: 136
    .language:       OpenCL C
    .language_version:
      - 2
      - 0
    .max_flat_workgroup_size: 128
    .name:           _ZN7rocprim17ROCPRIM_400000_NS6detail17trampoline_kernelINS0_14default_configENS1_25partition_config_selectorILNS1_17partition_subalgoE5ElNS0_10empty_typeEbEEZZNS1_14partition_implILS5_5ELb0ES3_mN6hipcub16HIPCUB_304000_NS21CountingInputIteratorIllEEPS6_NSA_22TransformInputIteratorIb7NonZeroIsEPslEENS0_5tupleIJPlS6_EEENSJ_IJSD_SD_EEES6_SK_JS6_EEE10hipError_tPvRmT3_T4_T5_T6_T7_T9_mT8_P12ihipStream_tbDpT10_ENKUlT_T0_E_clISt17integral_constantIbLb0EES15_IbLb1EEEEDaS11_S12_EUlS11_E_NS1_11comp_targetILNS1_3genE3ELNS1_11target_archE908ELNS1_3gpuE7ELNS1_3repE0EEENS1_30default_config_static_selectorELNS0_4arch9wavefront6targetE0EEEvT1_
    .private_segment_fixed_size: 0
    .sgpr_count:     0
    .sgpr_spill_count: 0
    .symbol:         _ZN7rocprim17ROCPRIM_400000_NS6detail17trampoline_kernelINS0_14default_configENS1_25partition_config_selectorILNS1_17partition_subalgoE5ElNS0_10empty_typeEbEEZZNS1_14partition_implILS5_5ELb0ES3_mN6hipcub16HIPCUB_304000_NS21CountingInputIteratorIllEEPS6_NSA_22TransformInputIteratorIb7NonZeroIsEPslEENS0_5tupleIJPlS6_EEENSJ_IJSD_SD_EEES6_SK_JS6_EEE10hipError_tPvRmT3_T4_T5_T6_T7_T9_mT8_P12ihipStream_tbDpT10_ENKUlT_T0_E_clISt17integral_constantIbLb0EES15_IbLb1EEEEDaS11_S12_EUlS11_E_NS1_11comp_targetILNS1_3genE3ELNS1_11target_archE908ELNS1_3gpuE7ELNS1_3repE0EEENS1_30default_config_static_selectorELNS0_4arch9wavefront6targetE0EEEvT1_.kd
    .uniform_work_group_size: 1
    .uses_dynamic_stack: false
    .vgpr_count:     0
    .vgpr_spill_count: 0
    .wavefront_size: 32
    .workgroup_processor_mode: 1
  - .args:
      - .offset:         0
        .size:           136
        .value_kind:     by_value
    .group_segment_fixed_size: 0
    .kernarg_segment_align: 8
    .kernarg_segment_size: 136
    .language:       OpenCL C
    .language_version:
      - 2
      - 0
    .max_flat_workgroup_size: 256
    .name:           _ZN7rocprim17ROCPRIM_400000_NS6detail17trampoline_kernelINS0_14default_configENS1_25partition_config_selectorILNS1_17partition_subalgoE5ElNS0_10empty_typeEbEEZZNS1_14partition_implILS5_5ELb0ES3_mN6hipcub16HIPCUB_304000_NS21CountingInputIteratorIllEEPS6_NSA_22TransformInputIteratorIb7NonZeroIsEPslEENS0_5tupleIJPlS6_EEENSJ_IJSD_SD_EEES6_SK_JS6_EEE10hipError_tPvRmT3_T4_T5_T6_T7_T9_mT8_P12ihipStream_tbDpT10_ENKUlT_T0_E_clISt17integral_constantIbLb0EES15_IbLb1EEEEDaS11_S12_EUlS11_E_NS1_11comp_targetILNS1_3genE2ELNS1_11target_archE906ELNS1_3gpuE6ELNS1_3repE0EEENS1_30default_config_static_selectorELNS0_4arch9wavefront6targetE0EEEvT1_
    .private_segment_fixed_size: 0
    .sgpr_count:     0
    .sgpr_spill_count: 0
    .symbol:         _ZN7rocprim17ROCPRIM_400000_NS6detail17trampoline_kernelINS0_14default_configENS1_25partition_config_selectorILNS1_17partition_subalgoE5ElNS0_10empty_typeEbEEZZNS1_14partition_implILS5_5ELb0ES3_mN6hipcub16HIPCUB_304000_NS21CountingInputIteratorIllEEPS6_NSA_22TransformInputIteratorIb7NonZeroIsEPslEENS0_5tupleIJPlS6_EEENSJ_IJSD_SD_EEES6_SK_JS6_EEE10hipError_tPvRmT3_T4_T5_T6_T7_T9_mT8_P12ihipStream_tbDpT10_ENKUlT_T0_E_clISt17integral_constantIbLb0EES15_IbLb1EEEEDaS11_S12_EUlS11_E_NS1_11comp_targetILNS1_3genE2ELNS1_11target_archE906ELNS1_3gpuE6ELNS1_3repE0EEENS1_30default_config_static_selectorELNS0_4arch9wavefront6targetE0EEEvT1_.kd
    .uniform_work_group_size: 1
    .uses_dynamic_stack: false
    .vgpr_count:     0
    .vgpr_spill_count: 0
    .wavefront_size: 32
    .workgroup_processor_mode: 1
  - .args:
      - .offset:         0
        .size:           136
        .value_kind:     by_value
    .group_segment_fixed_size: 0
    .kernarg_segment_align: 8
    .kernarg_segment_size: 136
    .language:       OpenCL C
    .language_version:
      - 2
      - 0
    .max_flat_workgroup_size: 256
    .name:           _ZN7rocprim17ROCPRIM_400000_NS6detail17trampoline_kernelINS0_14default_configENS1_25partition_config_selectorILNS1_17partition_subalgoE5ElNS0_10empty_typeEbEEZZNS1_14partition_implILS5_5ELb0ES3_mN6hipcub16HIPCUB_304000_NS21CountingInputIteratorIllEEPS6_NSA_22TransformInputIteratorIb7NonZeroIsEPslEENS0_5tupleIJPlS6_EEENSJ_IJSD_SD_EEES6_SK_JS6_EEE10hipError_tPvRmT3_T4_T5_T6_T7_T9_mT8_P12ihipStream_tbDpT10_ENKUlT_T0_E_clISt17integral_constantIbLb0EES15_IbLb1EEEEDaS11_S12_EUlS11_E_NS1_11comp_targetILNS1_3genE10ELNS1_11target_archE1200ELNS1_3gpuE4ELNS1_3repE0EEENS1_30default_config_static_selectorELNS0_4arch9wavefront6targetE0EEEvT1_
    .private_segment_fixed_size: 0
    .sgpr_count:     0
    .sgpr_spill_count: 0
    .symbol:         _ZN7rocprim17ROCPRIM_400000_NS6detail17trampoline_kernelINS0_14default_configENS1_25partition_config_selectorILNS1_17partition_subalgoE5ElNS0_10empty_typeEbEEZZNS1_14partition_implILS5_5ELb0ES3_mN6hipcub16HIPCUB_304000_NS21CountingInputIteratorIllEEPS6_NSA_22TransformInputIteratorIb7NonZeroIsEPslEENS0_5tupleIJPlS6_EEENSJ_IJSD_SD_EEES6_SK_JS6_EEE10hipError_tPvRmT3_T4_T5_T6_T7_T9_mT8_P12ihipStream_tbDpT10_ENKUlT_T0_E_clISt17integral_constantIbLb0EES15_IbLb1EEEEDaS11_S12_EUlS11_E_NS1_11comp_targetILNS1_3genE10ELNS1_11target_archE1200ELNS1_3gpuE4ELNS1_3repE0EEENS1_30default_config_static_selectorELNS0_4arch9wavefront6targetE0EEEvT1_.kd
    .uniform_work_group_size: 1
    .uses_dynamic_stack: false
    .vgpr_count:     0
    .vgpr_spill_count: 0
    .wavefront_size: 32
    .workgroup_processor_mode: 1
  - .args:
      - .offset:         0
        .size:           136
        .value_kind:     by_value
    .group_segment_fixed_size: 6160
    .kernarg_segment_align: 8
    .kernarg_segment_size: 136
    .language:       OpenCL C
    .language_version:
      - 2
      - 0
    .max_flat_workgroup_size: 128
    .name:           _ZN7rocprim17ROCPRIM_400000_NS6detail17trampoline_kernelINS0_14default_configENS1_25partition_config_selectorILNS1_17partition_subalgoE5ElNS0_10empty_typeEbEEZZNS1_14partition_implILS5_5ELb0ES3_mN6hipcub16HIPCUB_304000_NS21CountingInputIteratorIllEEPS6_NSA_22TransformInputIteratorIb7NonZeroIsEPslEENS0_5tupleIJPlS6_EEENSJ_IJSD_SD_EEES6_SK_JS6_EEE10hipError_tPvRmT3_T4_T5_T6_T7_T9_mT8_P12ihipStream_tbDpT10_ENKUlT_T0_E_clISt17integral_constantIbLb0EES15_IbLb1EEEEDaS11_S12_EUlS11_E_NS1_11comp_targetILNS1_3genE9ELNS1_11target_archE1100ELNS1_3gpuE3ELNS1_3repE0EEENS1_30default_config_static_selectorELNS0_4arch9wavefront6targetE0EEEvT1_
    .private_segment_fixed_size: 0
    .sgpr_count:     26
    .sgpr_spill_count: 0
    .symbol:         _ZN7rocprim17ROCPRIM_400000_NS6detail17trampoline_kernelINS0_14default_configENS1_25partition_config_selectorILNS1_17partition_subalgoE5ElNS0_10empty_typeEbEEZZNS1_14partition_implILS5_5ELb0ES3_mN6hipcub16HIPCUB_304000_NS21CountingInputIteratorIllEEPS6_NSA_22TransformInputIteratorIb7NonZeroIsEPslEENS0_5tupleIJPlS6_EEENSJ_IJSD_SD_EEES6_SK_JS6_EEE10hipError_tPvRmT3_T4_T5_T6_T7_T9_mT8_P12ihipStream_tbDpT10_ENKUlT_T0_E_clISt17integral_constantIbLb0EES15_IbLb1EEEEDaS11_S12_EUlS11_E_NS1_11comp_targetILNS1_3genE9ELNS1_11target_archE1100ELNS1_3gpuE3ELNS1_3repE0EEENS1_30default_config_static_selectorELNS0_4arch9wavefront6targetE0EEEvT1_.kd
    .uniform_work_group_size: 1
    .uses_dynamic_stack: false
    .vgpr_count:     57
    .vgpr_spill_count: 0
    .wavefront_size: 32
    .workgroup_processor_mode: 1
  - .args:
      - .offset:         0
        .size:           136
        .value_kind:     by_value
    .group_segment_fixed_size: 0
    .kernarg_segment_align: 8
    .kernarg_segment_size: 136
    .language:       OpenCL C
    .language_version:
      - 2
      - 0
    .max_flat_workgroup_size: 512
    .name:           _ZN7rocprim17ROCPRIM_400000_NS6detail17trampoline_kernelINS0_14default_configENS1_25partition_config_selectorILNS1_17partition_subalgoE5ElNS0_10empty_typeEbEEZZNS1_14partition_implILS5_5ELb0ES3_mN6hipcub16HIPCUB_304000_NS21CountingInputIteratorIllEEPS6_NSA_22TransformInputIteratorIb7NonZeroIsEPslEENS0_5tupleIJPlS6_EEENSJ_IJSD_SD_EEES6_SK_JS6_EEE10hipError_tPvRmT3_T4_T5_T6_T7_T9_mT8_P12ihipStream_tbDpT10_ENKUlT_T0_E_clISt17integral_constantIbLb0EES15_IbLb1EEEEDaS11_S12_EUlS11_E_NS1_11comp_targetILNS1_3genE8ELNS1_11target_archE1030ELNS1_3gpuE2ELNS1_3repE0EEENS1_30default_config_static_selectorELNS0_4arch9wavefront6targetE0EEEvT1_
    .private_segment_fixed_size: 0
    .sgpr_count:     0
    .sgpr_spill_count: 0
    .symbol:         _ZN7rocprim17ROCPRIM_400000_NS6detail17trampoline_kernelINS0_14default_configENS1_25partition_config_selectorILNS1_17partition_subalgoE5ElNS0_10empty_typeEbEEZZNS1_14partition_implILS5_5ELb0ES3_mN6hipcub16HIPCUB_304000_NS21CountingInputIteratorIllEEPS6_NSA_22TransformInputIteratorIb7NonZeroIsEPslEENS0_5tupleIJPlS6_EEENSJ_IJSD_SD_EEES6_SK_JS6_EEE10hipError_tPvRmT3_T4_T5_T6_T7_T9_mT8_P12ihipStream_tbDpT10_ENKUlT_T0_E_clISt17integral_constantIbLb0EES15_IbLb1EEEEDaS11_S12_EUlS11_E_NS1_11comp_targetILNS1_3genE8ELNS1_11target_archE1030ELNS1_3gpuE2ELNS1_3repE0EEENS1_30default_config_static_selectorELNS0_4arch9wavefront6targetE0EEEvT1_.kd
    .uniform_work_group_size: 1
    .uses_dynamic_stack: false
    .vgpr_count:     0
    .vgpr_spill_count: 0
    .wavefront_size: 32
    .workgroup_processor_mode: 1
  - .args:
      - .offset:         0
        .size:           64
        .value_kind:     by_value
    .group_segment_fixed_size: 0
    .kernarg_segment_align: 8
    .kernarg_segment_size: 64
    .language:       OpenCL C
    .language_version:
      - 2
      - 0
    .max_flat_workgroup_size: 256
    .name:           _ZN7rocprim17ROCPRIM_400000_NS6detail17trampoline_kernelINS0_14default_configENS1_22reduce_config_selectorIlEEZNS1_11reduce_implILb1ES3_PlS7_lN6hipcub16HIPCUB_304000_NS6detail34convert_binary_result_type_wrapperINS9_3SumENS9_22TransformInputIteratorIb7NonZeroIiEPilEElEEEE10hipError_tPvRmT1_T2_T3_mT4_P12ihipStream_tbEUlT_E0_NS1_11comp_targetILNS1_3genE0ELNS1_11target_archE4294967295ELNS1_3gpuE0ELNS1_3repE0EEENS1_30default_config_static_selectorELNS0_4arch9wavefront6targetE0EEEvSM_
    .private_segment_fixed_size: 0
    .sgpr_count:     0
    .sgpr_spill_count: 0
    .symbol:         _ZN7rocprim17ROCPRIM_400000_NS6detail17trampoline_kernelINS0_14default_configENS1_22reduce_config_selectorIlEEZNS1_11reduce_implILb1ES3_PlS7_lN6hipcub16HIPCUB_304000_NS6detail34convert_binary_result_type_wrapperINS9_3SumENS9_22TransformInputIteratorIb7NonZeroIiEPilEElEEEE10hipError_tPvRmT1_T2_T3_mT4_P12ihipStream_tbEUlT_E0_NS1_11comp_targetILNS1_3genE0ELNS1_11target_archE4294967295ELNS1_3gpuE0ELNS1_3repE0EEENS1_30default_config_static_selectorELNS0_4arch9wavefront6targetE0EEEvSM_.kd
    .uniform_work_group_size: 1
    .uses_dynamic_stack: false
    .vgpr_count:     0
    .vgpr_spill_count: 0
    .wavefront_size: 32
    .workgroup_processor_mode: 1
  - .args:
      - .offset:         0
        .size:           64
        .value_kind:     by_value
    .group_segment_fixed_size: 0
    .kernarg_segment_align: 8
    .kernarg_segment_size: 64
    .language:       OpenCL C
    .language_version:
      - 2
      - 0
    .max_flat_workgroup_size: 256
    .name:           _ZN7rocprim17ROCPRIM_400000_NS6detail17trampoline_kernelINS0_14default_configENS1_22reduce_config_selectorIlEEZNS1_11reduce_implILb1ES3_PlS7_lN6hipcub16HIPCUB_304000_NS6detail34convert_binary_result_type_wrapperINS9_3SumENS9_22TransformInputIteratorIb7NonZeroIiEPilEElEEEE10hipError_tPvRmT1_T2_T3_mT4_P12ihipStream_tbEUlT_E0_NS1_11comp_targetILNS1_3genE5ELNS1_11target_archE942ELNS1_3gpuE9ELNS1_3repE0EEENS1_30default_config_static_selectorELNS0_4arch9wavefront6targetE0EEEvSM_
    .private_segment_fixed_size: 0
    .sgpr_count:     0
    .sgpr_spill_count: 0
    .symbol:         _ZN7rocprim17ROCPRIM_400000_NS6detail17trampoline_kernelINS0_14default_configENS1_22reduce_config_selectorIlEEZNS1_11reduce_implILb1ES3_PlS7_lN6hipcub16HIPCUB_304000_NS6detail34convert_binary_result_type_wrapperINS9_3SumENS9_22TransformInputIteratorIb7NonZeroIiEPilEElEEEE10hipError_tPvRmT1_T2_T3_mT4_P12ihipStream_tbEUlT_E0_NS1_11comp_targetILNS1_3genE5ELNS1_11target_archE942ELNS1_3gpuE9ELNS1_3repE0EEENS1_30default_config_static_selectorELNS0_4arch9wavefront6targetE0EEEvSM_.kd
    .uniform_work_group_size: 1
    .uses_dynamic_stack: false
    .vgpr_count:     0
    .vgpr_spill_count: 0
    .wavefront_size: 32
    .workgroup_processor_mode: 1
  - .args:
      - .offset:         0
        .size:           64
        .value_kind:     by_value
    .group_segment_fixed_size: 0
    .kernarg_segment_align: 8
    .kernarg_segment_size: 64
    .language:       OpenCL C
    .language_version:
      - 2
      - 0
    .max_flat_workgroup_size: 256
    .name:           _ZN7rocprim17ROCPRIM_400000_NS6detail17trampoline_kernelINS0_14default_configENS1_22reduce_config_selectorIlEEZNS1_11reduce_implILb1ES3_PlS7_lN6hipcub16HIPCUB_304000_NS6detail34convert_binary_result_type_wrapperINS9_3SumENS9_22TransformInputIteratorIb7NonZeroIiEPilEElEEEE10hipError_tPvRmT1_T2_T3_mT4_P12ihipStream_tbEUlT_E0_NS1_11comp_targetILNS1_3genE4ELNS1_11target_archE910ELNS1_3gpuE8ELNS1_3repE0EEENS1_30default_config_static_selectorELNS0_4arch9wavefront6targetE0EEEvSM_
    .private_segment_fixed_size: 0
    .sgpr_count:     0
    .sgpr_spill_count: 0
    .symbol:         _ZN7rocprim17ROCPRIM_400000_NS6detail17trampoline_kernelINS0_14default_configENS1_22reduce_config_selectorIlEEZNS1_11reduce_implILb1ES3_PlS7_lN6hipcub16HIPCUB_304000_NS6detail34convert_binary_result_type_wrapperINS9_3SumENS9_22TransformInputIteratorIb7NonZeroIiEPilEElEEEE10hipError_tPvRmT1_T2_T3_mT4_P12ihipStream_tbEUlT_E0_NS1_11comp_targetILNS1_3genE4ELNS1_11target_archE910ELNS1_3gpuE8ELNS1_3repE0EEENS1_30default_config_static_selectorELNS0_4arch9wavefront6targetE0EEEvSM_.kd
    .uniform_work_group_size: 1
    .uses_dynamic_stack: false
    .vgpr_count:     0
    .vgpr_spill_count: 0
    .wavefront_size: 32
    .workgroup_processor_mode: 1
  - .args:
      - .offset:         0
        .size:           64
        .value_kind:     by_value
    .group_segment_fixed_size: 0
    .kernarg_segment_align: 8
    .kernarg_segment_size: 64
    .language:       OpenCL C
    .language_version:
      - 2
      - 0
    .max_flat_workgroup_size: 256
    .name:           _ZN7rocprim17ROCPRIM_400000_NS6detail17trampoline_kernelINS0_14default_configENS1_22reduce_config_selectorIlEEZNS1_11reduce_implILb1ES3_PlS7_lN6hipcub16HIPCUB_304000_NS6detail34convert_binary_result_type_wrapperINS9_3SumENS9_22TransformInputIteratorIb7NonZeroIiEPilEElEEEE10hipError_tPvRmT1_T2_T3_mT4_P12ihipStream_tbEUlT_E0_NS1_11comp_targetILNS1_3genE3ELNS1_11target_archE908ELNS1_3gpuE7ELNS1_3repE0EEENS1_30default_config_static_selectorELNS0_4arch9wavefront6targetE0EEEvSM_
    .private_segment_fixed_size: 0
    .sgpr_count:     0
    .sgpr_spill_count: 0
    .symbol:         _ZN7rocprim17ROCPRIM_400000_NS6detail17trampoline_kernelINS0_14default_configENS1_22reduce_config_selectorIlEEZNS1_11reduce_implILb1ES3_PlS7_lN6hipcub16HIPCUB_304000_NS6detail34convert_binary_result_type_wrapperINS9_3SumENS9_22TransformInputIteratorIb7NonZeroIiEPilEElEEEE10hipError_tPvRmT1_T2_T3_mT4_P12ihipStream_tbEUlT_E0_NS1_11comp_targetILNS1_3genE3ELNS1_11target_archE908ELNS1_3gpuE7ELNS1_3repE0EEENS1_30default_config_static_selectorELNS0_4arch9wavefront6targetE0EEEvSM_.kd
    .uniform_work_group_size: 1
    .uses_dynamic_stack: false
    .vgpr_count:     0
    .vgpr_spill_count: 0
    .wavefront_size: 32
    .workgroup_processor_mode: 1
  - .args:
      - .offset:         0
        .size:           64
        .value_kind:     by_value
    .group_segment_fixed_size: 0
    .kernarg_segment_align: 8
    .kernarg_segment_size: 64
    .language:       OpenCL C
    .language_version:
      - 2
      - 0
    .max_flat_workgroup_size: 256
    .name:           _ZN7rocprim17ROCPRIM_400000_NS6detail17trampoline_kernelINS0_14default_configENS1_22reduce_config_selectorIlEEZNS1_11reduce_implILb1ES3_PlS7_lN6hipcub16HIPCUB_304000_NS6detail34convert_binary_result_type_wrapperINS9_3SumENS9_22TransformInputIteratorIb7NonZeroIiEPilEElEEEE10hipError_tPvRmT1_T2_T3_mT4_P12ihipStream_tbEUlT_E0_NS1_11comp_targetILNS1_3genE2ELNS1_11target_archE906ELNS1_3gpuE6ELNS1_3repE0EEENS1_30default_config_static_selectorELNS0_4arch9wavefront6targetE0EEEvSM_
    .private_segment_fixed_size: 0
    .sgpr_count:     0
    .sgpr_spill_count: 0
    .symbol:         _ZN7rocprim17ROCPRIM_400000_NS6detail17trampoline_kernelINS0_14default_configENS1_22reduce_config_selectorIlEEZNS1_11reduce_implILb1ES3_PlS7_lN6hipcub16HIPCUB_304000_NS6detail34convert_binary_result_type_wrapperINS9_3SumENS9_22TransformInputIteratorIb7NonZeroIiEPilEElEEEE10hipError_tPvRmT1_T2_T3_mT4_P12ihipStream_tbEUlT_E0_NS1_11comp_targetILNS1_3genE2ELNS1_11target_archE906ELNS1_3gpuE6ELNS1_3repE0EEENS1_30default_config_static_selectorELNS0_4arch9wavefront6targetE0EEEvSM_.kd
    .uniform_work_group_size: 1
    .uses_dynamic_stack: false
    .vgpr_count:     0
    .vgpr_spill_count: 0
    .wavefront_size: 32
    .workgroup_processor_mode: 1
  - .args:
      - .offset:         0
        .size:           64
        .value_kind:     by_value
    .group_segment_fixed_size: 0
    .kernarg_segment_align: 8
    .kernarg_segment_size: 64
    .language:       OpenCL C
    .language_version:
      - 2
      - 0
    .max_flat_workgroup_size: 256
    .name:           _ZN7rocprim17ROCPRIM_400000_NS6detail17trampoline_kernelINS0_14default_configENS1_22reduce_config_selectorIlEEZNS1_11reduce_implILb1ES3_PlS7_lN6hipcub16HIPCUB_304000_NS6detail34convert_binary_result_type_wrapperINS9_3SumENS9_22TransformInputIteratorIb7NonZeroIiEPilEElEEEE10hipError_tPvRmT1_T2_T3_mT4_P12ihipStream_tbEUlT_E0_NS1_11comp_targetILNS1_3genE10ELNS1_11target_archE1201ELNS1_3gpuE5ELNS1_3repE0EEENS1_30default_config_static_selectorELNS0_4arch9wavefront6targetE0EEEvSM_
    .private_segment_fixed_size: 0
    .sgpr_count:     0
    .sgpr_spill_count: 0
    .symbol:         _ZN7rocprim17ROCPRIM_400000_NS6detail17trampoline_kernelINS0_14default_configENS1_22reduce_config_selectorIlEEZNS1_11reduce_implILb1ES3_PlS7_lN6hipcub16HIPCUB_304000_NS6detail34convert_binary_result_type_wrapperINS9_3SumENS9_22TransformInputIteratorIb7NonZeroIiEPilEElEEEE10hipError_tPvRmT1_T2_T3_mT4_P12ihipStream_tbEUlT_E0_NS1_11comp_targetILNS1_3genE10ELNS1_11target_archE1201ELNS1_3gpuE5ELNS1_3repE0EEENS1_30default_config_static_selectorELNS0_4arch9wavefront6targetE0EEEvSM_.kd
    .uniform_work_group_size: 1
    .uses_dynamic_stack: false
    .vgpr_count:     0
    .vgpr_spill_count: 0
    .wavefront_size: 32
    .workgroup_processor_mode: 1
  - .args:
      - .offset:         0
        .size:           64
        .value_kind:     by_value
    .group_segment_fixed_size: 0
    .kernarg_segment_align: 8
    .kernarg_segment_size: 64
    .language:       OpenCL C
    .language_version:
      - 2
      - 0
    .max_flat_workgroup_size: 256
    .name:           _ZN7rocprim17ROCPRIM_400000_NS6detail17trampoline_kernelINS0_14default_configENS1_22reduce_config_selectorIlEEZNS1_11reduce_implILb1ES3_PlS7_lN6hipcub16HIPCUB_304000_NS6detail34convert_binary_result_type_wrapperINS9_3SumENS9_22TransformInputIteratorIb7NonZeroIiEPilEElEEEE10hipError_tPvRmT1_T2_T3_mT4_P12ihipStream_tbEUlT_E0_NS1_11comp_targetILNS1_3genE10ELNS1_11target_archE1200ELNS1_3gpuE4ELNS1_3repE0EEENS1_30default_config_static_selectorELNS0_4arch9wavefront6targetE0EEEvSM_
    .private_segment_fixed_size: 0
    .sgpr_count:     0
    .sgpr_spill_count: 0
    .symbol:         _ZN7rocprim17ROCPRIM_400000_NS6detail17trampoline_kernelINS0_14default_configENS1_22reduce_config_selectorIlEEZNS1_11reduce_implILb1ES3_PlS7_lN6hipcub16HIPCUB_304000_NS6detail34convert_binary_result_type_wrapperINS9_3SumENS9_22TransformInputIteratorIb7NonZeroIiEPilEElEEEE10hipError_tPvRmT1_T2_T3_mT4_P12ihipStream_tbEUlT_E0_NS1_11comp_targetILNS1_3genE10ELNS1_11target_archE1200ELNS1_3gpuE4ELNS1_3repE0EEENS1_30default_config_static_selectorELNS0_4arch9wavefront6targetE0EEEvSM_.kd
    .uniform_work_group_size: 1
    .uses_dynamic_stack: false
    .vgpr_count:     0
    .vgpr_spill_count: 0
    .wavefront_size: 32
    .workgroup_processor_mode: 1
  - .args:
      - .offset:         0
        .size:           64
        .value_kind:     by_value
    .group_segment_fixed_size: 128
    .kernarg_segment_align: 8
    .kernarg_segment_size: 64
    .language:       OpenCL C
    .language_version:
      - 2
      - 0
    .max_flat_workgroup_size: 256
    .name:           _ZN7rocprim17ROCPRIM_400000_NS6detail17trampoline_kernelINS0_14default_configENS1_22reduce_config_selectorIlEEZNS1_11reduce_implILb1ES3_PlS7_lN6hipcub16HIPCUB_304000_NS6detail34convert_binary_result_type_wrapperINS9_3SumENS9_22TransformInputIteratorIb7NonZeroIiEPilEElEEEE10hipError_tPvRmT1_T2_T3_mT4_P12ihipStream_tbEUlT_E0_NS1_11comp_targetILNS1_3genE9ELNS1_11target_archE1100ELNS1_3gpuE3ELNS1_3repE0EEENS1_30default_config_static_selectorELNS0_4arch9wavefront6targetE0EEEvSM_
    .private_segment_fixed_size: 0
    .sgpr_count:     22
    .sgpr_spill_count: 0
    .symbol:         _ZN7rocprim17ROCPRIM_400000_NS6detail17trampoline_kernelINS0_14default_configENS1_22reduce_config_selectorIlEEZNS1_11reduce_implILb1ES3_PlS7_lN6hipcub16HIPCUB_304000_NS6detail34convert_binary_result_type_wrapperINS9_3SumENS9_22TransformInputIteratorIb7NonZeroIiEPilEElEEEE10hipError_tPvRmT1_T2_T3_mT4_P12ihipStream_tbEUlT_E0_NS1_11comp_targetILNS1_3genE9ELNS1_11target_archE1100ELNS1_3gpuE3ELNS1_3repE0EEENS1_30default_config_static_selectorELNS0_4arch9wavefront6targetE0EEEvSM_.kd
    .uniform_work_group_size: 1
    .uses_dynamic_stack: false
    .vgpr_count:     12
    .vgpr_spill_count: 0
    .wavefront_size: 32
    .workgroup_processor_mode: 1
  - .args:
      - .offset:         0
        .size:           64
        .value_kind:     by_value
    .group_segment_fixed_size: 0
    .kernarg_segment_align: 8
    .kernarg_segment_size: 64
    .language:       OpenCL C
    .language_version:
      - 2
      - 0
    .max_flat_workgroup_size: 256
    .name:           _ZN7rocprim17ROCPRIM_400000_NS6detail17trampoline_kernelINS0_14default_configENS1_22reduce_config_selectorIlEEZNS1_11reduce_implILb1ES3_PlS7_lN6hipcub16HIPCUB_304000_NS6detail34convert_binary_result_type_wrapperINS9_3SumENS9_22TransformInputIteratorIb7NonZeroIiEPilEElEEEE10hipError_tPvRmT1_T2_T3_mT4_P12ihipStream_tbEUlT_E0_NS1_11comp_targetILNS1_3genE8ELNS1_11target_archE1030ELNS1_3gpuE2ELNS1_3repE0EEENS1_30default_config_static_selectorELNS0_4arch9wavefront6targetE0EEEvSM_
    .private_segment_fixed_size: 0
    .sgpr_count:     0
    .sgpr_spill_count: 0
    .symbol:         _ZN7rocprim17ROCPRIM_400000_NS6detail17trampoline_kernelINS0_14default_configENS1_22reduce_config_selectorIlEEZNS1_11reduce_implILb1ES3_PlS7_lN6hipcub16HIPCUB_304000_NS6detail34convert_binary_result_type_wrapperINS9_3SumENS9_22TransformInputIteratorIb7NonZeroIiEPilEElEEEE10hipError_tPvRmT1_T2_T3_mT4_P12ihipStream_tbEUlT_E0_NS1_11comp_targetILNS1_3genE8ELNS1_11target_archE1030ELNS1_3gpuE2ELNS1_3repE0EEENS1_30default_config_static_selectorELNS0_4arch9wavefront6targetE0EEEvSM_.kd
    .uniform_work_group_size: 1
    .uses_dynamic_stack: false
    .vgpr_count:     0
    .vgpr_spill_count: 0
    .wavefront_size: 32
    .workgroup_processor_mode: 1
  - .args:
      - .offset:         0
        .size:           48
        .value_kind:     by_value
    .group_segment_fixed_size: 0
    .kernarg_segment_align: 8
    .kernarg_segment_size: 48
    .language:       OpenCL C
    .language_version:
      - 2
      - 0
    .max_flat_workgroup_size: 256
    .name:           _ZN7rocprim17ROCPRIM_400000_NS6detail17trampoline_kernelINS0_14default_configENS1_22reduce_config_selectorIlEEZNS1_11reduce_implILb1ES3_PlS7_lN6hipcub16HIPCUB_304000_NS6detail34convert_binary_result_type_wrapperINS9_3SumENS9_22TransformInputIteratorIb7NonZeroIiEPilEElEEEE10hipError_tPvRmT1_T2_T3_mT4_P12ihipStream_tbEUlT_E1_NS1_11comp_targetILNS1_3genE0ELNS1_11target_archE4294967295ELNS1_3gpuE0ELNS1_3repE0EEENS1_30default_config_static_selectorELNS0_4arch9wavefront6targetE0EEEvSM_
    .private_segment_fixed_size: 0
    .sgpr_count:     0
    .sgpr_spill_count: 0
    .symbol:         _ZN7rocprim17ROCPRIM_400000_NS6detail17trampoline_kernelINS0_14default_configENS1_22reduce_config_selectorIlEEZNS1_11reduce_implILb1ES3_PlS7_lN6hipcub16HIPCUB_304000_NS6detail34convert_binary_result_type_wrapperINS9_3SumENS9_22TransformInputIteratorIb7NonZeroIiEPilEElEEEE10hipError_tPvRmT1_T2_T3_mT4_P12ihipStream_tbEUlT_E1_NS1_11comp_targetILNS1_3genE0ELNS1_11target_archE4294967295ELNS1_3gpuE0ELNS1_3repE0EEENS1_30default_config_static_selectorELNS0_4arch9wavefront6targetE0EEEvSM_.kd
    .uniform_work_group_size: 1
    .uses_dynamic_stack: false
    .vgpr_count:     0
    .vgpr_spill_count: 0
    .wavefront_size: 32
    .workgroup_processor_mode: 1
  - .args:
      - .offset:         0
        .size:           48
        .value_kind:     by_value
    .group_segment_fixed_size: 0
    .kernarg_segment_align: 8
    .kernarg_segment_size: 48
    .language:       OpenCL C
    .language_version:
      - 2
      - 0
    .max_flat_workgroup_size: 256
    .name:           _ZN7rocprim17ROCPRIM_400000_NS6detail17trampoline_kernelINS0_14default_configENS1_22reduce_config_selectorIlEEZNS1_11reduce_implILb1ES3_PlS7_lN6hipcub16HIPCUB_304000_NS6detail34convert_binary_result_type_wrapperINS9_3SumENS9_22TransformInputIteratorIb7NonZeroIiEPilEElEEEE10hipError_tPvRmT1_T2_T3_mT4_P12ihipStream_tbEUlT_E1_NS1_11comp_targetILNS1_3genE5ELNS1_11target_archE942ELNS1_3gpuE9ELNS1_3repE0EEENS1_30default_config_static_selectorELNS0_4arch9wavefront6targetE0EEEvSM_
    .private_segment_fixed_size: 0
    .sgpr_count:     0
    .sgpr_spill_count: 0
    .symbol:         _ZN7rocprim17ROCPRIM_400000_NS6detail17trampoline_kernelINS0_14default_configENS1_22reduce_config_selectorIlEEZNS1_11reduce_implILb1ES3_PlS7_lN6hipcub16HIPCUB_304000_NS6detail34convert_binary_result_type_wrapperINS9_3SumENS9_22TransformInputIteratorIb7NonZeroIiEPilEElEEEE10hipError_tPvRmT1_T2_T3_mT4_P12ihipStream_tbEUlT_E1_NS1_11comp_targetILNS1_3genE5ELNS1_11target_archE942ELNS1_3gpuE9ELNS1_3repE0EEENS1_30default_config_static_selectorELNS0_4arch9wavefront6targetE0EEEvSM_.kd
    .uniform_work_group_size: 1
    .uses_dynamic_stack: false
    .vgpr_count:     0
    .vgpr_spill_count: 0
    .wavefront_size: 32
    .workgroup_processor_mode: 1
  - .args:
      - .offset:         0
        .size:           48
        .value_kind:     by_value
    .group_segment_fixed_size: 0
    .kernarg_segment_align: 8
    .kernarg_segment_size: 48
    .language:       OpenCL C
    .language_version:
      - 2
      - 0
    .max_flat_workgroup_size: 256
    .name:           _ZN7rocprim17ROCPRIM_400000_NS6detail17trampoline_kernelINS0_14default_configENS1_22reduce_config_selectorIlEEZNS1_11reduce_implILb1ES3_PlS7_lN6hipcub16HIPCUB_304000_NS6detail34convert_binary_result_type_wrapperINS9_3SumENS9_22TransformInputIteratorIb7NonZeroIiEPilEElEEEE10hipError_tPvRmT1_T2_T3_mT4_P12ihipStream_tbEUlT_E1_NS1_11comp_targetILNS1_3genE4ELNS1_11target_archE910ELNS1_3gpuE8ELNS1_3repE0EEENS1_30default_config_static_selectorELNS0_4arch9wavefront6targetE0EEEvSM_
    .private_segment_fixed_size: 0
    .sgpr_count:     0
    .sgpr_spill_count: 0
    .symbol:         _ZN7rocprim17ROCPRIM_400000_NS6detail17trampoline_kernelINS0_14default_configENS1_22reduce_config_selectorIlEEZNS1_11reduce_implILb1ES3_PlS7_lN6hipcub16HIPCUB_304000_NS6detail34convert_binary_result_type_wrapperINS9_3SumENS9_22TransformInputIteratorIb7NonZeroIiEPilEElEEEE10hipError_tPvRmT1_T2_T3_mT4_P12ihipStream_tbEUlT_E1_NS1_11comp_targetILNS1_3genE4ELNS1_11target_archE910ELNS1_3gpuE8ELNS1_3repE0EEENS1_30default_config_static_selectorELNS0_4arch9wavefront6targetE0EEEvSM_.kd
    .uniform_work_group_size: 1
    .uses_dynamic_stack: false
    .vgpr_count:     0
    .vgpr_spill_count: 0
    .wavefront_size: 32
    .workgroup_processor_mode: 1
  - .args:
      - .offset:         0
        .size:           48
        .value_kind:     by_value
    .group_segment_fixed_size: 0
    .kernarg_segment_align: 8
    .kernarg_segment_size: 48
    .language:       OpenCL C
    .language_version:
      - 2
      - 0
    .max_flat_workgroup_size: 256
    .name:           _ZN7rocprim17ROCPRIM_400000_NS6detail17trampoline_kernelINS0_14default_configENS1_22reduce_config_selectorIlEEZNS1_11reduce_implILb1ES3_PlS7_lN6hipcub16HIPCUB_304000_NS6detail34convert_binary_result_type_wrapperINS9_3SumENS9_22TransformInputIteratorIb7NonZeroIiEPilEElEEEE10hipError_tPvRmT1_T2_T3_mT4_P12ihipStream_tbEUlT_E1_NS1_11comp_targetILNS1_3genE3ELNS1_11target_archE908ELNS1_3gpuE7ELNS1_3repE0EEENS1_30default_config_static_selectorELNS0_4arch9wavefront6targetE0EEEvSM_
    .private_segment_fixed_size: 0
    .sgpr_count:     0
    .sgpr_spill_count: 0
    .symbol:         _ZN7rocprim17ROCPRIM_400000_NS6detail17trampoline_kernelINS0_14default_configENS1_22reduce_config_selectorIlEEZNS1_11reduce_implILb1ES3_PlS7_lN6hipcub16HIPCUB_304000_NS6detail34convert_binary_result_type_wrapperINS9_3SumENS9_22TransformInputIteratorIb7NonZeroIiEPilEElEEEE10hipError_tPvRmT1_T2_T3_mT4_P12ihipStream_tbEUlT_E1_NS1_11comp_targetILNS1_3genE3ELNS1_11target_archE908ELNS1_3gpuE7ELNS1_3repE0EEENS1_30default_config_static_selectorELNS0_4arch9wavefront6targetE0EEEvSM_.kd
    .uniform_work_group_size: 1
    .uses_dynamic_stack: false
    .vgpr_count:     0
    .vgpr_spill_count: 0
    .wavefront_size: 32
    .workgroup_processor_mode: 1
  - .args:
      - .offset:         0
        .size:           48
        .value_kind:     by_value
    .group_segment_fixed_size: 0
    .kernarg_segment_align: 8
    .kernarg_segment_size: 48
    .language:       OpenCL C
    .language_version:
      - 2
      - 0
    .max_flat_workgroup_size: 256
    .name:           _ZN7rocprim17ROCPRIM_400000_NS6detail17trampoline_kernelINS0_14default_configENS1_22reduce_config_selectorIlEEZNS1_11reduce_implILb1ES3_PlS7_lN6hipcub16HIPCUB_304000_NS6detail34convert_binary_result_type_wrapperINS9_3SumENS9_22TransformInputIteratorIb7NonZeroIiEPilEElEEEE10hipError_tPvRmT1_T2_T3_mT4_P12ihipStream_tbEUlT_E1_NS1_11comp_targetILNS1_3genE2ELNS1_11target_archE906ELNS1_3gpuE6ELNS1_3repE0EEENS1_30default_config_static_selectorELNS0_4arch9wavefront6targetE0EEEvSM_
    .private_segment_fixed_size: 0
    .sgpr_count:     0
    .sgpr_spill_count: 0
    .symbol:         _ZN7rocprim17ROCPRIM_400000_NS6detail17trampoline_kernelINS0_14default_configENS1_22reduce_config_selectorIlEEZNS1_11reduce_implILb1ES3_PlS7_lN6hipcub16HIPCUB_304000_NS6detail34convert_binary_result_type_wrapperINS9_3SumENS9_22TransformInputIteratorIb7NonZeroIiEPilEElEEEE10hipError_tPvRmT1_T2_T3_mT4_P12ihipStream_tbEUlT_E1_NS1_11comp_targetILNS1_3genE2ELNS1_11target_archE906ELNS1_3gpuE6ELNS1_3repE0EEENS1_30default_config_static_selectorELNS0_4arch9wavefront6targetE0EEEvSM_.kd
    .uniform_work_group_size: 1
    .uses_dynamic_stack: false
    .vgpr_count:     0
    .vgpr_spill_count: 0
    .wavefront_size: 32
    .workgroup_processor_mode: 1
  - .args:
      - .offset:         0
        .size:           48
        .value_kind:     by_value
    .group_segment_fixed_size: 0
    .kernarg_segment_align: 8
    .kernarg_segment_size: 48
    .language:       OpenCL C
    .language_version:
      - 2
      - 0
    .max_flat_workgroup_size: 256
    .name:           _ZN7rocprim17ROCPRIM_400000_NS6detail17trampoline_kernelINS0_14default_configENS1_22reduce_config_selectorIlEEZNS1_11reduce_implILb1ES3_PlS7_lN6hipcub16HIPCUB_304000_NS6detail34convert_binary_result_type_wrapperINS9_3SumENS9_22TransformInputIteratorIb7NonZeroIiEPilEElEEEE10hipError_tPvRmT1_T2_T3_mT4_P12ihipStream_tbEUlT_E1_NS1_11comp_targetILNS1_3genE10ELNS1_11target_archE1201ELNS1_3gpuE5ELNS1_3repE0EEENS1_30default_config_static_selectorELNS0_4arch9wavefront6targetE0EEEvSM_
    .private_segment_fixed_size: 0
    .sgpr_count:     0
    .sgpr_spill_count: 0
    .symbol:         _ZN7rocprim17ROCPRIM_400000_NS6detail17trampoline_kernelINS0_14default_configENS1_22reduce_config_selectorIlEEZNS1_11reduce_implILb1ES3_PlS7_lN6hipcub16HIPCUB_304000_NS6detail34convert_binary_result_type_wrapperINS9_3SumENS9_22TransformInputIteratorIb7NonZeroIiEPilEElEEEE10hipError_tPvRmT1_T2_T3_mT4_P12ihipStream_tbEUlT_E1_NS1_11comp_targetILNS1_3genE10ELNS1_11target_archE1201ELNS1_3gpuE5ELNS1_3repE0EEENS1_30default_config_static_selectorELNS0_4arch9wavefront6targetE0EEEvSM_.kd
    .uniform_work_group_size: 1
    .uses_dynamic_stack: false
    .vgpr_count:     0
    .vgpr_spill_count: 0
    .wavefront_size: 32
    .workgroup_processor_mode: 1
  - .args:
      - .offset:         0
        .size:           48
        .value_kind:     by_value
    .group_segment_fixed_size: 0
    .kernarg_segment_align: 8
    .kernarg_segment_size: 48
    .language:       OpenCL C
    .language_version:
      - 2
      - 0
    .max_flat_workgroup_size: 256
    .name:           _ZN7rocprim17ROCPRIM_400000_NS6detail17trampoline_kernelINS0_14default_configENS1_22reduce_config_selectorIlEEZNS1_11reduce_implILb1ES3_PlS7_lN6hipcub16HIPCUB_304000_NS6detail34convert_binary_result_type_wrapperINS9_3SumENS9_22TransformInputIteratorIb7NonZeroIiEPilEElEEEE10hipError_tPvRmT1_T2_T3_mT4_P12ihipStream_tbEUlT_E1_NS1_11comp_targetILNS1_3genE10ELNS1_11target_archE1200ELNS1_3gpuE4ELNS1_3repE0EEENS1_30default_config_static_selectorELNS0_4arch9wavefront6targetE0EEEvSM_
    .private_segment_fixed_size: 0
    .sgpr_count:     0
    .sgpr_spill_count: 0
    .symbol:         _ZN7rocprim17ROCPRIM_400000_NS6detail17trampoline_kernelINS0_14default_configENS1_22reduce_config_selectorIlEEZNS1_11reduce_implILb1ES3_PlS7_lN6hipcub16HIPCUB_304000_NS6detail34convert_binary_result_type_wrapperINS9_3SumENS9_22TransformInputIteratorIb7NonZeroIiEPilEElEEEE10hipError_tPvRmT1_T2_T3_mT4_P12ihipStream_tbEUlT_E1_NS1_11comp_targetILNS1_3genE10ELNS1_11target_archE1200ELNS1_3gpuE4ELNS1_3repE0EEENS1_30default_config_static_selectorELNS0_4arch9wavefront6targetE0EEEvSM_.kd
    .uniform_work_group_size: 1
    .uses_dynamic_stack: false
    .vgpr_count:     0
    .vgpr_spill_count: 0
    .wavefront_size: 32
    .workgroup_processor_mode: 1
  - .args:
      - .offset:         0
        .size:           48
        .value_kind:     by_value
    .group_segment_fixed_size: 384
    .kernarg_segment_align: 8
    .kernarg_segment_size: 48
    .language:       OpenCL C
    .language_version:
      - 2
      - 0
    .max_flat_workgroup_size: 256
    .name:           _ZN7rocprim17ROCPRIM_400000_NS6detail17trampoline_kernelINS0_14default_configENS1_22reduce_config_selectorIlEEZNS1_11reduce_implILb1ES3_PlS7_lN6hipcub16HIPCUB_304000_NS6detail34convert_binary_result_type_wrapperINS9_3SumENS9_22TransformInputIteratorIb7NonZeroIiEPilEElEEEE10hipError_tPvRmT1_T2_T3_mT4_P12ihipStream_tbEUlT_E1_NS1_11comp_targetILNS1_3genE9ELNS1_11target_archE1100ELNS1_3gpuE3ELNS1_3repE0EEENS1_30default_config_static_selectorELNS0_4arch9wavefront6targetE0EEEvSM_
    .private_segment_fixed_size: 0
    .sgpr_count:     32
    .sgpr_spill_count: 0
    .symbol:         _ZN7rocprim17ROCPRIM_400000_NS6detail17trampoline_kernelINS0_14default_configENS1_22reduce_config_selectorIlEEZNS1_11reduce_implILb1ES3_PlS7_lN6hipcub16HIPCUB_304000_NS6detail34convert_binary_result_type_wrapperINS9_3SumENS9_22TransformInputIteratorIb7NonZeroIiEPilEElEEEE10hipError_tPvRmT1_T2_T3_mT4_P12ihipStream_tbEUlT_E1_NS1_11comp_targetILNS1_3genE9ELNS1_11target_archE1100ELNS1_3gpuE3ELNS1_3repE0EEENS1_30default_config_static_selectorELNS0_4arch9wavefront6targetE0EEEvSM_.kd
    .uniform_work_group_size: 1
    .uses_dynamic_stack: false
    .vgpr_count:     34
    .vgpr_spill_count: 0
    .wavefront_size: 32
    .workgroup_processor_mode: 1
  - .args:
      - .offset:         0
        .size:           48
        .value_kind:     by_value
    .group_segment_fixed_size: 0
    .kernarg_segment_align: 8
    .kernarg_segment_size: 48
    .language:       OpenCL C
    .language_version:
      - 2
      - 0
    .max_flat_workgroup_size: 256
    .name:           _ZN7rocprim17ROCPRIM_400000_NS6detail17trampoline_kernelINS0_14default_configENS1_22reduce_config_selectorIlEEZNS1_11reduce_implILb1ES3_PlS7_lN6hipcub16HIPCUB_304000_NS6detail34convert_binary_result_type_wrapperINS9_3SumENS9_22TransformInputIteratorIb7NonZeroIiEPilEElEEEE10hipError_tPvRmT1_T2_T3_mT4_P12ihipStream_tbEUlT_E1_NS1_11comp_targetILNS1_3genE8ELNS1_11target_archE1030ELNS1_3gpuE2ELNS1_3repE0EEENS1_30default_config_static_selectorELNS0_4arch9wavefront6targetE0EEEvSM_
    .private_segment_fixed_size: 0
    .sgpr_count:     0
    .sgpr_spill_count: 0
    .symbol:         _ZN7rocprim17ROCPRIM_400000_NS6detail17trampoline_kernelINS0_14default_configENS1_22reduce_config_selectorIlEEZNS1_11reduce_implILb1ES3_PlS7_lN6hipcub16HIPCUB_304000_NS6detail34convert_binary_result_type_wrapperINS9_3SumENS9_22TransformInputIteratorIb7NonZeroIiEPilEElEEEE10hipError_tPvRmT1_T2_T3_mT4_P12ihipStream_tbEUlT_E1_NS1_11comp_targetILNS1_3genE8ELNS1_11target_archE1030ELNS1_3gpuE2ELNS1_3repE0EEENS1_30default_config_static_selectorELNS0_4arch9wavefront6targetE0EEEvSM_.kd
    .uniform_work_group_size: 1
    .uses_dynamic_stack: false
    .vgpr_count:     0
    .vgpr_spill_count: 0
    .wavefront_size: 32
    .workgroup_processor_mode: 1
  - .args:
      - .offset:         0
        .size:           72
        .value_kind:     by_value
    .group_segment_fixed_size: 0
    .kernarg_segment_align: 8
    .kernarg_segment_size: 72
    .language:       OpenCL C
    .language_version:
      - 2
      - 0
    .max_flat_workgroup_size: 256
    .name:           _ZN7rocprim17ROCPRIM_400000_NS6detail17trampoline_kernelINS0_14default_configENS1_22reduce_config_selectorIbEEZNS1_11reduce_implILb1ES3_N6hipcub16HIPCUB_304000_NS22TransformInputIteratorIb7NonZeroIiEPilEEPllNS8_6detail34convert_binary_result_type_wrapperINS8_3SumESD_lEEEE10hipError_tPvRmT1_T2_T3_mT4_P12ihipStream_tbEUlT_E0_NS1_11comp_targetILNS1_3genE0ELNS1_11target_archE4294967295ELNS1_3gpuE0ELNS1_3repE0EEENS1_30default_config_static_selectorELNS0_4arch9wavefront6targetE0EEEvSM_
    .private_segment_fixed_size: 0
    .sgpr_count:     0
    .sgpr_spill_count: 0
    .symbol:         _ZN7rocprim17ROCPRIM_400000_NS6detail17trampoline_kernelINS0_14default_configENS1_22reduce_config_selectorIbEEZNS1_11reduce_implILb1ES3_N6hipcub16HIPCUB_304000_NS22TransformInputIteratorIb7NonZeroIiEPilEEPllNS8_6detail34convert_binary_result_type_wrapperINS8_3SumESD_lEEEE10hipError_tPvRmT1_T2_T3_mT4_P12ihipStream_tbEUlT_E0_NS1_11comp_targetILNS1_3genE0ELNS1_11target_archE4294967295ELNS1_3gpuE0ELNS1_3repE0EEENS1_30default_config_static_selectorELNS0_4arch9wavefront6targetE0EEEvSM_.kd
    .uniform_work_group_size: 1
    .uses_dynamic_stack: false
    .vgpr_count:     0
    .vgpr_spill_count: 0
    .wavefront_size: 32
    .workgroup_processor_mode: 1
  - .args:
      - .offset:         0
        .size:           72
        .value_kind:     by_value
    .group_segment_fixed_size: 0
    .kernarg_segment_align: 8
    .kernarg_segment_size: 72
    .language:       OpenCL C
    .language_version:
      - 2
      - 0
    .max_flat_workgroup_size: 256
    .name:           _ZN7rocprim17ROCPRIM_400000_NS6detail17trampoline_kernelINS0_14default_configENS1_22reduce_config_selectorIbEEZNS1_11reduce_implILb1ES3_N6hipcub16HIPCUB_304000_NS22TransformInputIteratorIb7NonZeroIiEPilEEPllNS8_6detail34convert_binary_result_type_wrapperINS8_3SumESD_lEEEE10hipError_tPvRmT1_T2_T3_mT4_P12ihipStream_tbEUlT_E0_NS1_11comp_targetILNS1_3genE5ELNS1_11target_archE942ELNS1_3gpuE9ELNS1_3repE0EEENS1_30default_config_static_selectorELNS0_4arch9wavefront6targetE0EEEvSM_
    .private_segment_fixed_size: 0
    .sgpr_count:     0
    .sgpr_spill_count: 0
    .symbol:         _ZN7rocprim17ROCPRIM_400000_NS6detail17trampoline_kernelINS0_14default_configENS1_22reduce_config_selectorIbEEZNS1_11reduce_implILb1ES3_N6hipcub16HIPCUB_304000_NS22TransformInputIteratorIb7NonZeroIiEPilEEPllNS8_6detail34convert_binary_result_type_wrapperINS8_3SumESD_lEEEE10hipError_tPvRmT1_T2_T3_mT4_P12ihipStream_tbEUlT_E0_NS1_11comp_targetILNS1_3genE5ELNS1_11target_archE942ELNS1_3gpuE9ELNS1_3repE0EEENS1_30default_config_static_selectorELNS0_4arch9wavefront6targetE0EEEvSM_.kd
    .uniform_work_group_size: 1
    .uses_dynamic_stack: false
    .vgpr_count:     0
    .vgpr_spill_count: 0
    .wavefront_size: 32
    .workgroup_processor_mode: 1
  - .args:
      - .offset:         0
        .size:           72
        .value_kind:     by_value
    .group_segment_fixed_size: 0
    .kernarg_segment_align: 8
    .kernarg_segment_size: 72
    .language:       OpenCL C
    .language_version:
      - 2
      - 0
    .max_flat_workgroup_size: 128
    .name:           _ZN7rocprim17ROCPRIM_400000_NS6detail17trampoline_kernelINS0_14default_configENS1_22reduce_config_selectorIbEEZNS1_11reduce_implILb1ES3_N6hipcub16HIPCUB_304000_NS22TransformInputIteratorIb7NonZeroIiEPilEEPllNS8_6detail34convert_binary_result_type_wrapperINS8_3SumESD_lEEEE10hipError_tPvRmT1_T2_T3_mT4_P12ihipStream_tbEUlT_E0_NS1_11comp_targetILNS1_3genE4ELNS1_11target_archE910ELNS1_3gpuE8ELNS1_3repE0EEENS1_30default_config_static_selectorELNS0_4arch9wavefront6targetE0EEEvSM_
    .private_segment_fixed_size: 0
    .sgpr_count:     0
    .sgpr_spill_count: 0
    .symbol:         _ZN7rocprim17ROCPRIM_400000_NS6detail17trampoline_kernelINS0_14default_configENS1_22reduce_config_selectorIbEEZNS1_11reduce_implILb1ES3_N6hipcub16HIPCUB_304000_NS22TransformInputIteratorIb7NonZeroIiEPilEEPllNS8_6detail34convert_binary_result_type_wrapperINS8_3SumESD_lEEEE10hipError_tPvRmT1_T2_T3_mT4_P12ihipStream_tbEUlT_E0_NS1_11comp_targetILNS1_3genE4ELNS1_11target_archE910ELNS1_3gpuE8ELNS1_3repE0EEENS1_30default_config_static_selectorELNS0_4arch9wavefront6targetE0EEEvSM_.kd
    .uniform_work_group_size: 1
    .uses_dynamic_stack: false
    .vgpr_count:     0
    .vgpr_spill_count: 0
    .wavefront_size: 32
    .workgroup_processor_mode: 1
  - .args:
      - .offset:         0
        .size:           72
        .value_kind:     by_value
    .group_segment_fixed_size: 0
    .kernarg_segment_align: 8
    .kernarg_segment_size: 72
    .language:       OpenCL C
    .language_version:
      - 2
      - 0
    .max_flat_workgroup_size: 256
    .name:           _ZN7rocprim17ROCPRIM_400000_NS6detail17trampoline_kernelINS0_14default_configENS1_22reduce_config_selectorIbEEZNS1_11reduce_implILb1ES3_N6hipcub16HIPCUB_304000_NS22TransformInputIteratorIb7NonZeroIiEPilEEPllNS8_6detail34convert_binary_result_type_wrapperINS8_3SumESD_lEEEE10hipError_tPvRmT1_T2_T3_mT4_P12ihipStream_tbEUlT_E0_NS1_11comp_targetILNS1_3genE3ELNS1_11target_archE908ELNS1_3gpuE7ELNS1_3repE0EEENS1_30default_config_static_selectorELNS0_4arch9wavefront6targetE0EEEvSM_
    .private_segment_fixed_size: 0
    .sgpr_count:     0
    .sgpr_spill_count: 0
    .symbol:         _ZN7rocprim17ROCPRIM_400000_NS6detail17trampoline_kernelINS0_14default_configENS1_22reduce_config_selectorIbEEZNS1_11reduce_implILb1ES3_N6hipcub16HIPCUB_304000_NS22TransformInputIteratorIb7NonZeroIiEPilEEPllNS8_6detail34convert_binary_result_type_wrapperINS8_3SumESD_lEEEE10hipError_tPvRmT1_T2_T3_mT4_P12ihipStream_tbEUlT_E0_NS1_11comp_targetILNS1_3genE3ELNS1_11target_archE908ELNS1_3gpuE7ELNS1_3repE0EEENS1_30default_config_static_selectorELNS0_4arch9wavefront6targetE0EEEvSM_.kd
    .uniform_work_group_size: 1
    .uses_dynamic_stack: false
    .vgpr_count:     0
    .vgpr_spill_count: 0
    .wavefront_size: 32
    .workgroup_processor_mode: 1
  - .args:
      - .offset:         0
        .size:           72
        .value_kind:     by_value
    .group_segment_fixed_size: 0
    .kernarg_segment_align: 8
    .kernarg_segment_size: 72
    .language:       OpenCL C
    .language_version:
      - 2
      - 0
    .max_flat_workgroup_size: 128
    .name:           _ZN7rocprim17ROCPRIM_400000_NS6detail17trampoline_kernelINS0_14default_configENS1_22reduce_config_selectorIbEEZNS1_11reduce_implILb1ES3_N6hipcub16HIPCUB_304000_NS22TransformInputIteratorIb7NonZeroIiEPilEEPllNS8_6detail34convert_binary_result_type_wrapperINS8_3SumESD_lEEEE10hipError_tPvRmT1_T2_T3_mT4_P12ihipStream_tbEUlT_E0_NS1_11comp_targetILNS1_3genE2ELNS1_11target_archE906ELNS1_3gpuE6ELNS1_3repE0EEENS1_30default_config_static_selectorELNS0_4arch9wavefront6targetE0EEEvSM_
    .private_segment_fixed_size: 0
    .sgpr_count:     0
    .sgpr_spill_count: 0
    .symbol:         _ZN7rocprim17ROCPRIM_400000_NS6detail17trampoline_kernelINS0_14default_configENS1_22reduce_config_selectorIbEEZNS1_11reduce_implILb1ES3_N6hipcub16HIPCUB_304000_NS22TransformInputIteratorIb7NonZeroIiEPilEEPllNS8_6detail34convert_binary_result_type_wrapperINS8_3SumESD_lEEEE10hipError_tPvRmT1_T2_T3_mT4_P12ihipStream_tbEUlT_E0_NS1_11comp_targetILNS1_3genE2ELNS1_11target_archE906ELNS1_3gpuE6ELNS1_3repE0EEENS1_30default_config_static_selectorELNS0_4arch9wavefront6targetE0EEEvSM_.kd
    .uniform_work_group_size: 1
    .uses_dynamic_stack: false
    .vgpr_count:     0
    .vgpr_spill_count: 0
    .wavefront_size: 32
    .workgroup_processor_mode: 1
  - .args:
      - .offset:         0
        .size:           72
        .value_kind:     by_value
    .group_segment_fixed_size: 0
    .kernarg_segment_align: 8
    .kernarg_segment_size: 72
    .language:       OpenCL C
    .language_version:
      - 2
      - 0
    .max_flat_workgroup_size: 256
    .name:           _ZN7rocprim17ROCPRIM_400000_NS6detail17trampoline_kernelINS0_14default_configENS1_22reduce_config_selectorIbEEZNS1_11reduce_implILb1ES3_N6hipcub16HIPCUB_304000_NS22TransformInputIteratorIb7NonZeroIiEPilEEPllNS8_6detail34convert_binary_result_type_wrapperINS8_3SumESD_lEEEE10hipError_tPvRmT1_T2_T3_mT4_P12ihipStream_tbEUlT_E0_NS1_11comp_targetILNS1_3genE10ELNS1_11target_archE1201ELNS1_3gpuE5ELNS1_3repE0EEENS1_30default_config_static_selectorELNS0_4arch9wavefront6targetE0EEEvSM_
    .private_segment_fixed_size: 0
    .sgpr_count:     0
    .sgpr_spill_count: 0
    .symbol:         _ZN7rocprim17ROCPRIM_400000_NS6detail17trampoline_kernelINS0_14default_configENS1_22reduce_config_selectorIbEEZNS1_11reduce_implILb1ES3_N6hipcub16HIPCUB_304000_NS22TransformInputIteratorIb7NonZeroIiEPilEEPllNS8_6detail34convert_binary_result_type_wrapperINS8_3SumESD_lEEEE10hipError_tPvRmT1_T2_T3_mT4_P12ihipStream_tbEUlT_E0_NS1_11comp_targetILNS1_3genE10ELNS1_11target_archE1201ELNS1_3gpuE5ELNS1_3repE0EEENS1_30default_config_static_selectorELNS0_4arch9wavefront6targetE0EEEvSM_.kd
    .uniform_work_group_size: 1
    .uses_dynamic_stack: false
    .vgpr_count:     0
    .vgpr_spill_count: 0
    .wavefront_size: 32
    .workgroup_processor_mode: 1
  - .args:
      - .offset:         0
        .size:           72
        .value_kind:     by_value
    .group_segment_fixed_size: 0
    .kernarg_segment_align: 8
    .kernarg_segment_size: 72
    .language:       OpenCL C
    .language_version:
      - 2
      - 0
    .max_flat_workgroup_size: 256
    .name:           _ZN7rocprim17ROCPRIM_400000_NS6detail17trampoline_kernelINS0_14default_configENS1_22reduce_config_selectorIbEEZNS1_11reduce_implILb1ES3_N6hipcub16HIPCUB_304000_NS22TransformInputIteratorIb7NonZeroIiEPilEEPllNS8_6detail34convert_binary_result_type_wrapperINS8_3SumESD_lEEEE10hipError_tPvRmT1_T2_T3_mT4_P12ihipStream_tbEUlT_E0_NS1_11comp_targetILNS1_3genE10ELNS1_11target_archE1200ELNS1_3gpuE4ELNS1_3repE0EEENS1_30default_config_static_selectorELNS0_4arch9wavefront6targetE0EEEvSM_
    .private_segment_fixed_size: 0
    .sgpr_count:     0
    .sgpr_spill_count: 0
    .symbol:         _ZN7rocprim17ROCPRIM_400000_NS6detail17trampoline_kernelINS0_14default_configENS1_22reduce_config_selectorIbEEZNS1_11reduce_implILb1ES3_N6hipcub16HIPCUB_304000_NS22TransformInputIteratorIb7NonZeroIiEPilEEPllNS8_6detail34convert_binary_result_type_wrapperINS8_3SumESD_lEEEE10hipError_tPvRmT1_T2_T3_mT4_P12ihipStream_tbEUlT_E0_NS1_11comp_targetILNS1_3genE10ELNS1_11target_archE1200ELNS1_3gpuE4ELNS1_3repE0EEENS1_30default_config_static_selectorELNS0_4arch9wavefront6targetE0EEEvSM_.kd
    .uniform_work_group_size: 1
    .uses_dynamic_stack: false
    .vgpr_count:     0
    .vgpr_spill_count: 0
    .wavefront_size: 32
    .workgroup_processor_mode: 1
  - .args:
      - .offset:         0
        .size:           72
        .value_kind:     by_value
    .group_segment_fixed_size: 64
    .kernarg_segment_align: 8
    .kernarg_segment_size: 72
    .language:       OpenCL C
    .language_version:
      - 2
      - 0
    .max_flat_workgroup_size: 128
    .name:           _ZN7rocprim17ROCPRIM_400000_NS6detail17trampoline_kernelINS0_14default_configENS1_22reduce_config_selectorIbEEZNS1_11reduce_implILb1ES3_N6hipcub16HIPCUB_304000_NS22TransformInputIteratorIb7NonZeroIiEPilEEPllNS8_6detail34convert_binary_result_type_wrapperINS8_3SumESD_lEEEE10hipError_tPvRmT1_T2_T3_mT4_P12ihipStream_tbEUlT_E0_NS1_11comp_targetILNS1_3genE9ELNS1_11target_archE1100ELNS1_3gpuE3ELNS1_3repE0EEENS1_30default_config_static_selectorELNS0_4arch9wavefront6targetE0EEEvSM_
    .private_segment_fixed_size: 0
    .sgpr_count:     32
    .sgpr_spill_count: 0
    .symbol:         _ZN7rocprim17ROCPRIM_400000_NS6detail17trampoline_kernelINS0_14default_configENS1_22reduce_config_selectorIbEEZNS1_11reduce_implILb1ES3_N6hipcub16HIPCUB_304000_NS22TransformInputIteratorIb7NonZeroIiEPilEEPllNS8_6detail34convert_binary_result_type_wrapperINS8_3SumESD_lEEEE10hipError_tPvRmT1_T2_T3_mT4_P12ihipStream_tbEUlT_E0_NS1_11comp_targetILNS1_3genE9ELNS1_11target_archE1100ELNS1_3gpuE3ELNS1_3repE0EEENS1_30default_config_static_selectorELNS0_4arch9wavefront6targetE0EEEvSM_.kd
    .uniform_work_group_size: 1
    .uses_dynamic_stack: false
    .vgpr_count:     36
    .vgpr_spill_count: 0
    .wavefront_size: 32
    .workgroup_processor_mode: 1
  - .args:
      - .offset:         0
        .size:           72
        .value_kind:     by_value
    .group_segment_fixed_size: 0
    .kernarg_segment_align: 8
    .kernarg_segment_size: 72
    .language:       OpenCL C
    .language_version:
      - 2
      - 0
    .max_flat_workgroup_size: 256
    .name:           _ZN7rocprim17ROCPRIM_400000_NS6detail17trampoline_kernelINS0_14default_configENS1_22reduce_config_selectorIbEEZNS1_11reduce_implILb1ES3_N6hipcub16HIPCUB_304000_NS22TransformInputIteratorIb7NonZeroIiEPilEEPllNS8_6detail34convert_binary_result_type_wrapperINS8_3SumESD_lEEEE10hipError_tPvRmT1_T2_T3_mT4_P12ihipStream_tbEUlT_E0_NS1_11comp_targetILNS1_3genE8ELNS1_11target_archE1030ELNS1_3gpuE2ELNS1_3repE0EEENS1_30default_config_static_selectorELNS0_4arch9wavefront6targetE0EEEvSM_
    .private_segment_fixed_size: 0
    .sgpr_count:     0
    .sgpr_spill_count: 0
    .symbol:         _ZN7rocprim17ROCPRIM_400000_NS6detail17trampoline_kernelINS0_14default_configENS1_22reduce_config_selectorIbEEZNS1_11reduce_implILb1ES3_N6hipcub16HIPCUB_304000_NS22TransformInputIteratorIb7NonZeroIiEPilEEPllNS8_6detail34convert_binary_result_type_wrapperINS8_3SumESD_lEEEE10hipError_tPvRmT1_T2_T3_mT4_P12ihipStream_tbEUlT_E0_NS1_11comp_targetILNS1_3genE8ELNS1_11target_archE1030ELNS1_3gpuE2ELNS1_3repE0EEENS1_30default_config_static_selectorELNS0_4arch9wavefront6targetE0EEEvSM_.kd
    .uniform_work_group_size: 1
    .uses_dynamic_stack: false
    .vgpr_count:     0
    .vgpr_spill_count: 0
    .wavefront_size: 32
    .workgroup_processor_mode: 1
  - .args:
      - .offset:         0
        .size:           56
        .value_kind:     by_value
    .group_segment_fixed_size: 0
    .kernarg_segment_align: 8
    .kernarg_segment_size: 56
    .language:       OpenCL C
    .language_version:
      - 2
      - 0
    .max_flat_workgroup_size: 256
    .name:           _ZN7rocprim17ROCPRIM_400000_NS6detail17trampoline_kernelINS0_14default_configENS1_22reduce_config_selectorIbEEZNS1_11reduce_implILb1ES3_N6hipcub16HIPCUB_304000_NS22TransformInputIteratorIb7NonZeroIiEPilEEPllNS8_6detail34convert_binary_result_type_wrapperINS8_3SumESD_lEEEE10hipError_tPvRmT1_T2_T3_mT4_P12ihipStream_tbEUlT_E1_NS1_11comp_targetILNS1_3genE0ELNS1_11target_archE4294967295ELNS1_3gpuE0ELNS1_3repE0EEENS1_30default_config_static_selectorELNS0_4arch9wavefront6targetE0EEEvSM_
    .private_segment_fixed_size: 0
    .sgpr_count:     0
    .sgpr_spill_count: 0
    .symbol:         _ZN7rocprim17ROCPRIM_400000_NS6detail17trampoline_kernelINS0_14default_configENS1_22reduce_config_selectorIbEEZNS1_11reduce_implILb1ES3_N6hipcub16HIPCUB_304000_NS22TransformInputIteratorIb7NonZeroIiEPilEEPllNS8_6detail34convert_binary_result_type_wrapperINS8_3SumESD_lEEEE10hipError_tPvRmT1_T2_T3_mT4_P12ihipStream_tbEUlT_E1_NS1_11comp_targetILNS1_3genE0ELNS1_11target_archE4294967295ELNS1_3gpuE0ELNS1_3repE0EEENS1_30default_config_static_selectorELNS0_4arch9wavefront6targetE0EEEvSM_.kd
    .uniform_work_group_size: 1
    .uses_dynamic_stack: false
    .vgpr_count:     0
    .vgpr_spill_count: 0
    .wavefront_size: 32
    .workgroup_processor_mode: 1
  - .args:
      - .offset:         0
        .size:           56
        .value_kind:     by_value
    .group_segment_fixed_size: 0
    .kernarg_segment_align: 8
    .kernarg_segment_size: 56
    .language:       OpenCL C
    .language_version:
      - 2
      - 0
    .max_flat_workgroup_size: 256
    .name:           _ZN7rocprim17ROCPRIM_400000_NS6detail17trampoline_kernelINS0_14default_configENS1_22reduce_config_selectorIbEEZNS1_11reduce_implILb1ES3_N6hipcub16HIPCUB_304000_NS22TransformInputIteratorIb7NonZeroIiEPilEEPllNS8_6detail34convert_binary_result_type_wrapperINS8_3SumESD_lEEEE10hipError_tPvRmT1_T2_T3_mT4_P12ihipStream_tbEUlT_E1_NS1_11comp_targetILNS1_3genE5ELNS1_11target_archE942ELNS1_3gpuE9ELNS1_3repE0EEENS1_30default_config_static_selectorELNS0_4arch9wavefront6targetE0EEEvSM_
    .private_segment_fixed_size: 0
    .sgpr_count:     0
    .sgpr_spill_count: 0
    .symbol:         _ZN7rocprim17ROCPRIM_400000_NS6detail17trampoline_kernelINS0_14default_configENS1_22reduce_config_selectorIbEEZNS1_11reduce_implILb1ES3_N6hipcub16HIPCUB_304000_NS22TransformInputIteratorIb7NonZeroIiEPilEEPllNS8_6detail34convert_binary_result_type_wrapperINS8_3SumESD_lEEEE10hipError_tPvRmT1_T2_T3_mT4_P12ihipStream_tbEUlT_E1_NS1_11comp_targetILNS1_3genE5ELNS1_11target_archE942ELNS1_3gpuE9ELNS1_3repE0EEENS1_30default_config_static_selectorELNS0_4arch9wavefront6targetE0EEEvSM_.kd
    .uniform_work_group_size: 1
    .uses_dynamic_stack: false
    .vgpr_count:     0
    .vgpr_spill_count: 0
    .wavefront_size: 32
    .workgroup_processor_mode: 1
  - .args:
      - .offset:         0
        .size:           56
        .value_kind:     by_value
    .group_segment_fixed_size: 0
    .kernarg_segment_align: 8
    .kernarg_segment_size: 56
    .language:       OpenCL C
    .language_version:
      - 2
      - 0
    .max_flat_workgroup_size: 128
    .name:           _ZN7rocprim17ROCPRIM_400000_NS6detail17trampoline_kernelINS0_14default_configENS1_22reduce_config_selectorIbEEZNS1_11reduce_implILb1ES3_N6hipcub16HIPCUB_304000_NS22TransformInputIteratorIb7NonZeroIiEPilEEPllNS8_6detail34convert_binary_result_type_wrapperINS8_3SumESD_lEEEE10hipError_tPvRmT1_T2_T3_mT4_P12ihipStream_tbEUlT_E1_NS1_11comp_targetILNS1_3genE4ELNS1_11target_archE910ELNS1_3gpuE8ELNS1_3repE0EEENS1_30default_config_static_selectorELNS0_4arch9wavefront6targetE0EEEvSM_
    .private_segment_fixed_size: 0
    .sgpr_count:     0
    .sgpr_spill_count: 0
    .symbol:         _ZN7rocprim17ROCPRIM_400000_NS6detail17trampoline_kernelINS0_14default_configENS1_22reduce_config_selectorIbEEZNS1_11reduce_implILb1ES3_N6hipcub16HIPCUB_304000_NS22TransformInputIteratorIb7NonZeroIiEPilEEPllNS8_6detail34convert_binary_result_type_wrapperINS8_3SumESD_lEEEE10hipError_tPvRmT1_T2_T3_mT4_P12ihipStream_tbEUlT_E1_NS1_11comp_targetILNS1_3genE4ELNS1_11target_archE910ELNS1_3gpuE8ELNS1_3repE0EEENS1_30default_config_static_selectorELNS0_4arch9wavefront6targetE0EEEvSM_.kd
    .uniform_work_group_size: 1
    .uses_dynamic_stack: false
    .vgpr_count:     0
    .vgpr_spill_count: 0
    .wavefront_size: 32
    .workgroup_processor_mode: 1
  - .args:
      - .offset:         0
        .size:           56
        .value_kind:     by_value
    .group_segment_fixed_size: 0
    .kernarg_segment_align: 8
    .kernarg_segment_size: 56
    .language:       OpenCL C
    .language_version:
      - 2
      - 0
    .max_flat_workgroup_size: 256
    .name:           _ZN7rocprim17ROCPRIM_400000_NS6detail17trampoline_kernelINS0_14default_configENS1_22reduce_config_selectorIbEEZNS1_11reduce_implILb1ES3_N6hipcub16HIPCUB_304000_NS22TransformInputIteratorIb7NonZeroIiEPilEEPllNS8_6detail34convert_binary_result_type_wrapperINS8_3SumESD_lEEEE10hipError_tPvRmT1_T2_T3_mT4_P12ihipStream_tbEUlT_E1_NS1_11comp_targetILNS1_3genE3ELNS1_11target_archE908ELNS1_3gpuE7ELNS1_3repE0EEENS1_30default_config_static_selectorELNS0_4arch9wavefront6targetE0EEEvSM_
    .private_segment_fixed_size: 0
    .sgpr_count:     0
    .sgpr_spill_count: 0
    .symbol:         _ZN7rocprim17ROCPRIM_400000_NS6detail17trampoline_kernelINS0_14default_configENS1_22reduce_config_selectorIbEEZNS1_11reduce_implILb1ES3_N6hipcub16HIPCUB_304000_NS22TransformInputIteratorIb7NonZeroIiEPilEEPllNS8_6detail34convert_binary_result_type_wrapperINS8_3SumESD_lEEEE10hipError_tPvRmT1_T2_T3_mT4_P12ihipStream_tbEUlT_E1_NS1_11comp_targetILNS1_3genE3ELNS1_11target_archE908ELNS1_3gpuE7ELNS1_3repE0EEENS1_30default_config_static_selectorELNS0_4arch9wavefront6targetE0EEEvSM_.kd
    .uniform_work_group_size: 1
    .uses_dynamic_stack: false
    .vgpr_count:     0
    .vgpr_spill_count: 0
    .wavefront_size: 32
    .workgroup_processor_mode: 1
  - .args:
      - .offset:         0
        .size:           56
        .value_kind:     by_value
    .group_segment_fixed_size: 0
    .kernarg_segment_align: 8
    .kernarg_segment_size: 56
    .language:       OpenCL C
    .language_version:
      - 2
      - 0
    .max_flat_workgroup_size: 128
    .name:           _ZN7rocprim17ROCPRIM_400000_NS6detail17trampoline_kernelINS0_14default_configENS1_22reduce_config_selectorIbEEZNS1_11reduce_implILb1ES3_N6hipcub16HIPCUB_304000_NS22TransformInputIteratorIb7NonZeroIiEPilEEPllNS8_6detail34convert_binary_result_type_wrapperINS8_3SumESD_lEEEE10hipError_tPvRmT1_T2_T3_mT4_P12ihipStream_tbEUlT_E1_NS1_11comp_targetILNS1_3genE2ELNS1_11target_archE906ELNS1_3gpuE6ELNS1_3repE0EEENS1_30default_config_static_selectorELNS0_4arch9wavefront6targetE0EEEvSM_
    .private_segment_fixed_size: 0
    .sgpr_count:     0
    .sgpr_spill_count: 0
    .symbol:         _ZN7rocprim17ROCPRIM_400000_NS6detail17trampoline_kernelINS0_14default_configENS1_22reduce_config_selectorIbEEZNS1_11reduce_implILb1ES3_N6hipcub16HIPCUB_304000_NS22TransformInputIteratorIb7NonZeroIiEPilEEPllNS8_6detail34convert_binary_result_type_wrapperINS8_3SumESD_lEEEE10hipError_tPvRmT1_T2_T3_mT4_P12ihipStream_tbEUlT_E1_NS1_11comp_targetILNS1_3genE2ELNS1_11target_archE906ELNS1_3gpuE6ELNS1_3repE0EEENS1_30default_config_static_selectorELNS0_4arch9wavefront6targetE0EEEvSM_.kd
    .uniform_work_group_size: 1
    .uses_dynamic_stack: false
    .vgpr_count:     0
    .vgpr_spill_count: 0
    .wavefront_size: 32
    .workgroup_processor_mode: 1
  - .args:
      - .offset:         0
        .size:           56
        .value_kind:     by_value
    .group_segment_fixed_size: 0
    .kernarg_segment_align: 8
    .kernarg_segment_size: 56
    .language:       OpenCL C
    .language_version:
      - 2
      - 0
    .max_flat_workgroup_size: 256
    .name:           _ZN7rocprim17ROCPRIM_400000_NS6detail17trampoline_kernelINS0_14default_configENS1_22reduce_config_selectorIbEEZNS1_11reduce_implILb1ES3_N6hipcub16HIPCUB_304000_NS22TransformInputIteratorIb7NonZeroIiEPilEEPllNS8_6detail34convert_binary_result_type_wrapperINS8_3SumESD_lEEEE10hipError_tPvRmT1_T2_T3_mT4_P12ihipStream_tbEUlT_E1_NS1_11comp_targetILNS1_3genE10ELNS1_11target_archE1201ELNS1_3gpuE5ELNS1_3repE0EEENS1_30default_config_static_selectorELNS0_4arch9wavefront6targetE0EEEvSM_
    .private_segment_fixed_size: 0
    .sgpr_count:     0
    .sgpr_spill_count: 0
    .symbol:         _ZN7rocprim17ROCPRIM_400000_NS6detail17trampoline_kernelINS0_14default_configENS1_22reduce_config_selectorIbEEZNS1_11reduce_implILb1ES3_N6hipcub16HIPCUB_304000_NS22TransformInputIteratorIb7NonZeroIiEPilEEPllNS8_6detail34convert_binary_result_type_wrapperINS8_3SumESD_lEEEE10hipError_tPvRmT1_T2_T3_mT4_P12ihipStream_tbEUlT_E1_NS1_11comp_targetILNS1_3genE10ELNS1_11target_archE1201ELNS1_3gpuE5ELNS1_3repE0EEENS1_30default_config_static_selectorELNS0_4arch9wavefront6targetE0EEEvSM_.kd
    .uniform_work_group_size: 1
    .uses_dynamic_stack: false
    .vgpr_count:     0
    .vgpr_spill_count: 0
    .wavefront_size: 32
    .workgroup_processor_mode: 1
  - .args:
      - .offset:         0
        .size:           56
        .value_kind:     by_value
    .group_segment_fixed_size: 0
    .kernarg_segment_align: 8
    .kernarg_segment_size: 56
    .language:       OpenCL C
    .language_version:
      - 2
      - 0
    .max_flat_workgroup_size: 256
    .name:           _ZN7rocprim17ROCPRIM_400000_NS6detail17trampoline_kernelINS0_14default_configENS1_22reduce_config_selectorIbEEZNS1_11reduce_implILb1ES3_N6hipcub16HIPCUB_304000_NS22TransformInputIteratorIb7NonZeroIiEPilEEPllNS8_6detail34convert_binary_result_type_wrapperINS8_3SumESD_lEEEE10hipError_tPvRmT1_T2_T3_mT4_P12ihipStream_tbEUlT_E1_NS1_11comp_targetILNS1_3genE10ELNS1_11target_archE1200ELNS1_3gpuE4ELNS1_3repE0EEENS1_30default_config_static_selectorELNS0_4arch9wavefront6targetE0EEEvSM_
    .private_segment_fixed_size: 0
    .sgpr_count:     0
    .sgpr_spill_count: 0
    .symbol:         _ZN7rocprim17ROCPRIM_400000_NS6detail17trampoline_kernelINS0_14default_configENS1_22reduce_config_selectorIbEEZNS1_11reduce_implILb1ES3_N6hipcub16HIPCUB_304000_NS22TransformInputIteratorIb7NonZeroIiEPilEEPllNS8_6detail34convert_binary_result_type_wrapperINS8_3SumESD_lEEEE10hipError_tPvRmT1_T2_T3_mT4_P12ihipStream_tbEUlT_E1_NS1_11comp_targetILNS1_3genE10ELNS1_11target_archE1200ELNS1_3gpuE4ELNS1_3repE0EEENS1_30default_config_static_selectorELNS0_4arch9wavefront6targetE0EEEvSM_.kd
    .uniform_work_group_size: 1
    .uses_dynamic_stack: false
    .vgpr_count:     0
    .vgpr_spill_count: 0
    .wavefront_size: 32
    .workgroup_processor_mode: 1
  - .args:
      - .offset:         0
        .size:           56
        .value_kind:     by_value
    .group_segment_fixed_size: 288
    .kernarg_segment_align: 8
    .kernarg_segment_size: 56
    .language:       OpenCL C
    .language_version:
      - 2
      - 0
    .max_flat_workgroup_size: 128
    .name:           _ZN7rocprim17ROCPRIM_400000_NS6detail17trampoline_kernelINS0_14default_configENS1_22reduce_config_selectorIbEEZNS1_11reduce_implILb1ES3_N6hipcub16HIPCUB_304000_NS22TransformInputIteratorIb7NonZeroIiEPilEEPllNS8_6detail34convert_binary_result_type_wrapperINS8_3SumESD_lEEEE10hipError_tPvRmT1_T2_T3_mT4_P12ihipStream_tbEUlT_E1_NS1_11comp_targetILNS1_3genE9ELNS1_11target_archE1100ELNS1_3gpuE3ELNS1_3repE0EEENS1_30default_config_static_selectorELNS0_4arch9wavefront6targetE0EEEvSM_
    .private_segment_fixed_size: 20
    .sgpr_count:     31
    .sgpr_spill_count: 0
    .symbol:         _ZN7rocprim17ROCPRIM_400000_NS6detail17trampoline_kernelINS0_14default_configENS1_22reduce_config_selectorIbEEZNS1_11reduce_implILb1ES3_N6hipcub16HIPCUB_304000_NS22TransformInputIteratorIb7NonZeroIiEPilEEPllNS8_6detail34convert_binary_result_type_wrapperINS8_3SumESD_lEEEE10hipError_tPvRmT1_T2_T3_mT4_P12ihipStream_tbEUlT_E1_NS1_11comp_targetILNS1_3genE9ELNS1_11target_archE1100ELNS1_3gpuE3ELNS1_3repE0EEENS1_30default_config_static_selectorELNS0_4arch9wavefront6targetE0EEEvSM_.kd
    .uniform_work_group_size: 1
    .uses_dynamic_stack: false
    .vgpr_count:     256
    .vgpr_spill_count: 6
    .wavefront_size: 32
    .workgroup_processor_mode: 1
  - .args:
      - .offset:         0
        .size:           56
        .value_kind:     by_value
    .group_segment_fixed_size: 0
    .kernarg_segment_align: 8
    .kernarg_segment_size: 56
    .language:       OpenCL C
    .language_version:
      - 2
      - 0
    .max_flat_workgroup_size: 256
    .name:           _ZN7rocprim17ROCPRIM_400000_NS6detail17trampoline_kernelINS0_14default_configENS1_22reduce_config_selectorIbEEZNS1_11reduce_implILb1ES3_N6hipcub16HIPCUB_304000_NS22TransformInputIteratorIb7NonZeroIiEPilEEPllNS8_6detail34convert_binary_result_type_wrapperINS8_3SumESD_lEEEE10hipError_tPvRmT1_T2_T3_mT4_P12ihipStream_tbEUlT_E1_NS1_11comp_targetILNS1_3genE8ELNS1_11target_archE1030ELNS1_3gpuE2ELNS1_3repE0EEENS1_30default_config_static_selectorELNS0_4arch9wavefront6targetE0EEEvSM_
    .private_segment_fixed_size: 0
    .sgpr_count:     0
    .sgpr_spill_count: 0
    .symbol:         _ZN7rocprim17ROCPRIM_400000_NS6detail17trampoline_kernelINS0_14default_configENS1_22reduce_config_selectorIbEEZNS1_11reduce_implILb1ES3_N6hipcub16HIPCUB_304000_NS22TransformInputIteratorIb7NonZeroIiEPilEEPllNS8_6detail34convert_binary_result_type_wrapperINS8_3SumESD_lEEEE10hipError_tPvRmT1_T2_T3_mT4_P12ihipStream_tbEUlT_E1_NS1_11comp_targetILNS1_3genE8ELNS1_11target_archE1030ELNS1_3gpuE2ELNS1_3repE0EEENS1_30default_config_static_selectorELNS0_4arch9wavefront6targetE0EEEvSM_.kd
    .uniform_work_group_size: 1
    .uses_dynamic_stack: false
    .vgpr_count:     0
    .vgpr_spill_count: 0
    .wavefront_size: 32
    .workgroup_processor_mode: 1
  - .args:
      - .offset:         0
        .size:           120
        .value_kind:     by_value
    .group_segment_fixed_size: 0
    .kernarg_segment_align: 8
    .kernarg_segment_size: 120
    .language:       OpenCL C
    .language_version:
      - 2
      - 0
    .max_flat_workgroup_size: 128
    .name:           _ZN7rocprim17ROCPRIM_400000_NS6detail17trampoline_kernelINS0_14default_configENS1_25partition_config_selectorILNS1_17partition_subalgoE5ElNS0_10empty_typeEbEEZZNS1_14partition_implILS5_5ELb0ES3_mN6hipcub16HIPCUB_304000_NS21CountingInputIteratorIllEEPS6_NSA_22TransformInputIteratorIb7NonZeroIiEPilEENS0_5tupleIJPlS6_EEENSJ_IJSD_SD_EEES6_SK_JS6_EEE10hipError_tPvRmT3_T4_T5_T6_T7_T9_mT8_P12ihipStream_tbDpT10_ENKUlT_T0_E_clISt17integral_constantIbLb0EES16_EEDaS11_S12_EUlS11_E_NS1_11comp_targetILNS1_3genE0ELNS1_11target_archE4294967295ELNS1_3gpuE0ELNS1_3repE0EEENS1_30default_config_static_selectorELNS0_4arch9wavefront6targetE0EEEvT1_
    .private_segment_fixed_size: 0
    .sgpr_count:     0
    .sgpr_spill_count: 0
    .symbol:         _ZN7rocprim17ROCPRIM_400000_NS6detail17trampoline_kernelINS0_14default_configENS1_25partition_config_selectorILNS1_17partition_subalgoE5ElNS0_10empty_typeEbEEZZNS1_14partition_implILS5_5ELb0ES3_mN6hipcub16HIPCUB_304000_NS21CountingInputIteratorIllEEPS6_NSA_22TransformInputIteratorIb7NonZeroIiEPilEENS0_5tupleIJPlS6_EEENSJ_IJSD_SD_EEES6_SK_JS6_EEE10hipError_tPvRmT3_T4_T5_T6_T7_T9_mT8_P12ihipStream_tbDpT10_ENKUlT_T0_E_clISt17integral_constantIbLb0EES16_EEDaS11_S12_EUlS11_E_NS1_11comp_targetILNS1_3genE0ELNS1_11target_archE4294967295ELNS1_3gpuE0ELNS1_3repE0EEENS1_30default_config_static_selectorELNS0_4arch9wavefront6targetE0EEEvT1_.kd
    .uniform_work_group_size: 1
    .uses_dynamic_stack: false
    .vgpr_count:     0
    .vgpr_spill_count: 0
    .wavefront_size: 32
    .workgroup_processor_mode: 1
  - .args:
      - .offset:         0
        .size:           120
        .value_kind:     by_value
    .group_segment_fixed_size: 0
    .kernarg_segment_align: 8
    .kernarg_segment_size: 120
    .language:       OpenCL C
    .language_version:
      - 2
      - 0
    .max_flat_workgroup_size: 512
    .name:           _ZN7rocprim17ROCPRIM_400000_NS6detail17trampoline_kernelINS0_14default_configENS1_25partition_config_selectorILNS1_17partition_subalgoE5ElNS0_10empty_typeEbEEZZNS1_14partition_implILS5_5ELb0ES3_mN6hipcub16HIPCUB_304000_NS21CountingInputIteratorIllEEPS6_NSA_22TransformInputIteratorIb7NonZeroIiEPilEENS0_5tupleIJPlS6_EEENSJ_IJSD_SD_EEES6_SK_JS6_EEE10hipError_tPvRmT3_T4_T5_T6_T7_T9_mT8_P12ihipStream_tbDpT10_ENKUlT_T0_E_clISt17integral_constantIbLb0EES16_EEDaS11_S12_EUlS11_E_NS1_11comp_targetILNS1_3genE5ELNS1_11target_archE942ELNS1_3gpuE9ELNS1_3repE0EEENS1_30default_config_static_selectorELNS0_4arch9wavefront6targetE0EEEvT1_
    .private_segment_fixed_size: 0
    .sgpr_count:     0
    .sgpr_spill_count: 0
    .symbol:         _ZN7rocprim17ROCPRIM_400000_NS6detail17trampoline_kernelINS0_14default_configENS1_25partition_config_selectorILNS1_17partition_subalgoE5ElNS0_10empty_typeEbEEZZNS1_14partition_implILS5_5ELb0ES3_mN6hipcub16HIPCUB_304000_NS21CountingInputIteratorIllEEPS6_NSA_22TransformInputIteratorIb7NonZeroIiEPilEENS0_5tupleIJPlS6_EEENSJ_IJSD_SD_EEES6_SK_JS6_EEE10hipError_tPvRmT3_T4_T5_T6_T7_T9_mT8_P12ihipStream_tbDpT10_ENKUlT_T0_E_clISt17integral_constantIbLb0EES16_EEDaS11_S12_EUlS11_E_NS1_11comp_targetILNS1_3genE5ELNS1_11target_archE942ELNS1_3gpuE9ELNS1_3repE0EEENS1_30default_config_static_selectorELNS0_4arch9wavefront6targetE0EEEvT1_.kd
    .uniform_work_group_size: 1
    .uses_dynamic_stack: false
    .vgpr_count:     0
    .vgpr_spill_count: 0
    .wavefront_size: 32
    .workgroup_processor_mode: 1
  - .args:
      - .offset:         0
        .size:           120
        .value_kind:     by_value
    .group_segment_fixed_size: 0
    .kernarg_segment_align: 8
    .kernarg_segment_size: 120
    .language:       OpenCL C
    .language_version:
      - 2
      - 0
    .max_flat_workgroup_size: 192
    .name:           _ZN7rocprim17ROCPRIM_400000_NS6detail17trampoline_kernelINS0_14default_configENS1_25partition_config_selectorILNS1_17partition_subalgoE5ElNS0_10empty_typeEbEEZZNS1_14partition_implILS5_5ELb0ES3_mN6hipcub16HIPCUB_304000_NS21CountingInputIteratorIllEEPS6_NSA_22TransformInputIteratorIb7NonZeroIiEPilEENS0_5tupleIJPlS6_EEENSJ_IJSD_SD_EEES6_SK_JS6_EEE10hipError_tPvRmT3_T4_T5_T6_T7_T9_mT8_P12ihipStream_tbDpT10_ENKUlT_T0_E_clISt17integral_constantIbLb0EES16_EEDaS11_S12_EUlS11_E_NS1_11comp_targetILNS1_3genE4ELNS1_11target_archE910ELNS1_3gpuE8ELNS1_3repE0EEENS1_30default_config_static_selectorELNS0_4arch9wavefront6targetE0EEEvT1_
    .private_segment_fixed_size: 0
    .sgpr_count:     0
    .sgpr_spill_count: 0
    .symbol:         _ZN7rocprim17ROCPRIM_400000_NS6detail17trampoline_kernelINS0_14default_configENS1_25partition_config_selectorILNS1_17partition_subalgoE5ElNS0_10empty_typeEbEEZZNS1_14partition_implILS5_5ELb0ES3_mN6hipcub16HIPCUB_304000_NS21CountingInputIteratorIllEEPS6_NSA_22TransformInputIteratorIb7NonZeroIiEPilEENS0_5tupleIJPlS6_EEENSJ_IJSD_SD_EEES6_SK_JS6_EEE10hipError_tPvRmT3_T4_T5_T6_T7_T9_mT8_P12ihipStream_tbDpT10_ENKUlT_T0_E_clISt17integral_constantIbLb0EES16_EEDaS11_S12_EUlS11_E_NS1_11comp_targetILNS1_3genE4ELNS1_11target_archE910ELNS1_3gpuE8ELNS1_3repE0EEENS1_30default_config_static_selectorELNS0_4arch9wavefront6targetE0EEEvT1_.kd
    .uniform_work_group_size: 1
    .uses_dynamic_stack: false
    .vgpr_count:     0
    .vgpr_spill_count: 0
    .wavefront_size: 32
    .workgroup_processor_mode: 1
  - .args:
      - .offset:         0
        .size:           120
        .value_kind:     by_value
    .group_segment_fixed_size: 0
    .kernarg_segment_align: 8
    .kernarg_segment_size: 120
    .language:       OpenCL C
    .language_version:
      - 2
      - 0
    .max_flat_workgroup_size: 128
    .name:           _ZN7rocprim17ROCPRIM_400000_NS6detail17trampoline_kernelINS0_14default_configENS1_25partition_config_selectorILNS1_17partition_subalgoE5ElNS0_10empty_typeEbEEZZNS1_14partition_implILS5_5ELb0ES3_mN6hipcub16HIPCUB_304000_NS21CountingInputIteratorIllEEPS6_NSA_22TransformInputIteratorIb7NonZeroIiEPilEENS0_5tupleIJPlS6_EEENSJ_IJSD_SD_EEES6_SK_JS6_EEE10hipError_tPvRmT3_T4_T5_T6_T7_T9_mT8_P12ihipStream_tbDpT10_ENKUlT_T0_E_clISt17integral_constantIbLb0EES16_EEDaS11_S12_EUlS11_E_NS1_11comp_targetILNS1_3genE3ELNS1_11target_archE908ELNS1_3gpuE7ELNS1_3repE0EEENS1_30default_config_static_selectorELNS0_4arch9wavefront6targetE0EEEvT1_
    .private_segment_fixed_size: 0
    .sgpr_count:     0
    .sgpr_spill_count: 0
    .symbol:         _ZN7rocprim17ROCPRIM_400000_NS6detail17trampoline_kernelINS0_14default_configENS1_25partition_config_selectorILNS1_17partition_subalgoE5ElNS0_10empty_typeEbEEZZNS1_14partition_implILS5_5ELb0ES3_mN6hipcub16HIPCUB_304000_NS21CountingInputIteratorIllEEPS6_NSA_22TransformInputIteratorIb7NonZeroIiEPilEENS0_5tupleIJPlS6_EEENSJ_IJSD_SD_EEES6_SK_JS6_EEE10hipError_tPvRmT3_T4_T5_T6_T7_T9_mT8_P12ihipStream_tbDpT10_ENKUlT_T0_E_clISt17integral_constantIbLb0EES16_EEDaS11_S12_EUlS11_E_NS1_11comp_targetILNS1_3genE3ELNS1_11target_archE908ELNS1_3gpuE7ELNS1_3repE0EEENS1_30default_config_static_selectorELNS0_4arch9wavefront6targetE0EEEvT1_.kd
    .uniform_work_group_size: 1
    .uses_dynamic_stack: false
    .vgpr_count:     0
    .vgpr_spill_count: 0
    .wavefront_size: 32
    .workgroup_processor_mode: 1
  - .args:
      - .offset:         0
        .size:           120
        .value_kind:     by_value
    .group_segment_fixed_size: 0
    .kernarg_segment_align: 8
    .kernarg_segment_size: 120
    .language:       OpenCL C
    .language_version:
      - 2
      - 0
    .max_flat_workgroup_size: 256
    .name:           _ZN7rocprim17ROCPRIM_400000_NS6detail17trampoline_kernelINS0_14default_configENS1_25partition_config_selectorILNS1_17partition_subalgoE5ElNS0_10empty_typeEbEEZZNS1_14partition_implILS5_5ELb0ES3_mN6hipcub16HIPCUB_304000_NS21CountingInputIteratorIllEEPS6_NSA_22TransformInputIteratorIb7NonZeroIiEPilEENS0_5tupleIJPlS6_EEENSJ_IJSD_SD_EEES6_SK_JS6_EEE10hipError_tPvRmT3_T4_T5_T6_T7_T9_mT8_P12ihipStream_tbDpT10_ENKUlT_T0_E_clISt17integral_constantIbLb0EES16_EEDaS11_S12_EUlS11_E_NS1_11comp_targetILNS1_3genE2ELNS1_11target_archE906ELNS1_3gpuE6ELNS1_3repE0EEENS1_30default_config_static_selectorELNS0_4arch9wavefront6targetE0EEEvT1_
    .private_segment_fixed_size: 0
    .sgpr_count:     0
    .sgpr_spill_count: 0
    .symbol:         _ZN7rocprim17ROCPRIM_400000_NS6detail17trampoline_kernelINS0_14default_configENS1_25partition_config_selectorILNS1_17partition_subalgoE5ElNS0_10empty_typeEbEEZZNS1_14partition_implILS5_5ELb0ES3_mN6hipcub16HIPCUB_304000_NS21CountingInputIteratorIllEEPS6_NSA_22TransformInputIteratorIb7NonZeroIiEPilEENS0_5tupleIJPlS6_EEENSJ_IJSD_SD_EEES6_SK_JS6_EEE10hipError_tPvRmT3_T4_T5_T6_T7_T9_mT8_P12ihipStream_tbDpT10_ENKUlT_T0_E_clISt17integral_constantIbLb0EES16_EEDaS11_S12_EUlS11_E_NS1_11comp_targetILNS1_3genE2ELNS1_11target_archE906ELNS1_3gpuE6ELNS1_3repE0EEENS1_30default_config_static_selectorELNS0_4arch9wavefront6targetE0EEEvT1_.kd
    .uniform_work_group_size: 1
    .uses_dynamic_stack: false
    .vgpr_count:     0
    .vgpr_spill_count: 0
    .wavefront_size: 32
    .workgroup_processor_mode: 1
  - .args:
      - .offset:         0
        .size:           120
        .value_kind:     by_value
    .group_segment_fixed_size: 0
    .kernarg_segment_align: 8
    .kernarg_segment_size: 120
    .language:       OpenCL C
    .language_version:
      - 2
      - 0
    .max_flat_workgroup_size: 256
    .name:           _ZN7rocprim17ROCPRIM_400000_NS6detail17trampoline_kernelINS0_14default_configENS1_25partition_config_selectorILNS1_17partition_subalgoE5ElNS0_10empty_typeEbEEZZNS1_14partition_implILS5_5ELb0ES3_mN6hipcub16HIPCUB_304000_NS21CountingInputIteratorIllEEPS6_NSA_22TransformInputIteratorIb7NonZeroIiEPilEENS0_5tupleIJPlS6_EEENSJ_IJSD_SD_EEES6_SK_JS6_EEE10hipError_tPvRmT3_T4_T5_T6_T7_T9_mT8_P12ihipStream_tbDpT10_ENKUlT_T0_E_clISt17integral_constantIbLb0EES16_EEDaS11_S12_EUlS11_E_NS1_11comp_targetILNS1_3genE10ELNS1_11target_archE1200ELNS1_3gpuE4ELNS1_3repE0EEENS1_30default_config_static_selectorELNS0_4arch9wavefront6targetE0EEEvT1_
    .private_segment_fixed_size: 0
    .sgpr_count:     0
    .sgpr_spill_count: 0
    .symbol:         _ZN7rocprim17ROCPRIM_400000_NS6detail17trampoline_kernelINS0_14default_configENS1_25partition_config_selectorILNS1_17partition_subalgoE5ElNS0_10empty_typeEbEEZZNS1_14partition_implILS5_5ELb0ES3_mN6hipcub16HIPCUB_304000_NS21CountingInputIteratorIllEEPS6_NSA_22TransformInputIteratorIb7NonZeroIiEPilEENS0_5tupleIJPlS6_EEENSJ_IJSD_SD_EEES6_SK_JS6_EEE10hipError_tPvRmT3_T4_T5_T6_T7_T9_mT8_P12ihipStream_tbDpT10_ENKUlT_T0_E_clISt17integral_constantIbLb0EES16_EEDaS11_S12_EUlS11_E_NS1_11comp_targetILNS1_3genE10ELNS1_11target_archE1200ELNS1_3gpuE4ELNS1_3repE0EEENS1_30default_config_static_selectorELNS0_4arch9wavefront6targetE0EEEvT1_.kd
    .uniform_work_group_size: 1
    .uses_dynamic_stack: false
    .vgpr_count:     0
    .vgpr_spill_count: 0
    .wavefront_size: 32
    .workgroup_processor_mode: 1
  - .args:
      - .offset:         0
        .size:           120
        .value_kind:     by_value
    .group_segment_fixed_size: 6160
    .kernarg_segment_align: 8
    .kernarg_segment_size: 120
    .language:       OpenCL C
    .language_version:
      - 2
      - 0
    .max_flat_workgroup_size: 128
    .name:           _ZN7rocprim17ROCPRIM_400000_NS6detail17trampoline_kernelINS0_14default_configENS1_25partition_config_selectorILNS1_17partition_subalgoE5ElNS0_10empty_typeEbEEZZNS1_14partition_implILS5_5ELb0ES3_mN6hipcub16HIPCUB_304000_NS21CountingInputIteratorIllEEPS6_NSA_22TransformInputIteratorIb7NonZeroIiEPilEENS0_5tupleIJPlS6_EEENSJ_IJSD_SD_EEES6_SK_JS6_EEE10hipError_tPvRmT3_T4_T5_T6_T7_T9_mT8_P12ihipStream_tbDpT10_ENKUlT_T0_E_clISt17integral_constantIbLb0EES16_EEDaS11_S12_EUlS11_E_NS1_11comp_targetILNS1_3genE9ELNS1_11target_archE1100ELNS1_3gpuE3ELNS1_3repE0EEENS1_30default_config_static_selectorELNS0_4arch9wavefront6targetE0EEEvT1_
    .private_segment_fixed_size: 0
    .sgpr_count:     23
    .sgpr_spill_count: 0
    .symbol:         _ZN7rocprim17ROCPRIM_400000_NS6detail17trampoline_kernelINS0_14default_configENS1_25partition_config_selectorILNS1_17partition_subalgoE5ElNS0_10empty_typeEbEEZZNS1_14partition_implILS5_5ELb0ES3_mN6hipcub16HIPCUB_304000_NS21CountingInputIteratorIllEEPS6_NSA_22TransformInputIteratorIb7NonZeroIiEPilEENS0_5tupleIJPlS6_EEENSJ_IJSD_SD_EEES6_SK_JS6_EEE10hipError_tPvRmT3_T4_T5_T6_T7_T9_mT8_P12ihipStream_tbDpT10_ENKUlT_T0_E_clISt17integral_constantIbLb0EES16_EEDaS11_S12_EUlS11_E_NS1_11comp_targetILNS1_3genE9ELNS1_11target_archE1100ELNS1_3gpuE3ELNS1_3repE0EEENS1_30default_config_static_selectorELNS0_4arch9wavefront6targetE0EEEvT1_.kd
    .uniform_work_group_size: 1
    .uses_dynamic_stack: false
    .vgpr_count:     57
    .vgpr_spill_count: 0
    .wavefront_size: 32
    .workgroup_processor_mode: 1
  - .args:
      - .offset:         0
        .size:           120
        .value_kind:     by_value
    .group_segment_fixed_size: 0
    .kernarg_segment_align: 8
    .kernarg_segment_size: 120
    .language:       OpenCL C
    .language_version:
      - 2
      - 0
    .max_flat_workgroup_size: 512
    .name:           _ZN7rocprim17ROCPRIM_400000_NS6detail17trampoline_kernelINS0_14default_configENS1_25partition_config_selectorILNS1_17partition_subalgoE5ElNS0_10empty_typeEbEEZZNS1_14partition_implILS5_5ELb0ES3_mN6hipcub16HIPCUB_304000_NS21CountingInputIteratorIllEEPS6_NSA_22TransformInputIteratorIb7NonZeroIiEPilEENS0_5tupleIJPlS6_EEENSJ_IJSD_SD_EEES6_SK_JS6_EEE10hipError_tPvRmT3_T4_T5_T6_T7_T9_mT8_P12ihipStream_tbDpT10_ENKUlT_T0_E_clISt17integral_constantIbLb0EES16_EEDaS11_S12_EUlS11_E_NS1_11comp_targetILNS1_3genE8ELNS1_11target_archE1030ELNS1_3gpuE2ELNS1_3repE0EEENS1_30default_config_static_selectorELNS0_4arch9wavefront6targetE0EEEvT1_
    .private_segment_fixed_size: 0
    .sgpr_count:     0
    .sgpr_spill_count: 0
    .symbol:         _ZN7rocprim17ROCPRIM_400000_NS6detail17trampoline_kernelINS0_14default_configENS1_25partition_config_selectorILNS1_17partition_subalgoE5ElNS0_10empty_typeEbEEZZNS1_14partition_implILS5_5ELb0ES3_mN6hipcub16HIPCUB_304000_NS21CountingInputIteratorIllEEPS6_NSA_22TransformInputIteratorIb7NonZeroIiEPilEENS0_5tupleIJPlS6_EEENSJ_IJSD_SD_EEES6_SK_JS6_EEE10hipError_tPvRmT3_T4_T5_T6_T7_T9_mT8_P12ihipStream_tbDpT10_ENKUlT_T0_E_clISt17integral_constantIbLb0EES16_EEDaS11_S12_EUlS11_E_NS1_11comp_targetILNS1_3genE8ELNS1_11target_archE1030ELNS1_3gpuE2ELNS1_3repE0EEENS1_30default_config_static_selectorELNS0_4arch9wavefront6targetE0EEEvT1_.kd
    .uniform_work_group_size: 1
    .uses_dynamic_stack: false
    .vgpr_count:     0
    .vgpr_spill_count: 0
    .wavefront_size: 32
    .workgroup_processor_mode: 1
  - .args:
      - .offset:         0
        .size:           136
        .value_kind:     by_value
    .group_segment_fixed_size: 0
    .kernarg_segment_align: 8
    .kernarg_segment_size: 136
    .language:       OpenCL C
    .language_version:
      - 2
      - 0
    .max_flat_workgroup_size: 128
    .name:           _ZN7rocprim17ROCPRIM_400000_NS6detail17trampoline_kernelINS0_14default_configENS1_25partition_config_selectorILNS1_17partition_subalgoE5ElNS0_10empty_typeEbEEZZNS1_14partition_implILS5_5ELb0ES3_mN6hipcub16HIPCUB_304000_NS21CountingInputIteratorIllEEPS6_NSA_22TransformInputIteratorIb7NonZeroIiEPilEENS0_5tupleIJPlS6_EEENSJ_IJSD_SD_EEES6_SK_JS6_EEE10hipError_tPvRmT3_T4_T5_T6_T7_T9_mT8_P12ihipStream_tbDpT10_ENKUlT_T0_E_clISt17integral_constantIbLb1EES16_EEDaS11_S12_EUlS11_E_NS1_11comp_targetILNS1_3genE0ELNS1_11target_archE4294967295ELNS1_3gpuE0ELNS1_3repE0EEENS1_30default_config_static_selectorELNS0_4arch9wavefront6targetE0EEEvT1_
    .private_segment_fixed_size: 0
    .sgpr_count:     0
    .sgpr_spill_count: 0
    .symbol:         _ZN7rocprim17ROCPRIM_400000_NS6detail17trampoline_kernelINS0_14default_configENS1_25partition_config_selectorILNS1_17partition_subalgoE5ElNS0_10empty_typeEbEEZZNS1_14partition_implILS5_5ELb0ES3_mN6hipcub16HIPCUB_304000_NS21CountingInputIteratorIllEEPS6_NSA_22TransformInputIteratorIb7NonZeroIiEPilEENS0_5tupleIJPlS6_EEENSJ_IJSD_SD_EEES6_SK_JS6_EEE10hipError_tPvRmT3_T4_T5_T6_T7_T9_mT8_P12ihipStream_tbDpT10_ENKUlT_T0_E_clISt17integral_constantIbLb1EES16_EEDaS11_S12_EUlS11_E_NS1_11comp_targetILNS1_3genE0ELNS1_11target_archE4294967295ELNS1_3gpuE0ELNS1_3repE0EEENS1_30default_config_static_selectorELNS0_4arch9wavefront6targetE0EEEvT1_.kd
    .uniform_work_group_size: 1
    .uses_dynamic_stack: false
    .vgpr_count:     0
    .vgpr_spill_count: 0
    .wavefront_size: 32
    .workgroup_processor_mode: 1
  - .args:
      - .offset:         0
        .size:           136
        .value_kind:     by_value
    .group_segment_fixed_size: 0
    .kernarg_segment_align: 8
    .kernarg_segment_size: 136
    .language:       OpenCL C
    .language_version:
      - 2
      - 0
    .max_flat_workgroup_size: 512
    .name:           _ZN7rocprim17ROCPRIM_400000_NS6detail17trampoline_kernelINS0_14default_configENS1_25partition_config_selectorILNS1_17partition_subalgoE5ElNS0_10empty_typeEbEEZZNS1_14partition_implILS5_5ELb0ES3_mN6hipcub16HIPCUB_304000_NS21CountingInputIteratorIllEEPS6_NSA_22TransformInputIteratorIb7NonZeroIiEPilEENS0_5tupleIJPlS6_EEENSJ_IJSD_SD_EEES6_SK_JS6_EEE10hipError_tPvRmT3_T4_T5_T6_T7_T9_mT8_P12ihipStream_tbDpT10_ENKUlT_T0_E_clISt17integral_constantIbLb1EES16_EEDaS11_S12_EUlS11_E_NS1_11comp_targetILNS1_3genE5ELNS1_11target_archE942ELNS1_3gpuE9ELNS1_3repE0EEENS1_30default_config_static_selectorELNS0_4arch9wavefront6targetE0EEEvT1_
    .private_segment_fixed_size: 0
    .sgpr_count:     0
    .sgpr_spill_count: 0
    .symbol:         _ZN7rocprim17ROCPRIM_400000_NS6detail17trampoline_kernelINS0_14default_configENS1_25partition_config_selectorILNS1_17partition_subalgoE5ElNS0_10empty_typeEbEEZZNS1_14partition_implILS5_5ELb0ES3_mN6hipcub16HIPCUB_304000_NS21CountingInputIteratorIllEEPS6_NSA_22TransformInputIteratorIb7NonZeroIiEPilEENS0_5tupleIJPlS6_EEENSJ_IJSD_SD_EEES6_SK_JS6_EEE10hipError_tPvRmT3_T4_T5_T6_T7_T9_mT8_P12ihipStream_tbDpT10_ENKUlT_T0_E_clISt17integral_constantIbLb1EES16_EEDaS11_S12_EUlS11_E_NS1_11comp_targetILNS1_3genE5ELNS1_11target_archE942ELNS1_3gpuE9ELNS1_3repE0EEENS1_30default_config_static_selectorELNS0_4arch9wavefront6targetE0EEEvT1_.kd
    .uniform_work_group_size: 1
    .uses_dynamic_stack: false
    .vgpr_count:     0
    .vgpr_spill_count: 0
    .wavefront_size: 32
    .workgroup_processor_mode: 1
  - .args:
      - .offset:         0
        .size:           136
        .value_kind:     by_value
    .group_segment_fixed_size: 0
    .kernarg_segment_align: 8
    .kernarg_segment_size: 136
    .language:       OpenCL C
    .language_version:
      - 2
      - 0
    .max_flat_workgroup_size: 192
    .name:           _ZN7rocprim17ROCPRIM_400000_NS6detail17trampoline_kernelINS0_14default_configENS1_25partition_config_selectorILNS1_17partition_subalgoE5ElNS0_10empty_typeEbEEZZNS1_14partition_implILS5_5ELb0ES3_mN6hipcub16HIPCUB_304000_NS21CountingInputIteratorIllEEPS6_NSA_22TransformInputIteratorIb7NonZeroIiEPilEENS0_5tupleIJPlS6_EEENSJ_IJSD_SD_EEES6_SK_JS6_EEE10hipError_tPvRmT3_T4_T5_T6_T7_T9_mT8_P12ihipStream_tbDpT10_ENKUlT_T0_E_clISt17integral_constantIbLb1EES16_EEDaS11_S12_EUlS11_E_NS1_11comp_targetILNS1_3genE4ELNS1_11target_archE910ELNS1_3gpuE8ELNS1_3repE0EEENS1_30default_config_static_selectorELNS0_4arch9wavefront6targetE0EEEvT1_
    .private_segment_fixed_size: 0
    .sgpr_count:     0
    .sgpr_spill_count: 0
    .symbol:         _ZN7rocprim17ROCPRIM_400000_NS6detail17trampoline_kernelINS0_14default_configENS1_25partition_config_selectorILNS1_17partition_subalgoE5ElNS0_10empty_typeEbEEZZNS1_14partition_implILS5_5ELb0ES3_mN6hipcub16HIPCUB_304000_NS21CountingInputIteratorIllEEPS6_NSA_22TransformInputIteratorIb7NonZeroIiEPilEENS0_5tupleIJPlS6_EEENSJ_IJSD_SD_EEES6_SK_JS6_EEE10hipError_tPvRmT3_T4_T5_T6_T7_T9_mT8_P12ihipStream_tbDpT10_ENKUlT_T0_E_clISt17integral_constantIbLb1EES16_EEDaS11_S12_EUlS11_E_NS1_11comp_targetILNS1_3genE4ELNS1_11target_archE910ELNS1_3gpuE8ELNS1_3repE0EEENS1_30default_config_static_selectorELNS0_4arch9wavefront6targetE0EEEvT1_.kd
    .uniform_work_group_size: 1
    .uses_dynamic_stack: false
    .vgpr_count:     0
    .vgpr_spill_count: 0
    .wavefront_size: 32
    .workgroup_processor_mode: 1
  - .args:
      - .offset:         0
        .size:           136
        .value_kind:     by_value
    .group_segment_fixed_size: 0
    .kernarg_segment_align: 8
    .kernarg_segment_size: 136
    .language:       OpenCL C
    .language_version:
      - 2
      - 0
    .max_flat_workgroup_size: 128
    .name:           _ZN7rocprim17ROCPRIM_400000_NS6detail17trampoline_kernelINS0_14default_configENS1_25partition_config_selectorILNS1_17partition_subalgoE5ElNS0_10empty_typeEbEEZZNS1_14partition_implILS5_5ELb0ES3_mN6hipcub16HIPCUB_304000_NS21CountingInputIteratorIllEEPS6_NSA_22TransformInputIteratorIb7NonZeroIiEPilEENS0_5tupleIJPlS6_EEENSJ_IJSD_SD_EEES6_SK_JS6_EEE10hipError_tPvRmT3_T4_T5_T6_T7_T9_mT8_P12ihipStream_tbDpT10_ENKUlT_T0_E_clISt17integral_constantIbLb1EES16_EEDaS11_S12_EUlS11_E_NS1_11comp_targetILNS1_3genE3ELNS1_11target_archE908ELNS1_3gpuE7ELNS1_3repE0EEENS1_30default_config_static_selectorELNS0_4arch9wavefront6targetE0EEEvT1_
    .private_segment_fixed_size: 0
    .sgpr_count:     0
    .sgpr_spill_count: 0
    .symbol:         _ZN7rocprim17ROCPRIM_400000_NS6detail17trampoline_kernelINS0_14default_configENS1_25partition_config_selectorILNS1_17partition_subalgoE5ElNS0_10empty_typeEbEEZZNS1_14partition_implILS5_5ELb0ES3_mN6hipcub16HIPCUB_304000_NS21CountingInputIteratorIllEEPS6_NSA_22TransformInputIteratorIb7NonZeroIiEPilEENS0_5tupleIJPlS6_EEENSJ_IJSD_SD_EEES6_SK_JS6_EEE10hipError_tPvRmT3_T4_T5_T6_T7_T9_mT8_P12ihipStream_tbDpT10_ENKUlT_T0_E_clISt17integral_constantIbLb1EES16_EEDaS11_S12_EUlS11_E_NS1_11comp_targetILNS1_3genE3ELNS1_11target_archE908ELNS1_3gpuE7ELNS1_3repE0EEENS1_30default_config_static_selectorELNS0_4arch9wavefront6targetE0EEEvT1_.kd
    .uniform_work_group_size: 1
    .uses_dynamic_stack: false
    .vgpr_count:     0
    .vgpr_spill_count: 0
    .wavefront_size: 32
    .workgroup_processor_mode: 1
  - .args:
      - .offset:         0
        .size:           136
        .value_kind:     by_value
    .group_segment_fixed_size: 0
    .kernarg_segment_align: 8
    .kernarg_segment_size: 136
    .language:       OpenCL C
    .language_version:
      - 2
      - 0
    .max_flat_workgroup_size: 256
    .name:           _ZN7rocprim17ROCPRIM_400000_NS6detail17trampoline_kernelINS0_14default_configENS1_25partition_config_selectorILNS1_17partition_subalgoE5ElNS0_10empty_typeEbEEZZNS1_14partition_implILS5_5ELb0ES3_mN6hipcub16HIPCUB_304000_NS21CountingInputIteratorIllEEPS6_NSA_22TransformInputIteratorIb7NonZeroIiEPilEENS0_5tupleIJPlS6_EEENSJ_IJSD_SD_EEES6_SK_JS6_EEE10hipError_tPvRmT3_T4_T5_T6_T7_T9_mT8_P12ihipStream_tbDpT10_ENKUlT_T0_E_clISt17integral_constantIbLb1EES16_EEDaS11_S12_EUlS11_E_NS1_11comp_targetILNS1_3genE2ELNS1_11target_archE906ELNS1_3gpuE6ELNS1_3repE0EEENS1_30default_config_static_selectorELNS0_4arch9wavefront6targetE0EEEvT1_
    .private_segment_fixed_size: 0
    .sgpr_count:     0
    .sgpr_spill_count: 0
    .symbol:         _ZN7rocprim17ROCPRIM_400000_NS6detail17trampoline_kernelINS0_14default_configENS1_25partition_config_selectorILNS1_17partition_subalgoE5ElNS0_10empty_typeEbEEZZNS1_14partition_implILS5_5ELb0ES3_mN6hipcub16HIPCUB_304000_NS21CountingInputIteratorIllEEPS6_NSA_22TransformInputIteratorIb7NonZeroIiEPilEENS0_5tupleIJPlS6_EEENSJ_IJSD_SD_EEES6_SK_JS6_EEE10hipError_tPvRmT3_T4_T5_T6_T7_T9_mT8_P12ihipStream_tbDpT10_ENKUlT_T0_E_clISt17integral_constantIbLb1EES16_EEDaS11_S12_EUlS11_E_NS1_11comp_targetILNS1_3genE2ELNS1_11target_archE906ELNS1_3gpuE6ELNS1_3repE0EEENS1_30default_config_static_selectorELNS0_4arch9wavefront6targetE0EEEvT1_.kd
    .uniform_work_group_size: 1
    .uses_dynamic_stack: false
    .vgpr_count:     0
    .vgpr_spill_count: 0
    .wavefront_size: 32
    .workgroup_processor_mode: 1
  - .args:
      - .offset:         0
        .size:           136
        .value_kind:     by_value
    .group_segment_fixed_size: 0
    .kernarg_segment_align: 8
    .kernarg_segment_size: 136
    .language:       OpenCL C
    .language_version:
      - 2
      - 0
    .max_flat_workgroup_size: 256
    .name:           _ZN7rocprim17ROCPRIM_400000_NS6detail17trampoline_kernelINS0_14default_configENS1_25partition_config_selectorILNS1_17partition_subalgoE5ElNS0_10empty_typeEbEEZZNS1_14partition_implILS5_5ELb0ES3_mN6hipcub16HIPCUB_304000_NS21CountingInputIteratorIllEEPS6_NSA_22TransformInputIteratorIb7NonZeroIiEPilEENS0_5tupleIJPlS6_EEENSJ_IJSD_SD_EEES6_SK_JS6_EEE10hipError_tPvRmT3_T4_T5_T6_T7_T9_mT8_P12ihipStream_tbDpT10_ENKUlT_T0_E_clISt17integral_constantIbLb1EES16_EEDaS11_S12_EUlS11_E_NS1_11comp_targetILNS1_3genE10ELNS1_11target_archE1200ELNS1_3gpuE4ELNS1_3repE0EEENS1_30default_config_static_selectorELNS0_4arch9wavefront6targetE0EEEvT1_
    .private_segment_fixed_size: 0
    .sgpr_count:     0
    .sgpr_spill_count: 0
    .symbol:         _ZN7rocprim17ROCPRIM_400000_NS6detail17trampoline_kernelINS0_14default_configENS1_25partition_config_selectorILNS1_17partition_subalgoE5ElNS0_10empty_typeEbEEZZNS1_14partition_implILS5_5ELb0ES3_mN6hipcub16HIPCUB_304000_NS21CountingInputIteratorIllEEPS6_NSA_22TransformInputIteratorIb7NonZeroIiEPilEENS0_5tupleIJPlS6_EEENSJ_IJSD_SD_EEES6_SK_JS6_EEE10hipError_tPvRmT3_T4_T5_T6_T7_T9_mT8_P12ihipStream_tbDpT10_ENKUlT_T0_E_clISt17integral_constantIbLb1EES16_EEDaS11_S12_EUlS11_E_NS1_11comp_targetILNS1_3genE10ELNS1_11target_archE1200ELNS1_3gpuE4ELNS1_3repE0EEENS1_30default_config_static_selectorELNS0_4arch9wavefront6targetE0EEEvT1_.kd
    .uniform_work_group_size: 1
    .uses_dynamic_stack: false
    .vgpr_count:     0
    .vgpr_spill_count: 0
    .wavefront_size: 32
    .workgroup_processor_mode: 1
  - .args:
      - .offset:         0
        .size:           136
        .value_kind:     by_value
    .group_segment_fixed_size: 6160
    .kernarg_segment_align: 8
    .kernarg_segment_size: 136
    .language:       OpenCL C
    .language_version:
      - 2
      - 0
    .max_flat_workgroup_size: 128
    .name:           _ZN7rocprim17ROCPRIM_400000_NS6detail17trampoline_kernelINS0_14default_configENS1_25partition_config_selectorILNS1_17partition_subalgoE5ElNS0_10empty_typeEbEEZZNS1_14partition_implILS5_5ELb0ES3_mN6hipcub16HIPCUB_304000_NS21CountingInputIteratorIllEEPS6_NSA_22TransformInputIteratorIb7NonZeroIiEPilEENS0_5tupleIJPlS6_EEENSJ_IJSD_SD_EEES6_SK_JS6_EEE10hipError_tPvRmT3_T4_T5_T6_T7_T9_mT8_P12ihipStream_tbDpT10_ENKUlT_T0_E_clISt17integral_constantIbLb1EES16_EEDaS11_S12_EUlS11_E_NS1_11comp_targetILNS1_3genE9ELNS1_11target_archE1100ELNS1_3gpuE3ELNS1_3repE0EEENS1_30default_config_static_selectorELNS0_4arch9wavefront6targetE0EEEvT1_
    .private_segment_fixed_size: 0
    .sgpr_count:     26
    .sgpr_spill_count: 0
    .symbol:         _ZN7rocprim17ROCPRIM_400000_NS6detail17trampoline_kernelINS0_14default_configENS1_25partition_config_selectorILNS1_17partition_subalgoE5ElNS0_10empty_typeEbEEZZNS1_14partition_implILS5_5ELb0ES3_mN6hipcub16HIPCUB_304000_NS21CountingInputIteratorIllEEPS6_NSA_22TransformInputIteratorIb7NonZeroIiEPilEENS0_5tupleIJPlS6_EEENSJ_IJSD_SD_EEES6_SK_JS6_EEE10hipError_tPvRmT3_T4_T5_T6_T7_T9_mT8_P12ihipStream_tbDpT10_ENKUlT_T0_E_clISt17integral_constantIbLb1EES16_EEDaS11_S12_EUlS11_E_NS1_11comp_targetILNS1_3genE9ELNS1_11target_archE1100ELNS1_3gpuE3ELNS1_3repE0EEENS1_30default_config_static_selectorELNS0_4arch9wavefront6targetE0EEEvT1_.kd
    .uniform_work_group_size: 1
    .uses_dynamic_stack: false
    .vgpr_count:     57
    .vgpr_spill_count: 0
    .wavefront_size: 32
    .workgroup_processor_mode: 1
  - .args:
      - .offset:         0
        .size:           136
        .value_kind:     by_value
    .group_segment_fixed_size: 0
    .kernarg_segment_align: 8
    .kernarg_segment_size: 136
    .language:       OpenCL C
    .language_version:
      - 2
      - 0
    .max_flat_workgroup_size: 512
    .name:           _ZN7rocprim17ROCPRIM_400000_NS6detail17trampoline_kernelINS0_14default_configENS1_25partition_config_selectorILNS1_17partition_subalgoE5ElNS0_10empty_typeEbEEZZNS1_14partition_implILS5_5ELb0ES3_mN6hipcub16HIPCUB_304000_NS21CountingInputIteratorIllEEPS6_NSA_22TransformInputIteratorIb7NonZeroIiEPilEENS0_5tupleIJPlS6_EEENSJ_IJSD_SD_EEES6_SK_JS6_EEE10hipError_tPvRmT3_T4_T5_T6_T7_T9_mT8_P12ihipStream_tbDpT10_ENKUlT_T0_E_clISt17integral_constantIbLb1EES16_EEDaS11_S12_EUlS11_E_NS1_11comp_targetILNS1_3genE8ELNS1_11target_archE1030ELNS1_3gpuE2ELNS1_3repE0EEENS1_30default_config_static_selectorELNS0_4arch9wavefront6targetE0EEEvT1_
    .private_segment_fixed_size: 0
    .sgpr_count:     0
    .sgpr_spill_count: 0
    .symbol:         _ZN7rocprim17ROCPRIM_400000_NS6detail17trampoline_kernelINS0_14default_configENS1_25partition_config_selectorILNS1_17partition_subalgoE5ElNS0_10empty_typeEbEEZZNS1_14partition_implILS5_5ELb0ES3_mN6hipcub16HIPCUB_304000_NS21CountingInputIteratorIllEEPS6_NSA_22TransformInputIteratorIb7NonZeroIiEPilEENS0_5tupleIJPlS6_EEENSJ_IJSD_SD_EEES6_SK_JS6_EEE10hipError_tPvRmT3_T4_T5_T6_T7_T9_mT8_P12ihipStream_tbDpT10_ENKUlT_T0_E_clISt17integral_constantIbLb1EES16_EEDaS11_S12_EUlS11_E_NS1_11comp_targetILNS1_3genE8ELNS1_11target_archE1030ELNS1_3gpuE2ELNS1_3repE0EEENS1_30default_config_static_selectorELNS0_4arch9wavefront6targetE0EEEvT1_.kd
    .uniform_work_group_size: 1
    .uses_dynamic_stack: false
    .vgpr_count:     0
    .vgpr_spill_count: 0
    .wavefront_size: 32
    .workgroup_processor_mode: 1
  - .args:
      - .offset:         0
        .size:           120
        .value_kind:     by_value
    .group_segment_fixed_size: 0
    .kernarg_segment_align: 8
    .kernarg_segment_size: 120
    .language:       OpenCL C
    .language_version:
      - 2
      - 0
    .max_flat_workgroup_size: 128
    .name:           _ZN7rocprim17ROCPRIM_400000_NS6detail17trampoline_kernelINS0_14default_configENS1_25partition_config_selectorILNS1_17partition_subalgoE5ElNS0_10empty_typeEbEEZZNS1_14partition_implILS5_5ELb0ES3_mN6hipcub16HIPCUB_304000_NS21CountingInputIteratorIllEEPS6_NSA_22TransformInputIteratorIb7NonZeroIiEPilEENS0_5tupleIJPlS6_EEENSJ_IJSD_SD_EEES6_SK_JS6_EEE10hipError_tPvRmT3_T4_T5_T6_T7_T9_mT8_P12ihipStream_tbDpT10_ENKUlT_T0_E_clISt17integral_constantIbLb1EES15_IbLb0EEEEDaS11_S12_EUlS11_E_NS1_11comp_targetILNS1_3genE0ELNS1_11target_archE4294967295ELNS1_3gpuE0ELNS1_3repE0EEENS1_30default_config_static_selectorELNS0_4arch9wavefront6targetE0EEEvT1_
    .private_segment_fixed_size: 0
    .sgpr_count:     0
    .sgpr_spill_count: 0
    .symbol:         _ZN7rocprim17ROCPRIM_400000_NS6detail17trampoline_kernelINS0_14default_configENS1_25partition_config_selectorILNS1_17partition_subalgoE5ElNS0_10empty_typeEbEEZZNS1_14partition_implILS5_5ELb0ES3_mN6hipcub16HIPCUB_304000_NS21CountingInputIteratorIllEEPS6_NSA_22TransformInputIteratorIb7NonZeroIiEPilEENS0_5tupleIJPlS6_EEENSJ_IJSD_SD_EEES6_SK_JS6_EEE10hipError_tPvRmT3_T4_T5_T6_T7_T9_mT8_P12ihipStream_tbDpT10_ENKUlT_T0_E_clISt17integral_constantIbLb1EES15_IbLb0EEEEDaS11_S12_EUlS11_E_NS1_11comp_targetILNS1_3genE0ELNS1_11target_archE4294967295ELNS1_3gpuE0ELNS1_3repE0EEENS1_30default_config_static_selectorELNS0_4arch9wavefront6targetE0EEEvT1_.kd
    .uniform_work_group_size: 1
    .uses_dynamic_stack: false
    .vgpr_count:     0
    .vgpr_spill_count: 0
    .wavefront_size: 32
    .workgroup_processor_mode: 1
  - .args:
      - .offset:         0
        .size:           120
        .value_kind:     by_value
    .group_segment_fixed_size: 0
    .kernarg_segment_align: 8
    .kernarg_segment_size: 120
    .language:       OpenCL C
    .language_version:
      - 2
      - 0
    .max_flat_workgroup_size: 512
    .name:           _ZN7rocprim17ROCPRIM_400000_NS6detail17trampoline_kernelINS0_14default_configENS1_25partition_config_selectorILNS1_17partition_subalgoE5ElNS0_10empty_typeEbEEZZNS1_14partition_implILS5_5ELb0ES3_mN6hipcub16HIPCUB_304000_NS21CountingInputIteratorIllEEPS6_NSA_22TransformInputIteratorIb7NonZeroIiEPilEENS0_5tupleIJPlS6_EEENSJ_IJSD_SD_EEES6_SK_JS6_EEE10hipError_tPvRmT3_T4_T5_T6_T7_T9_mT8_P12ihipStream_tbDpT10_ENKUlT_T0_E_clISt17integral_constantIbLb1EES15_IbLb0EEEEDaS11_S12_EUlS11_E_NS1_11comp_targetILNS1_3genE5ELNS1_11target_archE942ELNS1_3gpuE9ELNS1_3repE0EEENS1_30default_config_static_selectorELNS0_4arch9wavefront6targetE0EEEvT1_
    .private_segment_fixed_size: 0
    .sgpr_count:     0
    .sgpr_spill_count: 0
    .symbol:         _ZN7rocprim17ROCPRIM_400000_NS6detail17trampoline_kernelINS0_14default_configENS1_25partition_config_selectorILNS1_17partition_subalgoE5ElNS0_10empty_typeEbEEZZNS1_14partition_implILS5_5ELb0ES3_mN6hipcub16HIPCUB_304000_NS21CountingInputIteratorIllEEPS6_NSA_22TransformInputIteratorIb7NonZeroIiEPilEENS0_5tupleIJPlS6_EEENSJ_IJSD_SD_EEES6_SK_JS6_EEE10hipError_tPvRmT3_T4_T5_T6_T7_T9_mT8_P12ihipStream_tbDpT10_ENKUlT_T0_E_clISt17integral_constantIbLb1EES15_IbLb0EEEEDaS11_S12_EUlS11_E_NS1_11comp_targetILNS1_3genE5ELNS1_11target_archE942ELNS1_3gpuE9ELNS1_3repE0EEENS1_30default_config_static_selectorELNS0_4arch9wavefront6targetE0EEEvT1_.kd
    .uniform_work_group_size: 1
    .uses_dynamic_stack: false
    .vgpr_count:     0
    .vgpr_spill_count: 0
    .wavefront_size: 32
    .workgroup_processor_mode: 1
  - .args:
      - .offset:         0
        .size:           120
        .value_kind:     by_value
    .group_segment_fixed_size: 0
    .kernarg_segment_align: 8
    .kernarg_segment_size: 120
    .language:       OpenCL C
    .language_version:
      - 2
      - 0
    .max_flat_workgroup_size: 192
    .name:           _ZN7rocprim17ROCPRIM_400000_NS6detail17trampoline_kernelINS0_14default_configENS1_25partition_config_selectorILNS1_17partition_subalgoE5ElNS0_10empty_typeEbEEZZNS1_14partition_implILS5_5ELb0ES3_mN6hipcub16HIPCUB_304000_NS21CountingInputIteratorIllEEPS6_NSA_22TransformInputIteratorIb7NonZeroIiEPilEENS0_5tupleIJPlS6_EEENSJ_IJSD_SD_EEES6_SK_JS6_EEE10hipError_tPvRmT3_T4_T5_T6_T7_T9_mT8_P12ihipStream_tbDpT10_ENKUlT_T0_E_clISt17integral_constantIbLb1EES15_IbLb0EEEEDaS11_S12_EUlS11_E_NS1_11comp_targetILNS1_3genE4ELNS1_11target_archE910ELNS1_3gpuE8ELNS1_3repE0EEENS1_30default_config_static_selectorELNS0_4arch9wavefront6targetE0EEEvT1_
    .private_segment_fixed_size: 0
    .sgpr_count:     0
    .sgpr_spill_count: 0
    .symbol:         _ZN7rocprim17ROCPRIM_400000_NS6detail17trampoline_kernelINS0_14default_configENS1_25partition_config_selectorILNS1_17partition_subalgoE5ElNS0_10empty_typeEbEEZZNS1_14partition_implILS5_5ELb0ES3_mN6hipcub16HIPCUB_304000_NS21CountingInputIteratorIllEEPS6_NSA_22TransformInputIteratorIb7NonZeroIiEPilEENS0_5tupleIJPlS6_EEENSJ_IJSD_SD_EEES6_SK_JS6_EEE10hipError_tPvRmT3_T4_T5_T6_T7_T9_mT8_P12ihipStream_tbDpT10_ENKUlT_T0_E_clISt17integral_constantIbLb1EES15_IbLb0EEEEDaS11_S12_EUlS11_E_NS1_11comp_targetILNS1_3genE4ELNS1_11target_archE910ELNS1_3gpuE8ELNS1_3repE0EEENS1_30default_config_static_selectorELNS0_4arch9wavefront6targetE0EEEvT1_.kd
    .uniform_work_group_size: 1
    .uses_dynamic_stack: false
    .vgpr_count:     0
    .vgpr_spill_count: 0
    .wavefront_size: 32
    .workgroup_processor_mode: 1
  - .args:
      - .offset:         0
        .size:           120
        .value_kind:     by_value
    .group_segment_fixed_size: 0
    .kernarg_segment_align: 8
    .kernarg_segment_size: 120
    .language:       OpenCL C
    .language_version:
      - 2
      - 0
    .max_flat_workgroup_size: 128
    .name:           _ZN7rocprim17ROCPRIM_400000_NS6detail17trampoline_kernelINS0_14default_configENS1_25partition_config_selectorILNS1_17partition_subalgoE5ElNS0_10empty_typeEbEEZZNS1_14partition_implILS5_5ELb0ES3_mN6hipcub16HIPCUB_304000_NS21CountingInputIteratorIllEEPS6_NSA_22TransformInputIteratorIb7NonZeroIiEPilEENS0_5tupleIJPlS6_EEENSJ_IJSD_SD_EEES6_SK_JS6_EEE10hipError_tPvRmT3_T4_T5_T6_T7_T9_mT8_P12ihipStream_tbDpT10_ENKUlT_T0_E_clISt17integral_constantIbLb1EES15_IbLb0EEEEDaS11_S12_EUlS11_E_NS1_11comp_targetILNS1_3genE3ELNS1_11target_archE908ELNS1_3gpuE7ELNS1_3repE0EEENS1_30default_config_static_selectorELNS0_4arch9wavefront6targetE0EEEvT1_
    .private_segment_fixed_size: 0
    .sgpr_count:     0
    .sgpr_spill_count: 0
    .symbol:         _ZN7rocprim17ROCPRIM_400000_NS6detail17trampoline_kernelINS0_14default_configENS1_25partition_config_selectorILNS1_17partition_subalgoE5ElNS0_10empty_typeEbEEZZNS1_14partition_implILS5_5ELb0ES3_mN6hipcub16HIPCUB_304000_NS21CountingInputIteratorIllEEPS6_NSA_22TransformInputIteratorIb7NonZeroIiEPilEENS0_5tupleIJPlS6_EEENSJ_IJSD_SD_EEES6_SK_JS6_EEE10hipError_tPvRmT3_T4_T5_T6_T7_T9_mT8_P12ihipStream_tbDpT10_ENKUlT_T0_E_clISt17integral_constantIbLb1EES15_IbLb0EEEEDaS11_S12_EUlS11_E_NS1_11comp_targetILNS1_3genE3ELNS1_11target_archE908ELNS1_3gpuE7ELNS1_3repE0EEENS1_30default_config_static_selectorELNS0_4arch9wavefront6targetE0EEEvT1_.kd
    .uniform_work_group_size: 1
    .uses_dynamic_stack: false
    .vgpr_count:     0
    .vgpr_spill_count: 0
    .wavefront_size: 32
    .workgroup_processor_mode: 1
  - .args:
      - .offset:         0
        .size:           120
        .value_kind:     by_value
    .group_segment_fixed_size: 0
    .kernarg_segment_align: 8
    .kernarg_segment_size: 120
    .language:       OpenCL C
    .language_version:
      - 2
      - 0
    .max_flat_workgroup_size: 256
    .name:           _ZN7rocprim17ROCPRIM_400000_NS6detail17trampoline_kernelINS0_14default_configENS1_25partition_config_selectorILNS1_17partition_subalgoE5ElNS0_10empty_typeEbEEZZNS1_14partition_implILS5_5ELb0ES3_mN6hipcub16HIPCUB_304000_NS21CountingInputIteratorIllEEPS6_NSA_22TransformInputIteratorIb7NonZeroIiEPilEENS0_5tupleIJPlS6_EEENSJ_IJSD_SD_EEES6_SK_JS6_EEE10hipError_tPvRmT3_T4_T5_T6_T7_T9_mT8_P12ihipStream_tbDpT10_ENKUlT_T0_E_clISt17integral_constantIbLb1EES15_IbLb0EEEEDaS11_S12_EUlS11_E_NS1_11comp_targetILNS1_3genE2ELNS1_11target_archE906ELNS1_3gpuE6ELNS1_3repE0EEENS1_30default_config_static_selectorELNS0_4arch9wavefront6targetE0EEEvT1_
    .private_segment_fixed_size: 0
    .sgpr_count:     0
    .sgpr_spill_count: 0
    .symbol:         _ZN7rocprim17ROCPRIM_400000_NS6detail17trampoline_kernelINS0_14default_configENS1_25partition_config_selectorILNS1_17partition_subalgoE5ElNS0_10empty_typeEbEEZZNS1_14partition_implILS5_5ELb0ES3_mN6hipcub16HIPCUB_304000_NS21CountingInputIteratorIllEEPS6_NSA_22TransformInputIteratorIb7NonZeroIiEPilEENS0_5tupleIJPlS6_EEENSJ_IJSD_SD_EEES6_SK_JS6_EEE10hipError_tPvRmT3_T4_T5_T6_T7_T9_mT8_P12ihipStream_tbDpT10_ENKUlT_T0_E_clISt17integral_constantIbLb1EES15_IbLb0EEEEDaS11_S12_EUlS11_E_NS1_11comp_targetILNS1_3genE2ELNS1_11target_archE906ELNS1_3gpuE6ELNS1_3repE0EEENS1_30default_config_static_selectorELNS0_4arch9wavefront6targetE0EEEvT1_.kd
    .uniform_work_group_size: 1
    .uses_dynamic_stack: false
    .vgpr_count:     0
    .vgpr_spill_count: 0
    .wavefront_size: 32
    .workgroup_processor_mode: 1
  - .args:
      - .offset:         0
        .size:           120
        .value_kind:     by_value
    .group_segment_fixed_size: 0
    .kernarg_segment_align: 8
    .kernarg_segment_size: 120
    .language:       OpenCL C
    .language_version:
      - 2
      - 0
    .max_flat_workgroup_size: 256
    .name:           _ZN7rocprim17ROCPRIM_400000_NS6detail17trampoline_kernelINS0_14default_configENS1_25partition_config_selectorILNS1_17partition_subalgoE5ElNS0_10empty_typeEbEEZZNS1_14partition_implILS5_5ELb0ES3_mN6hipcub16HIPCUB_304000_NS21CountingInputIteratorIllEEPS6_NSA_22TransformInputIteratorIb7NonZeroIiEPilEENS0_5tupleIJPlS6_EEENSJ_IJSD_SD_EEES6_SK_JS6_EEE10hipError_tPvRmT3_T4_T5_T6_T7_T9_mT8_P12ihipStream_tbDpT10_ENKUlT_T0_E_clISt17integral_constantIbLb1EES15_IbLb0EEEEDaS11_S12_EUlS11_E_NS1_11comp_targetILNS1_3genE10ELNS1_11target_archE1200ELNS1_3gpuE4ELNS1_3repE0EEENS1_30default_config_static_selectorELNS0_4arch9wavefront6targetE0EEEvT1_
    .private_segment_fixed_size: 0
    .sgpr_count:     0
    .sgpr_spill_count: 0
    .symbol:         _ZN7rocprim17ROCPRIM_400000_NS6detail17trampoline_kernelINS0_14default_configENS1_25partition_config_selectorILNS1_17partition_subalgoE5ElNS0_10empty_typeEbEEZZNS1_14partition_implILS5_5ELb0ES3_mN6hipcub16HIPCUB_304000_NS21CountingInputIteratorIllEEPS6_NSA_22TransformInputIteratorIb7NonZeroIiEPilEENS0_5tupleIJPlS6_EEENSJ_IJSD_SD_EEES6_SK_JS6_EEE10hipError_tPvRmT3_T4_T5_T6_T7_T9_mT8_P12ihipStream_tbDpT10_ENKUlT_T0_E_clISt17integral_constantIbLb1EES15_IbLb0EEEEDaS11_S12_EUlS11_E_NS1_11comp_targetILNS1_3genE10ELNS1_11target_archE1200ELNS1_3gpuE4ELNS1_3repE0EEENS1_30default_config_static_selectorELNS0_4arch9wavefront6targetE0EEEvT1_.kd
    .uniform_work_group_size: 1
    .uses_dynamic_stack: false
    .vgpr_count:     0
    .vgpr_spill_count: 0
    .wavefront_size: 32
    .workgroup_processor_mode: 1
  - .args:
      - .offset:         0
        .size:           120
        .value_kind:     by_value
    .group_segment_fixed_size: 6160
    .kernarg_segment_align: 8
    .kernarg_segment_size: 120
    .language:       OpenCL C
    .language_version:
      - 2
      - 0
    .max_flat_workgroup_size: 128
    .name:           _ZN7rocprim17ROCPRIM_400000_NS6detail17trampoline_kernelINS0_14default_configENS1_25partition_config_selectorILNS1_17partition_subalgoE5ElNS0_10empty_typeEbEEZZNS1_14partition_implILS5_5ELb0ES3_mN6hipcub16HIPCUB_304000_NS21CountingInputIteratorIllEEPS6_NSA_22TransformInputIteratorIb7NonZeroIiEPilEENS0_5tupleIJPlS6_EEENSJ_IJSD_SD_EEES6_SK_JS6_EEE10hipError_tPvRmT3_T4_T5_T6_T7_T9_mT8_P12ihipStream_tbDpT10_ENKUlT_T0_E_clISt17integral_constantIbLb1EES15_IbLb0EEEEDaS11_S12_EUlS11_E_NS1_11comp_targetILNS1_3genE9ELNS1_11target_archE1100ELNS1_3gpuE3ELNS1_3repE0EEENS1_30default_config_static_selectorELNS0_4arch9wavefront6targetE0EEEvT1_
    .private_segment_fixed_size: 0
    .sgpr_count:     23
    .sgpr_spill_count: 0
    .symbol:         _ZN7rocprim17ROCPRIM_400000_NS6detail17trampoline_kernelINS0_14default_configENS1_25partition_config_selectorILNS1_17partition_subalgoE5ElNS0_10empty_typeEbEEZZNS1_14partition_implILS5_5ELb0ES3_mN6hipcub16HIPCUB_304000_NS21CountingInputIteratorIllEEPS6_NSA_22TransformInputIteratorIb7NonZeroIiEPilEENS0_5tupleIJPlS6_EEENSJ_IJSD_SD_EEES6_SK_JS6_EEE10hipError_tPvRmT3_T4_T5_T6_T7_T9_mT8_P12ihipStream_tbDpT10_ENKUlT_T0_E_clISt17integral_constantIbLb1EES15_IbLb0EEEEDaS11_S12_EUlS11_E_NS1_11comp_targetILNS1_3genE9ELNS1_11target_archE1100ELNS1_3gpuE3ELNS1_3repE0EEENS1_30default_config_static_selectorELNS0_4arch9wavefront6targetE0EEEvT1_.kd
    .uniform_work_group_size: 1
    .uses_dynamic_stack: false
    .vgpr_count:     57
    .vgpr_spill_count: 0
    .wavefront_size: 32
    .workgroup_processor_mode: 1
  - .args:
      - .offset:         0
        .size:           120
        .value_kind:     by_value
    .group_segment_fixed_size: 0
    .kernarg_segment_align: 8
    .kernarg_segment_size: 120
    .language:       OpenCL C
    .language_version:
      - 2
      - 0
    .max_flat_workgroup_size: 512
    .name:           _ZN7rocprim17ROCPRIM_400000_NS6detail17trampoline_kernelINS0_14default_configENS1_25partition_config_selectorILNS1_17partition_subalgoE5ElNS0_10empty_typeEbEEZZNS1_14partition_implILS5_5ELb0ES3_mN6hipcub16HIPCUB_304000_NS21CountingInputIteratorIllEEPS6_NSA_22TransformInputIteratorIb7NonZeroIiEPilEENS0_5tupleIJPlS6_EEENSJ_IJSD_SD_EEES6_SK_JS6_EEE10hipError_tPvRmT3_T4_T5_T6_T7_T9_mT8_P12ihipStream_tbDpT10_ENKUlT_T0_E_clISt17integral_constantIbLb1EES15_IbLb0EEEEDaS11_S12_EUlS11_E_NS1_11comp_targetILNS1_3genE8ELNS1_11target_archE1030ELNS1_3gpuE2ELNS1_3repE0EEENS1_30default_config_static_selectorELNS0_4arch9wavefront6targetE0EEEvT1_
    .private_segment_fixed_size: 0
    .sgpr_count:     0
    .sgpr_spill_count: 0
    .symbol:         _ZN7rocprim17ROCPRIM_400000_NS6detail17trampoline_kernelINS0_14default_configENS1_25partition_config_selectorILNS1_17partition_subalgoE5ElNS0_10empty_typeEbEEZZNS1_14partition_implILS5_5ELb0ES3_mN6hipcub16HIPCUB_304000_NS21CountingInputIteratorIllEEPS6_NSA_22TransformInputIteratorIb7NonZeroIiEPilEENS0_5tupleIJPlS6_EEENSJ_IJSD_SD_EEES6_SK_JS6_EEE10hipError_tPvRmT3_T4_T5_T6_T7_T9_mT8_P12ihipStream_tbDpT10_ENKUlT_T0_E_clISt17integral_constantIbLb1EES15_IbLb0EEEEDaS11_S12_EUlS11_E_NS1_11comp_targetILNS1_3genE8ELNS1_11target_archE1030ELNS1_3gpuE2ELNS1_3repE0EEENS1_30default_config_static_selectorELNS0_4arch9wavefront6targetE0EEEvT1_.kd
    .uniform_work_group_size: 1
    .uses_dynamic_stack: false
    .vgpr_count:     0
    .vgpr_spill_count: 0
    .wavefront_size: 32
    .workgroup_processor_mode: 1
  - .args:
      - .offset:         0
        .size:           136
        .value_kind:     by_value
    .group_segment_fixed_size: 0
    .kernarg_segment_align: 8
    .kernarg_segment_size: 136
    .language:       OpenCL C
    .language_version:
      - 2
      - 0
    .max_flat_workgroup_size: 128
    .name:           _ZN7rocprim17ROCPRIM_400000_NS6detail17trampoline_kernelINS0_14default_configENS1_25partition_config_selectorILNS1_17partition_subalgoE5ElNS0_10empty_typeEbEEZZNS1_14partition_implILS5_5ELb0ES3_mN6hipcub16HIPCUB_304000_NS21CountingInputIteratorIllEEPS6_NSA_22TransformInputIteratorIb7NonZeroIiEPilEENS0_5tupleIJPlS6_EEENSJ_IJSD_SD_EEES6_SK_JS6_EEE10hipError_tPvRmT3_T4_T5_T6_T7_T9_mT8_P12ihipStream_tbDpT10_ENKUlT_T0_E_clISt17integral_constantIbLb0EES15_IbLb1EEEEDaS11_S12_EUlS11_E_NS1_11comp_targetILNS1_3genE0ELNS1_11target_archE4294967295ELNS1_3gpuE0ELNS1_3repE0EEENS1_30default_config_static_selectorELNS0_4arch9wavefront6targetE0EEEvT1_
    .private_segment_fixed_size: 0
    .sgpr_count:     0
    .sgpr_spill_count: 0
    .symbol:         _ZN7rocprim17ROCPRIM_400000_NS6detail17trampoline_kernelINS0_14default_configENS1_25partition_config_selectorILNS1_17partition_subalgoE5ElNS0_10empty_typeEbEEZZNS1_14partition_implILS5_5ELb0ES3_mN6hipcub16HIPCUB_304000_NS21CountingInputIteratorIllEEPS6_NSA_22TransformInputIteratorIb7NonZeroIiEPilEENS0_5tupleIJPlS6_EEENSJ_IJSD_SD_EEES6_SK_JS6_EEE10hipError_tPvRmT3_T4_T5_T6_T7_T9_mT8_P12ihipStream_tbDpT10_ENKUlT_T0_E_clISt17integral_constantIbLb0EES15_IbLb1EEEEDaS11_S12_EUlS11_E_NS1_11comp_targetILNS1_3genE0ELNS1_11target_archE4294967295ELNS1_3gpuE0ELNS1_3repE0EEENS1_30default_config_static_selectorELNS0_4arch9wavefront6targetE0EEEvT1_.kd
    .uniform_work_group_size: 1
    .uses_dynamic_stack: false
    .vgpr_count:     0
    .vgpr_spill_count: 0
    .wavefront_size: 32
    .workgroup_processor_mode: 1
  - .args:
      - .offset:         0
        .size:           136
        .value_kind:     by_value
    .group_segment_fixed_size: 0
    .kernarg_segment_align: 8
    .kernarg_segment_size: 136
    .language:       OpenCL C
    .language_version:
      - 2
      - 0
    .max_flat_workgroup_size: 512
    .name:           _ZN7rocprim17ROCPRIM_400000_NS6detail17trampoline_kernelINS0_14default_configENS1_25partition_config_selectorILNS1_17partition_subalgoE5ElNS0_10empty_typeEbEEZZNS1_14partition_implILS5_5ELb0ES3_mN6hipcub16HIPCUB_304000_NS21CountingInputIteratorIllEEPS6_NSA_22TransformInputIteratorIb7NonZeroIiEPilEENS0_5tupleIJPlS6_EEENSJ_IJSD_SD_EEES6_SK_JS6_EEE10hipError_tPvRmT3_T4_T5_T6_T7_T9_mT8_P12ihipStream_tbDpT10_ENKUlT_T0_E_clISt17integral_constantIbLb0EES15_IbLb1EEEEDaS11_S12_EUlS11_E_NS1_11comp_targetILNS1_3genE5ELNS1_11target_archE942ELNS1_3gpuE9ELNS1_3repE0EEENS1_30default_config_static_selectorELNS0_4arch9wavefront6targetE0EEEvT1_
    .private_segment_fixed_size: 0
    .sgpr_count:     0
    .sgpr_spill_count: 0
    .symbol:         _ZN7rocprim17ROCPRIM_400000_NS6detail17trampoline_kernelINS0_14default_configENS1_25partition_config_selectorILNS1_17partition_subalgoE5ElNS0_10empty_typeEbEEZZNS1_14partition_implILS5_5ELb0ES3_mN6hipcub16HIPCUB_304000_NS21CountingInputIteratorIllEEPS6_NSA_22TransformInputIteratorIb7NonZeroIiEPilEENS0_5tupleIJPlS6_EEENSJ_IJSD_SD_EEES6_SK_JS6_EEE10hipError_tPvRmT3_T4_T5_T6_T7_T9_mT8_P12ihipStream_tbDpT10_ENKUlT_T0_E_clISt17integral_constantIbLb0EES15_IbLb1EEEEDaS11_S12_EUlS11_E_NS1_11comp_targetILNS1_3genE5ELNS1_11target_archE942ELNS1_3gpuE9ELNS1_3repE0EEENS1_30default_config_static_selectorELNS0_4arch9wavefront6targetE0EEEvT1_.kd
    .uniform_work_group_size: 1
    .uses_dynamic_stack: false
    .vgpr_count:     0
    .vgpr_spill_count: 0
    .wavefront_size: 32
    .workgroup_processor_mode: 1
  - .args:
      - .offset:         0
        .size:           136
        .value_kind:     by_value
    .group_segment_fixed_size: 0
    .kernarg_segment_align: 8
    .kernarg_segment_size: 136
    .language:       OpenCL C
    .language_version:
      - 2
      - 0
    .max_flat_workgroup_size: 192
    .name:           _ZN7rocprim17ROCPRIM_400000_NS6detail17trampoline_kernelINS0_14default_configENS1_25partition_config_selectorILNS1_17partition_subalgoE5ElNS0_10empty_typeEbEEZZNS1_14partition_implILS5_5ELb0ES3_mN6hipcub16HIPCUB_304000_NS21CountingInputIteratorIllEEPS6_NSA_22TransformInputIteratorIb7NonZeroIiEPilEENS0_5tupleIJPlS6_EEENSJ_IJSD_SD_EEES6_SK_JS6_EEE10hipError_tPvRmT3_T4_T5_T6_T7_T9_mT8_P12ihipStream_tbDpT10_ENKUlT_T0_E_clISt17integral_constantIbLb0EES15_IbLb1EEEEDaS11_S12_EUlS11_E_NS1_11comp_targetILNS1_3genE4ELNS1_11target_archE910ELNS1_3gpuE8ELNS1_3repE0EEENS1_30default_config_static_selectorELNS0_4arch9wavefront6targetE0EEEvT1_
    .private_segment_fixed_size: 0
    .sgpr_count:     0
    .sgpr_spill_count: 0
    .symbol:         _ZN7rocprim17ROCPRIM_400000_NS6detail17trampoline_kernelINS0_14default_configENS1_25partition_config_selectorILNS1_17partition_subalgoE5ElNS0_10empty_typeEbEEZZNS1_14partition_implILS5_5ELb0ES3_mN6hipcub16HIPCUB_304000_NS21CountingInputIteratorIllEEPS6_NSA_22TransformInputIteratorIb7NonZeroIiEPilEENS0_5tupleIJPlS6_EEENSJ_IJSD_SD_EEES6_SK_JS6_EEE10hipError_tPvRmT3_T4_T5_T6_T7_T9_mT8_P12ihipStream_tbDpT10_ENKUlT_T0_E_clISt17integral_constantIbLb0EES15_IbLb1EEEEDaS11_S12_EUlS11_E_NS1_11comp_targetILNS1_3genE4ELNS1_11target_archE910ELNS1_3gpuE8ELNS1_3repE0EEENS1_30default_config_static_selectorELNS0_4arch9wavefront6targetE0EEEvT1_.kd
    .uniform_work_group_size: 1
    .uses_dynamic_stack: false
    .vgpr_count:     0
    .vgpr_spill_count: 0
    .wavefront_size: 32
    .workgroup_processor_mode: 1
  - .args:
      - .offset:         0
        .size:           136
        .value_kind:     by_value
    .group_segment_fixed_size: 0
    .kernarg_segment_align: 8
    .kernarg_segment_size: 136
    .language:       OpenCL C
    .language_version:
      - 2
      - 0
    .max_flat_workgroup_size: 128
    .name:           _ZN7rocprim17ROCPRIM_400000_NS6detail17trampoline_kernelINS0_14default_configENS1_25partition_config_selectorILNS1_17partition_subalgoE5ElNS0_10empty_typeEbEEZZNS1_14partition_implILS5_5ELb0ES3_mN6hipcub16HIPCUB_304000_NS21CountingInputIteratorIllEEPS6_NSA_22TransformInputIteratorIb7NonZeroIiEPilEENS0_5tupleIJPlS6_EEENSJ_IJSD_SD_EEES6_SK_JS6_EEE10hipError_tPvRmT3_T4_T5_T6_T7_T9_mT8_P12ihipStream_tbDpT10_ENKUlT_T0_E_clISt17integral_constantIbLb0EES15_IbLb1EEEEDaS11_S12_EUlS11_E_NS1_11comp_targetILNS1_3genE3ELNS1_11target_archE908ELNS1_3gpuE7ELNS1_3repE0EEENS1_30default_config_static_selectorELNS0_4arch9wavefront6targetE0EEEvT1_
    .private_segment_fixed_size: 0
    .sgpr_count:     0
    .sgpr_spill_count: 0
    .symbol:         _ZN7rocprim17ROCPRIM_400000_NS6detail17trampoline_kernelINS0_14default_configENS1_25partition_config_selectorILNS1_17partition_subalgoE5ElNS0_10empty_typeEbEEZZNS1_14partition_implILS5_5ELb0ES3_mN6hipcub16HIPCUB_304000_NS21CountingInputIteratorIllEEPS6_NSA_22TransformInputIteratorIb7NonZeroIiEPilEENS0_5tupleIJPlS6_EEENSJ_IJSD_SD_EEES6_SK_JS6_EEE10hipError_tPvRmT3_T4_T5_T6_T7_T9_mT8_P12ihipStream_tbDpT10_ENKUlT_T0_E_clISt17integral_constantIbLb0EES15_IbLb1EEEEDaS11_S12_EUlS11_E_NS1_11comp_targetILNS1_3genE3ELNS1_11target_archE908ELNS1_3gpuE7ELNS1_3repE0EEENS1_30default_config_static_selectorELNS0_4arch9wavefront6targetE0EEEvT1_.kd
    .uniform_work_group_size: 1
    .uses_dynamic_stack: false
    .vgpr_count:     0
    .vgpr_spill_count: 0
    .wavefront_size: 32
    .workgroup_processor_mode: 1
  - .args:
      - .offset:         0
        .size:           136
        .value_kind:     by_value
    .group_segment_fixed_size: 0
    .kernarg_segment_align: 8
    .kernarg_segment_size: 136
    .language:       OpenCL C
    .language_version:
      - 2
      - 0
    .max_flat_workgroup_size: 256
    .name:           _ZN7rocprim17ROCPRIM_400000_NS6detail17trampoline_kernelINS0_14default_configENS1_25partition_config_selectorILNS1_17partition_subalgoE5ElNS0_10empty_typeEbEEZZNS1_14partition_implILS5_5ELb0ES3_mN6hipcub16HIPCUB_304000_NS21CountingInputIteratorIllEEPS6_NSA_22TransformInputIteratorIb7NonZeroIiEPilEENS0_5tupleIJPlS6_EEENSJ_IJSD_SD_EEES6_SK_JS6_EEE10hipError_tPvRmT3_T4_T5_T6_T7_T9_mT8_P12ihipStream_tbDpT10_ENKUlT_T0_E_clISt17integral_constantIbLb0EES15_IbLb1EEEEDaS11_S12_EUlS11_E_NS1_11comp_targetILNS1_3genE2ELNS1_11target_archE906ELNS1_3gpuE6ELNS1_3repE0EEENS1_30default_config_static_selectorELNS0_4arch9wavefront6targetE0EEEvT1_
    .private_segment_fixed_size: 0
    .sgpr_count:     0
    .sgpr_spill_count: 0
    .symbol:         _ZN7rocprim17ROCPRIM_400000_NS6detail17trampoline_kernelINS0_14default_configENS1_25partition_config_selectorILNS1_17partition_subalgoE5ElNS0_10empty_typeEbEEZZNS1_14partition_implILS5_5ELb0ES3_mN6hipcub16HIPCUB_304000_NS21CountingInputIteratorIllEEPS6_NSA_22TransformInputIteratorIb7NonZeroIiEPilEENS0_5tupleIJPlS6_EEENSJ_IJSD_SD_EEES6_SK_JS6_EEE10hipError_tPvRmT3_T4_T5_T6_T7_T9_mT8_P12ihipStream_tbDpT10_ENKUlT_T0_E_clISt17integral_constantIbLb0EES15_IbLb1EEEEDaS11_S12_EUlS11_E_NS1_11comp_targetILNS1_3genE2ELNS1_11target_archE906ELNS1_3gpuE6ELNS1_3repE0EEENS1_30default_config_static_selectorELNS0_4arch9wavefront6targetE0EEEvT1_.kd
    .uniform_work_group_size: 1
    .uses_dynamic_stack: false
    .vgpr_count:     0
    .vgpr_spill_count: 0
    .wavefront_size: 32
    .workgroup_processor_mode: 1
  - .args:
      - .offset:         0
        .size:           136
        .value_kind:     by_value
    .group_segment_fixed_size: 0
    .kernarg_segment_align: 8
    .kernarg_segment_size: 136
    .language:       OpenCL C
    .language_version:
      - 2
      - 0
    .max_flat_workgroup_size: 256
    .name:           _ZN7rocprim17ROCPRIM_400000_NS6detail17trampoline_kernelINS0_14default_configENS1_25partition_config_selectorILNS1_17partition_subalgoE5ElNS0_10empty_typeEbEEZZNS1_14partition_implILS5_5ELb0ES3_mN6hipcub16HIPCUB_304000_NS21CountingInputIteratorIllEEPS6_NSA_22TransformInputIteratorIb7NonZeroIiEPilEENS0_5tupleIJPlS6_EEENSJ_IJSD_SD_EEES6_SK_JS6_EEE10hipError_tPvRmT3_T4_T5_T6_T7_T9_mT8_P12ihipStream_tbDpT10_ENKUlT_T0_E_clISt17integral_constantIbLb0EES15_IbLb1EEEEDaS11_S12_EUlS11_E_NS1_11comp_targetILNS1_3genE10ELNS1_11target_archE1200ELNS1_3gpuE4ELNS1_3repE0EEENS1_30default_config_static_selectorELNS0_4arch9wavefront6targetE0EEEvT1_
    .private_segment_fixed_size: 0
    .sgpr_count:     0
    .sgpr_spill_count: 0
    .symbol:         _ZN7rocprim17ROCPRIM_400000_NS6detail17trampoline_kernelINS0_14default_configENS1_25partition_config_selectorILNS1_17partition_subalgoE5ElNS0_10empty_typeEbEEZZNS1_14partition_implILS5_5ELb0ES3_mN6hipcub16HIPCUB_304000_NS21CountingInputIteratorIllEEPS6_NSA_22TransformInputIteratorIb7NonZeroIiEPilEENS0_5tupleIJPlS6_EEENSJ_IJSD_SD_EEES6_SK_JS6_EEE10hipError_tPvRmT3_T4_T5_T6_T7_T9_mT8_P12ihipStream_tbDpT10_ENKUlT_T0_E_clISt17integral_constantIbLb0EES15_IbLb1EEEEDaS11_S12_EUlS11_E_NS1_11comp_targetILNS1_3genE10ELNS1_11target_archE1200ELNS1_3gpuE4ELNS1_3repE0EEENS1_30default_config_static_selectorELNS0_4arch9wavefront6targetE0EEEvT1_.kd
    .uniform_work_group_size: 1
    .uses_dynamic_stack: false
    .vgpr_count:     0
    .vgpr_spill_count: 0
    .wavefront_size: 32
    .workgroup_processor_mode: 1
  - .args:
      - .offset:         0
        .size:           136
        .value_kind:     by_value
    .group_segment_fixed_size: 6160
    .kernarg_segment_align: 8
    .kernarg_segment_size: 136
    .language:       OpenCL C
    .language_version:
      - 2
      - 0
    .max_flat_workgroup_size: 128
    .name:           _ZN7rocprim17ROCPRIM_400000_NS6detail17trampoline_kernelINS0_14default_configENS1_25partition_config_selectorILNS1_17partition_subalgoE5ElNS0_10empty_typeEbEEZZNS1_14partition_implILS5_5ELb0ES3_mN6hipcub16HIPCUB_304000_NS21CountingInputIteratorIllEEPS6_NSA_22TransformInputIteratorIb7NonZeroIiEPilEENS0_5tupleIJPlS6_EEENSJ_IJSD_SD_EEES6_SK_JS6_EEE10hipError_tPvRmT3_T4_T5_T6_T7_T9_mT8_P12ihipStream_tbDpT10_ENKUlT_T0_E_clISt17integral_constantIbLb0EES15_IbLb1EEEEDaS11_S12_EUlS11_E_NS1_11comp_targetILNS1_3genE9ELNS1_11target_archE1100ELNS1_3gpuE3ELNS1_3repE0EEENS1_30default_config_static_selectorELNS0_4arch9wavefront6targetE0EEEvT1_
    .private_segment_fixed_size: 0
    .sgpr_count:     26
    .sgpr_spill_count: 0
    .symbol:         _ZN7rocprim17ROCPRIM_400000_NS6detail17trampoline_kernelINS0_14default_configENS1_25partition_config_selectorILNS1_17partition_subalgoE5ElNS0_10empty_typeEbEEZZNS1_14partition_implILS5_5ELb0ES3_mN6hipcub16HIPCUB_304000_NS21CountingInputIteratorIllEEPS6_NSA_22TransformInputIteratorIb7NonZeroIiEPilEENS0_5tupleIJPlS6_EEENSJ_IJSD_SD_EEES6_SK_JS6_EEE10hipError_tPvRmT3_T4_T5_T6_T7_T9_mT8_P12ihipStream_tbDpT10_ENKUlT_T0_E_clISt17integral_constantIbLb0EES15_IbLb1EEEEDaS11_S12_EUlS11_E_NS1_11comp_targetILNS1_3genE9ELNS1_11target_archE1100ELNS1_3gpuE3ELNS1_3repE0EEENS1_30default_config_static_selectorELNS0_4arch9wavefront6targetE0EEEvT1_.kd
    .uniform_work_group_size: 1
    .uses_dynamic_stack: false
    .vgpr_count:     57
    .vgpr_spill_count: 0
    .wavefront_size: 32
    .workgroup_processor_mode: 1
  - .args:
      - .offset:         0
        .size:           136
        .value_kind:     by_value
    .group_segment_fixed_size: 0
    .kernarg_segment_align: 8
    .kernarg_segment_size: 136
    .language:       OpenCL C
    .language_version:
      - 2
      - 0
    .max_flat_workgroup_size: 512
    .name:           _ZN7rocprim17ROCPRIM_400000_NS6detail17trampoline_kernelINS0_14default_configENS1_25partition_config_selectorILNS1_17partition_subalgoE5ElNS0_10empty_typeEbEEZZNS1_14partition_implILS5_5ELb0ES3_mN6hipcub16HIPCUB_304000_NS21CountingInputIteratorIllEEPS6_NSA_22TransformInputIteratorIb7NonZeroIiEPilEENS0_5tupleIJPlS6_EEENSJ_IJSD_SD_EEES6_SK_JS6_EEE10hipError_tPvRmT3_T4_T5_T6_T7_T9_mT8_P12ihipStream_tbDpT10_ENKUlT_T0_E_clISt17integral_constantIbLb0EES15_IbLb1EEEEDaS11_S12_EUlS11_E_NS1_11comp_targetILNS1_3genE8ELNS1_11target_archE1030ELNS1_3gpuE2ELNS1_3repE0EEENS1_30default_config_static_selectorELNS0_4arch9wavefront6targetE0EEEvT1_
    .private_segment_fixed_size: 0
    .sgpr_count:     0
    .sgpr_spill_count: 0
    .symbol:         _ZN7rocprim17ROCPRIM_400000_NS6detail17trampoline_kernelINS0_14default_configENS1_25partition_config_selectorILNS1_17partition_subalgoE5ElNS0_10empty_typeEbEEZZNS1_14partition_implILS5_5ELb0ES3_mN6hipcub16HIPCUB_304000_NS21CountingInputIteratorIllEEPS6_NSA_22TransformInputIteratorIb7NonZeroIiEPilEENS0_5tupleIJPlS6_EEENSJ_IJSD_SD_EEES6_SK_JS6_EEE10hipError_tPvRmT3_T4_T5_T6_T7_T9_mT8_P12ihipStream_tbDpT10_ENKUlT_T0_E_clISt17integral_constantIbLb0EES15_IbLb1EEEEDaS11_S12_EUlS11_E_NS1_11comp_targetILNS1_3genE8ELNS1_11target_archE1030ELNS1_3gpuE2ELNS1_3repE0EEENS1_30default_config_static_selectorELNS0_4arch9wavefront6targetE0EEEvT1_.kd
    .uniform_work_group_size: 1
    .uses_dynamic_stack: false
    .vgpr_count:     0
    .vgpr_spill_count: 0
    .wavefront_size: 32
    .workgroup_processor_mode: 1
  - .args:
      - .offset:         0
        .size:           64
        .value_kind:     by_value
    .group_segment_fixed_size: 0
    .kernarg_segment_align: 8
    .kernarg_segment_size: 64
    .language:       OpenCL C
    .language_version:
      - 2
      - 0
    .max_flat_workgroup_size: 256
    .name:           _ZN7rocprim17ROCPRIM_400000_NS6detail17trampoline_kernelINS0_14default_configENS1_22reduce_config_selectorIlEEZNS1_11reduce_implILb1ES3_PlS7_lN6hipcub16HIPCUB_304000_NS6detail34convert_binary_result_type_wrapperINS9_3SumENS9_22TransformInputIteratorIb7NonZeroIfEPflEElEEEE10hipError_tPvRmT1_T2_T3_mT4_P12ihipStream_tbEUlT_E0_NS1_11comp_targetILNS1_3genE0ELNS1_11target_archE4294967295ELNS1_3gpuE0ELNS1_3repE0EEENS1_30default_config_static_selectorELNS0_4arch9wavefront6targetE0EEEvSM_
    .private_segment_fixed_size: 0
    .sgpr_count:     0
    .sgpr_spill_count: 0
    .symbol:         _ZN7rocprim17ROCPRIM_400000_NS6detail17trampoline_kernelINS0_14default_configENS1_22reduce_config_selectorIlEEZNS1_11reduce_implILb1ES3_PlS7_lN6hipcub16HIPCUB_304000_NS6detail34convert_binary_result_type_wrapperINS9_3SumENS9_22TransformInputIteratorIb7NonZeroIfEPflEElEEEE10hipError_tPvRmT1_T2_T3_mT4_P12ihipStream_tbEUlT_E0_NS1_11comp_targetILNS1_3genE0ELNS1_11target_archE4294967295ELNS1_3gpuE0ELNS1_3repE0EEENS1_30default_config_static_selectorELNS0_4arch9wavefront6targetE0EEEvSM_.kd
    .uniform_work_group_size: 1
    .uses_dynamic_stack: false
    .vgpr_count:     0
    .vgpr_spill_count: 0
    .wavefront_size: 32
    .workgroup_processor_mode: 1
  - .args:
      - .offset:         0
        .size:           64
        .value_kind:     by_value
    .group_segment_fixed_size: 0
    .kernarg_segment_align: 8
    .kernarg_segment_size: 64
    .language:       OpenCL C
    .language_version:
      - 2
      - 0
    .max_flat_workgroup_size: 256
    .name:           _ZN7rocprim17ROCPRIM_400000_NS6detail17trampoline_kernelINS0_14default_configENS1_22reduce_config_selectorIlEEZNS1_11reduce_implILb1ES3_PlS7_lN6hipcub16HIPCUB_304000_NS6detail34convert_binary_result_type_wrapperINS9_3SumENS9_22TransformInputIteratorIb7NonZeroIfEPflEElEEEE10hipError_tPvRmT1_T2_T3_mT4_P12ihipStream_tbEUlT_E0_NS1_11comp_targetILNS1_3genE5ELNS1_11target_archE942ELNS1_3gpuE9ELNS1_3repE0EEENS1_30default_config_static_selectorELNS0_4arch9wavefront6targetE0EEEvSM_
    .private_segment_fixed_size: 0
    .sgpr_count:     0
    .sgpr_spill_count: 0
    .symbol:         _ZN7rocprim17ROCPRIM_400000_NS6detail17trampoline_kernelINS0_14default_configENS1_22reduce_config_selectorIlEEZNS1_11reduce_implILb1ES3_PlS7_lN6hipcub16HIPCUB_304000_NS6detail34convert_binary_result_type_wrapperINS9_3SumENS9_22TransformInputIteratorIb7NonZeroIfEPflEElEEEE10hipError_tPvRmT1_T2_T3_mT4_P12ihipStream_tbEUlT_E0_NS1_11comp_targetILNS1_3genE5ELNS1_11target_archE942ELNS1_3gpuE9ELNS1_3repE0EEENS1_30default_config_static_selectorELNS0_4arch9wavefront6targetE0EEEvSM_.kd
    .uniform_work_group_size: 1
    .uses_dynamic_stack: false
    .vgpr_count:     0
    .vgpr_spill_count: 0
    .wavefront_size: 32
    .workgroup_processor_mode: 1
  - .args:
      - .offset:         0
        .size:           64
        .value_kind:     by_value
    .group_segment_fixed_size: 0
    .kernarg_segment_align: 8
    .kernarg_segment_size: 64
    .language:       OpenCL C
    .language_version:
      - 2
      - 0
    .max_flat_workgroup_size: 256
    .name:           _ZN7rocprim17ROCPRIM_400000_NS6detail17trampoline_kernelINS0_14default_configENS1_22reduce_config_selectorIlEEZNS1_11reduce_implILb1ES3_PlS7_lN6hipcub16HIPCUB_304000_NS6detail34convert_binary_result_type_wrapperINS9_3SumENS9_22TransformInputIteratorIb7NonZeroIfEPflEElEEEE10hipError_tPvRmT1_T2_T3_mT4_P12ihipStream_tbEUlT_E0_NS1_11comp_targetILNS1_3genE4ELNS1_11target_archE910ELNS1_3gpuE8ELNS1_3repE0EEENS1_30default_config_static_selectorELNS0_4arch9wavefront6targetE0EEEvSM_
    .private_segment_fixed_size: 0
    .sgpr_count:     0
    .sgpr_spill_count: 0
    .symbol:         _ZN7rocprim17ROCPRIM_400000_NS6detail17trampoline_kernelINS0_14default_configENS1_22reduce_config_selectorIlEEZNS1_11reduce_implILb1ES3_PlS7_lN6hipcub16HIPCUB_304000_NS6detail34convert_binary_result_type_wrapperINS9_3SumENS9_22TransformInputIteratorIb7NonZeroIfEPflEElEEEE10hipError_tPvRmT1_T2_T3_mT4_P12ihipStream_tbEUlT_E0_NS1_11comp_targetILNS1_3genE4ELNS1_11target_archE910ELNS1_3gpuE8ELNS1_3repE0EEENS1_30default_config_static_selectorELNS0_4arch9wavefront6targetE0EEEvSM_.kd
    .uniform_work_group_size: 1
    .uses_dynamic_stack: false
    .vgpr_count:     0
    .vgpr_spill_count: 0
    .wavefront_size: 32
    .workgroup_processor_mode: 1
  - .args:
      - .offset:         0
        .size:           64
        .value_kind:     by_value
    .group_segment_fixed_size: 0
    .kernarg_segment_align: 8
    .kernarg_segment_size: 64
    .language:       OpenCL C
    .language_version:
      - 2
      - 0
    .max_flat_workgroup_size: 256
    .name:           _ZN7rocprim17ROCPRIM_400000_NS6detail17trampoline_kernelINS0_14default_configENS1_22reduce_config_selectorIlEEZNS1_11reduce_implILb1ES3_PlS7_lN6hipcub16HIPCUB_304000_NS6detail34convert_binary_result_type_wrapperINS9_3SumENS9_22TransformInputIteratorIb7NonZeroIfEPflEElEEEE10hipError_tPvRmT1_T2_T3_mT4_P12ihipStream_tbEUlT_E0_NS1_11comp_targetILNS1_3genE3ELNS1_11target_archE908ELNS1_3gpuE7ELNS1_3repE0EEENS1_30default_config_static_selectorELNS0_4arch9wavefront6targetE0EEEvSM_
    .private_segment_fixed_size: 0
    .sgpr_count:     0
    .sgpr_spill_count: 0
    .symbol:         _ZN7rocprim17ROCPRIM_400000_NS6detail17trampoline_kernelINS0_14default_configENS1_22reduce_config_selectorIlEEZNS1_11reduce_implILb1ES3_PlS7_lN6hipcub16HIPCUB_304000_NS6detail34convert_binary_result_type_wrapperINS9_3SumENS9_22TransformInputIteratorIb7NonZeroIfEPflEElEEEE10hipError_tPvRmT1_T2_T3_mT4_P12ihipStream_tbEUlT_E0_NS1_11comp_targetILNS1_3genE3ELNS1_11target_archE908ELNS1_3gpuE7ELNS1_3repE0EEENS1_30default_config_static_selectorELNS0_4arch9wavefront6targetE0EEEvSM_.kd
    .uniform_work_group_size: 1
    .uses_dynamic_stack: false
    .vgpr_count:     0
    .vgpr_spill_count: 0
    .wavefront_size: 32
    .workgroup_processor_mode: 1
  - .args:
      - .offset:         0
        .size:           64
        .value_kind:     by_value
    .group_segment_fixed_size: 0
    .kernarg_segment_align: 8
    .kernarg_segment_size: 64
    .language:       OpenCL C
    .language_version:
      - 2
      - 0
    .max_flat_workgroup_size: 256
    .name:           _ZN7rocprim17ROCPRIM_400000_NS6detail17trampoline_kernelINS0_14default_configENS1_22reduce_config_selectorIlEEZNS1_11reduce_implILb1ES3_PlS7_lN6hipcub16HIPCUB_304000_NS6detail34convert_binary_result_type_wrapperINS9_3SumENS9_22TransformInputIteratorIb7NonZeroIfEPflEElEEEE10hipError_tPvRmT1_T2_T3_mT4_P12ihipStream_tbEUlT_E0_NS1_11comp_targetILNS1_3genE2ELNS1_11target_archE906ELNS1_3gpuE6ELNS1_3repE0EEENS1_30default_config_static_selectorELNS0_4arch9wavefront6targetE0EEEvSM_
    .private_segment_fixed_size: 0
    .sgpr_count:     0
    .sgpr_spill_count: 0
    .symbol:         _ZN7rocprim17ROCPRIM_400000_NS6detail17trampoline_kernelINS0_14default_configENS1_22reduce_config_selectorIlEEZNS1_11reduce_implILb1ES3_PlS7_lN6hipcub16HIPCUB_304000_NS6detail34convert_binary_result_type_wrapperINS9_3SumENS9_22TransformInputIteratorIb7NonZeroIfEPflEElEEEE10hipError_tPvRmT1_T2_T3_mT4_P12ihipStream_tbEUlT_E0_NS1_11comp_targetILNS1_3genE2ELNS1_11target_archE906ELNS1_3gpuE6ELNS1_3repE0EEENS1_30default_config_static_selectorELNS0_4arch9wavefront6targetE0EEEvSM_.kd
    .uniform_work_group_size: 1
    .uses_dynamic_stack: false
    .vgpr_count:     0
    .vgpr_spill_count: 0
    .wavefront_size: 32
    .workgroup_processor_mode: 1
  - .args:
      - .offset:         0
        .size:           64
        .value_kind:     by_value
    .group_segment_fixed_size: 0
    .kernarg_segment_align: 8
    .kernarg_segment_size: 64
    .language:       OpenCL C
    .language_version:
      - 2
      - 0
    .max_flat_workgroup_size: 256
    .name:           _ZN7rocprim17ROCPRIM_400000_NS6detail17trampoline_kernelINS0_14default_configENS1_22reduce_config_selectorIlEEZNS1_11reduce_implILb1ES3_PlS7_lN6hipcub16HIPCUB_304000_NS6detail34convert_binary_result_type_wrapperINS9_3SumENS9_22TransformInputIteratorIb7NonZeroIfEPflEElEEEE10hipError_tPvRmT1_T2_T3_mT4_P12ihipStream_tbEUlT_E0_NS1_11comp_targetILNS1_3genE10ELNS1_11target_archE1201ELNS1_3gpuE5ELNS1_3repE0EEENS1_30default_config_static_selectorELNS0_4arch9wavefront6targetE0EEEvSM_
    .private_segment_fixed_size: 0
    .sgpr_count:     0
    .sgpr_spill_count: 0
    .symbol:         _ZN7rocprim17ROCPRIM_400000_NS6detail17trampoline_kernelINS0_14default_configENS1_22reduce_config_selectorIlEEZNS1_11reduce_implILb1ES3_PlS7_lN6hipcub16HIPCUB_304000_NS6detail34convert_binary_result_type_wrapperINS9_3SumENS9_22TransformInputIteratorIb7NonZeroIfEPflEElEEEE10hipError_tPvRmT1_T2_T3_mT4_P12ihipStream_tbEUlT_E0_NS1_11comp_targetILNS1_3genE10ELNS1_11target_archE1201ELNS1_3gpuE5ELNS1_3repE0EEENS1_30default_config_static_selectorELNS0_4arch9wavefront6targetE0EEEvSM_.kd
    .uniform_work_group_size: 1
    .uses_dynamic_stack: false
    .vgpr_count:     0
    .vgpr_spill_count: 0
    .wavefront_size: 32
    .workgroup_processor_mode: 1
  - .args:
      - .offset:         0
        .size:           64
        .value_kind:     by_value
    .group_segment_fixed_size: 0
    .kernarg_segment_align: 8
    .kernarg_segment_size: 64
    .language:       OpenCL C
    .language_version:
      - 2
      - 0
    .max_flat_workgroup_size: 256
    .name:           _ZN7rocprim17ROCPRIM_400000_NS6detail17trampoline_kernelINS0_14default_configENS1_22reduce_config_selectorIlEEZNS1_11reduce_implILb1ES3_PlS7_lN6hipcub16HIPCUB_304000_NS6detail34convert_binary_result_type_wrapperINS9_3SumENS9_22TransformInputIteratorIb7NonZeroIfEPflEElEEEE10hipError_tPvRmT1_T2_T3_mT4_P12ihipStream_tbEUlT_E0_NS1_11comp_targetILNS1_3genE10ELNS1_11target_archE1200ELNS1_3gpuE4ELNS1_3repE0EEENS1_30default_config_static_selectorELNS0_4arch9wavefront6targetE0EEEvSM_
    .private_segment_fixed_size: 0
    .sgpr_count:     0
    .sgpr_spill_count: 0
    .symbol:         _ZN7rocprim17ROCPRIM_400000_NS6detail17trampoline_kernelINS0_14default_configENS1_22reduce_config_selectorIlEEZNS1_11reduce_implILb1ES3_PlS7_lN6hipcub16HIPCUB_304000_NS6detail34convert_binary_result_type_wrapperINS9_3SumENS9_22TransformInputIteratorIb7NonZeroIfEPflEElEEEE10hipError_tPvRmT1_T2_T3_mT4_P12ihipStream_tbEUlT_E0_NS1_11comp_targetILNS1_3genE10ELNS1_11target_archE1200ELNS1_3gpuE4ELNS1_3repE0EEENS1_30default_config_static_selectorELNS0_4arch9wavefront6targetE0EEEvSM_.kd
    .uniform_work_group_size: 1
    .uses_dynamic_stack: false
    .vgpr_count:     0
    .vgpr_spill_count: 0
    .wavefront_size: 32
    .workgroup_processor_mode: 1
  - .args:
      - .offset:         0
        .size:           64
        .value_kind:     by_value
    .group_segment_fixed_size: 128
    .kernarg_segment_align: 8
    .kernarg_segment_size: 64
    .language:       OpenCL C
    .language_version:
      - 2
      - 0
    .max_flat_workgroup_size: 256
    .name:           _ZN7rocprim17ROCPRIM_400000_NS6detail17trampoline_kernelINS0_14default_configENS1_22reduce_config_selectorIlEEZNS1_11reduce_implILb1ES3_PlS7_lN6hipcub16HIPCUB_304000_NS6detail34convert_binary_result_type_wrapperINS9_3SumENS9_22TransformInputIteratorIb7NonZeroIfEPflEElEEEE10hipError_tPvRmT1_T2_T3_mT4_P12ihipStream_tbEUlT_E0_NS1_11comp_targetILNS1_3genE9ELNS1_11target_archE1100ELNS1_3gpuE3ELNS1_3repE0EEENS1_30default_config_static_selectorELNS0_4arch9wavefront6targetE0EEEvSM_
    .private_segment_fixed_size: 0
    .sgpr_count:     22
    .sgpr_spill_count: 0
    .symbol:         _ZN7rocprim17ROCPRIM_400000_NS6detail17trampoline_kernelINS0_14default_configENS1_22reduce_config_selectorIlEEZNS1_11reduce_implILb1ES3_PlS7_lN6hipcub16HIPCUB_304000_NS6detail34convert_binary_result_type_wrapperINS9_3SumENS9_22TransformInputIteratorIb7NonZeroIfEPflEElEEEE10hipError_tPvRmT1_T2_T3_mT4_P12ihipStream_tbEUlT_E0_NS1_11comp_targetILNS1_3genE9ELNS1_11target_archE1100ELNS1_3gpuE3ELNS1_3repE0EEENS1_30default_config_static_selectorELNS0_4arch9wavefront6targetE0EEEvSM_.kd
    .uniform_work_group_size: 1
    .uses_dynamic_stack: false
    .vgpr_count:     12
    .vgpr_spill_count: 0
    .wavefront_size: 32
    .workgroup_processor_mode: 1
  - .args:
      - .offset:         0
        .size:           64
        .value_kind:     by_value
    .group_segment_fixed_size: 0
    .kernarg_segment_align: 8
    .kernarg_segment_size: 64
    .language:       OpenCL C
    .language_version:
      - 2
      - 0
    .max_flat_workgroup_size: 256
    .name:           _ZN7rocprim17ROCPRIM_400000_NS6detail17trampoline_kernelINS0_14default_configENS1_22reduce_config_selectorIlEEZNS1_11reduce_implILb1ES3_PlS7_lN6hipcub16HIPCUB_304000_NS6detail34convert_binary_result_type_wrapperINS9_3SumENS9_22TransformInputIteratorIb7NonZeroIfEPflEElEEEE10hipError_tPvRmT1_T2_T3_mT4_P12ihipStream_tbEUlT_E0_NS1_11comp_targetILNS1_3genE8ELNS1_11target_archE1030ELNS1_3gpuE2ELNS1_3repE0EEENS1_30default_config_static_selectorELNS0_4arch9wavefront6targetE0EEEvSM_
    .private_segment_fixed_size: 0
    .sgpr_count:     0
    .sgpr_spill_count: 0
    .symbol:         _ZN7rocprim17ROCPRIM_400000_NS6detail17trampoline_kernelINS0_14default_configENS1_22reduce_config_selectorIlEEZNS1_11reduce_implILb1ES3_PlS7_lN6hipcub16HIPCUB_304000_NS6detail34convert_binary_result_type_wrapperINS9_3SumENS9_22TransformInputIteratorIb7NonZeroIfEPflEElEEEE10hipError_tPvRmT1_T2_T3_mT4_P12ihipStream_tbEUlT_E0_NS1_11comp_targetILNS1_3genE8ELNS1_11target_archE1030ELNS1_3gpuE2ELNS1_3repE0EEENS1_30default_config_static_selectorELNS0_4arch9wavefront6targetE0EEEvSM_.kd
    .uniform_work_group_size: 1
    .uses_dynamic_stack: false
    .vgpr_count:     0
    .vgpr_spill_count: 0
    .wavefront_size: 32
    .workgroup_processor_mode: 1
  - .args:
      - .offset:         0
        .size:           48
        .value_kind:     by_value
    .group_segment_fixed_size: 0
    .kernarg_segment_align: 8
    .kernarg_segment_size: 48
    .language:       OpenCL C
    .language_version:
      - 2
      - 0
    .max_flat_workgroup_size: 256
    .name:           _ZN7rocprim17ROCPRIM_400000_NS6detail17trampoline_kernelINS0_14default_configENS1_22reduce_config_selectorIlEEZNS1_11reduce_implILb1ES3_PlS7_lN6hipcub16HIPCUB_304000_NS6detail34convert_binary_result_type_wrapperINS9_3SumENS9_22TransformInputIteratorIb7NonZeroIfEPflEElEEEE10hipError_tPvRmT1_T2_T3_mT4_P12ihipStream_tbEUlT_E1_NS1_11comp_targetILNS1_3genE0ELNS1_11target_archE4294967295ELNS1_3gpuE0ELNS1_3repE0EEENS1_30default_config_static_selectorELNS0_4arch9wavefront6targetE0EEEvSM_
    .private_segment_fixed_size: 0
    .sgpr_count:     0
    .sgpr_spill_count: 0
    .symbol:         _ZN7rocprim17ROCPRIM_400000_NS6detail17trampoline_kernelINS0_14default_configENS1_22reduce_config_selectorIlEEZNS1_11reduce_implILb1ES3_PlS7_lN6hipcub16HIPCUB_304000_NS6detail34convert_binary_result_type_wrapperINS9_3SumENS9_22TransformInputIteratorIb7NonZeroIfEPflEElEEEE10hipError_tPvRmT1_T2_T3_mT4_P12ihipStream_tbEUlT_E1_NS1_11comp_targetILNS1_3genE0ELNS1_11target_archE4294967295ELNS1_3gpuE0ELNS1_3repE0EEENS1_30default_config_static_selectorELNS0_4arch9wavefront6targetE0EEEvSM_.kd
    .uniform_work_group_size: 1
    .uses_dynamic_stack: false
    .vgpr_count:     0
    .vgpr_spill_count: 0
    .wavefront_size: 32
    .workgroup_processor_mode: 1
  - .args:
      - .offset:         0
        .size:           48
        .value_kind:     by_value
    .group_segment_fixed_size: 0
    .kernarg_segment_align: 8
    .kernarg_segment_size: 48
    .language:       OpenCL C
    .language_version:
      - 2
      - 0
    .max_flat_workgroup_size: 256
    .name:           _ZN7rocprim17ROCPRIM_400000_NS6detail17trampoline_kernelINS0_14default_configENS1_22reduce_config_selectorIlEEZNS1_11reduce_implILb1ES3_PlS7_lN6hipcub16HIPCUB_304000_NS6detail34convert_binary_result_type_wrapperINS9_3SumENS9_22TransformInputIteratorIb7NonZeroIfEPflEElEEEE10hipError_tPvRmT1_T2_T3_mT4_P12ihipStream_tbEUlT_E1_NS1_11comp_targetILNS1_3genE5ELNS1_11target_archE942ELNS1_3gpuE9ELNS1_3repE0EEENS1_30default_config_static_selectorELNS0_4arch9wavefront6targetE0EEEvSM_
    .private_segment_fixed_size: 0
    .sgpr_count:     0
    .sgpr_spill_count: 0
    .symbol:         _ZN7rocprim17ROCPRIM_400000_NS6detail17trampoline_kernelINS0_14default_configENS1_22reduce_config_selectorIlEEZNS1_11reduce_implILb1ES3_PlS7_lN6hipcub16HIPCUB_304000_NS6detail34convert_binary_result_type_wrapperINS9_3SumENS9_22TransformInputIteratorIb7NonZeroIfEPflEElEEEE10hipError_tPvRmT1_T2_T3_mT4_P12ihipStream_tbEUlT_E1_NS1_11comp_targetILNS1_3genE5ELNS1_11target_archE942ELNS1_3gpuE9ELNS1_3repE0EEENS1_30default_config_static_selectorELNS0_4arch9wavefront6targetE0EEEvSM_.kd
    .uniform_work_group_size: 1
    .uses_dynamic_stack: false
    .vgpr_count:     0
    .vgpr_spill_count: 0
    .wavefront_size: 32
    .workgroup_processor_mode: 1
  - .args:
      - .offset:         0
        .size:           48
        .value_kind:     by_value
    .group_segment_fixed_size: 0
    .kernarg_segment_align: 8
    .kernarg_segment_size: 48
    .language:       OpenCL C
    .language_version:
      - 2
      - 0
    .max_flat_workgroup_size: 256
    .name:           _ZN7rocprim17ROCPRIM_400000_NS6detail17trampoline_kernelINS0_14default_configENS1_22reduce_config_selectorIlEEZNS1_11reduce_implILb1ES3_PlS7_lN6hipcub16HIPCUB_304000_NS6detail34convert_binary_result_type_wrapperINS9_3SumENS9_22TransformInputIteratorIb7NonZeroIfEPflEElEEEE10hipError_tPvRmT1_T2_T3_mT4_P12ihipStream_tbEUlT_E1_NS1_11comp_targetILNS1_3genE4ELNS1_11target_archE910ELNS1_3gpuE8ELNS1_3repE0EEENS1_30default_config_static_selectorELNS0_4arch9wavefront6targetE0EEEvSM_
    .private_segment_fixed_size: 0
    .sgpr_count:     0
    .sgpr_spill_count: 0
    .symbol:         _ZN7rocprim17ROCPRIM_400000_NS6detail17trampoline_kernelINS0_14default_configENS1_22reduce_config_selectorIlEEZNS1_11reduce_implILb1ES3_PlS7_lN6hipcub16HIPCUB_304000_NS6detail34convert_binary_result_type_wrapperINS9_3SumENS9_22TransformInputIteratorIb7NonZeroIfEPflEElEEEE10hipError_tPvRmT1_T2_T3_mT4_P12ihipStream_tbEUlT_E1_NS1_11comp_targetILNS1_3genE4ELNS1_11target_archE910ELNS1_3gpuE8ELNS1_3repE0EEENS1_30default_config_static_selectorELNS0_4arch9wavefront6targetE0EEEvSM_.kd
    .uniform_work_group_size: 1
    .uses_dynamic_stack: false
    .vgpr_count:     0
    .vgpr_spill_count: 0
    .wavefront_size: 32
    .workgroup_processor_mode: 1
  - .args:
      - .offset:         0
        .size:           48
        .value_kind:     by_value
    .group_segment_fixed_size: 0
    .kernarg_segment_align: 8
    .kernarg_segment_size: 48
    .language:       OpenCL C
    .language_version:
      - 2
      - 0
    .max_flat_workgroup_size: 256
    .name:           _ZN7rocprim17ROCPRIM_400000_NS6detail17trampoline_kernelINS0_14default_configENS1_22reduce_config_selectorIlEEZNS1_11reduce_implILb1ES3_PlS7_lN6hipcub16HIPCUB_304000_NS6detail34convert_binary_result_type_wrapperINS9_3SumENS9_22TransformInputIteratorIb7NonZeroIfEPflEElEEEE10hipError_tPvRmT1_T2_T3_mT4_P12ihipStream_tbEUlT_E1_NS1_11comp_targetILNS1_3genE3ELNS1_11target_archE908ELNS1_3gpuE7ELNS1_3repE0EEENS1_30default_config_static_selectorELNS0_4arch9wavefront6targetE0EEEvSM_
    .private_segment_fixed_size: 0
    .sgpr_count:     0
    .sgpr_spill_count: 0
    .symbol:         _ZN7rocprim17ROCPRIM_400000_NS6detail17trampoline_kernelINS0_14default_configENS1_22reduce_config_selectorIlEEZNS1_11reduce_implILb1ES3_PlS7_lN6hipcub16HIPCUB_304000_NS6detail34convert_binary_result_type_wrapperINS9_3SumENS9_22TransformInputIteratorIb7NonZeroIfEPflEElEEEE10hipError_tPvRmT1_T2_T3_mT4_P12ihipStream_tbEUlT_E1_NS1_11comp_targetILNS1_3genE3ELNS1_11target_archE908ELNS1_3gpuE7ELNS1_3repE0EEENS1_30default_config_static_selectorELNS0_4arch9wavefront6targetE0EEEvSM_.kd
    .uniform_work_group_size: 1
    .uses_dynamic_stack: false
    .vgpr_count:     0
    .vgpr_spill_count: 0
    .wavefront_size: 32
    .workgroup_processor_mode: 1
  - .args:
      - .offset:         0
        .size:           48
        .value_kind:     by_value
    .group_segment_fixed_size: 0
    .kernarg_segment_align: 8
    .kernarg_segment_size: 48
    .language:       OpenCL C
    .language_version:
      - 2
      - 0
    .max_flat_workgroup_size: 256
    .name:           _ZN7rocprim17ROCPRIM_400000_NS6detail17trampoline_kernelINS0_14default_configENS1_22reduce_config_selectorIlEEZNS1_11reduce_implILb1ES3_PlS7_lN6hipcub16HIPCUB_304000_NS6detail34convert_binary_result_type_wrapperINS9_3SumENS9_22TransformInputIteratorIb7NonZeroIfEPflEElEEEE10hipError_tPvRmT1_T2_T3_mT4_P12ihipStream_tbEUlT_E1_NS1_11comp_targetILNS1_3genE2ELNS1_11target_archE906ELNS1_3gpuE6ELNS1_3repE0EEENS1_30default_config_static_selectorELNS0_4arch9wavefront6targetE0EEEvSM_
    .private_segment_fixed_size: 0
    .sgpr_count:     0
    .sgpr_spill_count: 0
    .symbol:         _ZN7rocprim17ROCPRIM_400000_NS6detail17trampoline_kernelINS0_14default_configENS1_22reduce_config_selectorIlEEZNS1_11reduce_implILb1ES3_PlS7_lN6hipcub16HIPCUB_304000_NS6detail34convert_binary_result_type_wrapperINS9_3SumENS9_22TransformInputIteratorIb7NonZeroIfEPflEElEEEE10hipError_tPvRmT1_T2_T3_mT4_P12ihipStream_tbEUlT_E1_NS1_11comp_targetILNS1_3genE2ELNS1_11target_archE906ELNS1_3gpuE6ELNS1_3repE0EEENS1_30default_config_static_selectorELNS0_4arch9wavefront6targetE0EEEvSM_.kd
    .uniform_work_group_size: 1
    .uses_dynamic_stack: false
    .vgpr_count:     0
    .vgpr_spill_count: 0
    .wavefront_size: 32
    .workgroup_processor_mode: 1
  - .args:
      - .offset:         0
        .size:           48
        .value_kind:     by_value
    .group_segment_fixed_size: 0
    .kernarg_segment_align: 8
    .kernarg_segment_size: 48
    .language:       OpenCL C
    .language_version:
      - 2
      - 0
    .max_flat_workgroup_size: 256
    .name:           _ZN7rocprim17ROCPRIM_400000_NS6detail17trampoline_kernelINS0_14default_configENS1_22reduce_config_selectorIlEEZNS1_11reduce_implILb1ES3_PlS7_lN6hipcub16HIPCUB_304000_NS6detail34convert_binary_result_type_wrapperINS9_3SumENS9_22TransformInputIteratorIb7NonZeroIfEPflEElEEEE10hipError_tPvRmT1_T2_T3_mT4_P12ihipStream_tbEUlT_E1_NS1_11comp_targetILNS1_3genE10ELNS1_11target_archE1201ELNS1_3gpuE5ELNS1_3repE0EEENS1_30default_config_static_selectorELNS0_4arch9wavefront6targetE0EEEvSM_
    .private_segment_fixed_size: 0
    .sgpr_count:     0
    .sgpr_spill_count: 0
    .symbol:         _ZN7rocprim17ROCPRIM_400000_NS6detail17trampoline_kernelINS0_14default_configENS1_22reduce_config_selectorIlEEZNS1_11reduce_implILb1ES3_PlS7_lN6hipcub16HIPCUB_304000_NS6detail34convert_binary_result_type_wrapperINS9_3SumENS9_22TransformInputIteratorIb7NonZeroIfEPflEElEEEE10hipError_tPvRmT1_T2_T3_mT4_P12ihipStream_tbEUlT_E1_NS1_11comp_targetILNS1_3genE10ELNS1_11target_archE1201ELNS1_3gpuE5ELNS1_3repE0EEENS1_30default_config_static_selectorELNS0_4arch9wavefront6targetE0EEEvSM_.kd
    .uniform_work_group_size: 1
    .uses_dynamic_stack: false
    .vgpr_count:     0
    .vgpr_spill_count: 0
    .wavefront_size: 32
    .workgroup_processor_mode: 1
  - .args:
      - .offset:         0
        .size:           48
        .value_kind:     by_value
    .group_segment_fixed_size: 0
    .kernarg_segment_align: 8
    .kernarg_segment_size: 48
    .language:       OpenCL C
    .language_version:
      - 2
      - 0
    .max_flat_workgroup_size: 256
    .name:           _ZN7rocprim17ROCPRIM_400000_NS6detail17trampoline_kernelINS0_14default_configENS1_22reduce_config_selectorIlEEZNS1_11reduce_implILb1ES3_PlS7_lN6hipcub16HIPCUB_304000_NS6detail34convert_binary_result_type_wrapperINS9_3SumENS9_22TransformInputIteratorIb7NonZeroIfEPflEElEEEE10hipError_tPvRmT1_T2_T3_mT4_P12ihipStream_tbEUlT_E1_NS1_11comp_targetILNS1_3genE10ELNS1_11target_archE1200ELNS1_3gpuE4ELNS1_3repE0EEENS1_30default_config_static_selectorELNS0_4arch9wavefront6targetE0EEEvSM_
    .private_segment_fixed_size: 0
    .sgpr_count:     0
    .sgpr_spill_count: 0
    .symbol:         _ZN7rocprim17ROCPRIM_400000_NS6detail17trampoline_kernelINS0_14default_configENS1_22reduce_config_selectorIlEEZNS1_11reduce_implILb1ES3_PlS7_lN6hipcub16HIPCUB_304000_NS6detail34convert_binary_result_type_wrapperINS9_3SumENS9_22TransformInputIteratorIb7NonZeroIfEPflEElEEEE10hipError_tPvRmT1_T2_T3_mT4_P12ihipStream_tbEUlT_E1_NS1_11comp_targetILNS1_3genE10ELNS1_11target_archE1200ELNS1_3gpuE4ELNS1_3repE0EEENS1_30default_config_static_selectorELNS0_4arch9wavefront6targetE0EEEvSM_.kd
    .uniform_work_group_size: 1
    .uses_dynamic_stack: false
    .vgpr_count:     0
    .vgpr_spill_count: 0
    .wavefront_size: 32
    .workgroup_processor_mode: 1
  - .args:
      - .offset:         0
        .size:           48
        .value_kind:     by_value
    .group_segment_fixed_size: 384
    .kernarg_segment_align: 8
    .kernarg_segment_size: 48
    .language:       OpenCL C
    .language_version:
      - 2
      - 0
    .max_flat_workgroup_size: 256
    .name:           _ZN7rocprim17ROCPRIM_400000_NS6detail17trampoline_kernelINS0_14default_configENS1_22reduce_config_selectorIlEEZNS1_11reduce_implILb1ES3_PlS7_lN6hipcub16HIPCUB_304000_NS6detail34convert_binary_result_type_wrapperINS9_3SumENS9_22TransformInputIteratorIb7NonZeroIfEPflEElEEEE10hipError_tPvRmT1_T2_T3_mT4_P12ihipStream_tbEUlT_E1_NS1_11comp_targetILNS1_3genE9ELNS1_11target_archE1100ELNS1_3gpuE3ELNS1_3repE0EEENS1_30default_config_static_selectorELNS0_4arch9wavefront6targetE0EEEvSM_
    .private_segment_fixed_size: 0
    .sgpr_count:     32
    .sgpr_spill_count: 0
    .symbol:         _ZN7rocprim17ROCPRIM_400000_NS6detail17trampoline_kernelINS0_14default_configENS1_22reduce_config_selectorIlEEZNS1_11reduce_implILb1ES3_PlS7_lN6hipcub16HIPCUB_304000_NS6detail34convert_binary_result_type_wrapperINS9_3SumENS9_22TransformInputIteratorIb7NonZeroIfEPflEElEEEE10hipError_tPvRmT1_T2_T3_mT4_P12ihipStream_tbEUlT_E1_NS1_11comp_targetILNS1_3genE9ELNS1_11target_archE1100ELNS1_3gpuE3ELNS1_3repE0EEENS1_30default_config_static_selectorELNS0_4arch9wavefront6targetE0EEEvSM_.kd
    .uniform_work_group_size: 1
    .uses_dynamic_stack: false
    .vgpr_count:     34
    .vgpr_spill_count: 0
    .wavefront_size: 32
    .workgroup_processor_mode: 1
  - .args:
      - .offset:         0
        .size:           48
        .value_kind:     by_value
    .group_segment_fixed_size: 0
    .kernarg_segment_align: 8
    .kernarg_segment_size: 48
    .language:       OpenCL C
    .language_version:
      - 2
      - 0
    .max_flat_workgroup_size: 256
    .name:           _ZN7rocprim17ROCPRIM_400000_NS6detail17trampoline_kernelINS0_14default_configENS1_22reduce_config_selectorIlEEZNS1_11reduce_implILb1ES3_PlS7_lN6hipcub16HIPCUB_304000_NS6detail34convert_binary_result_type_wrapperINS9_3SumENS9_22TransformInputIteratorIb7NonZeroIfEPflEElEEEE10hipError_tPvRmT1_T2_T3_mT4_P12ihipStream_tbEUlT_E1_NS1_11comp_targetILNS1_3genE8ELNS1_11target_archE1030ELNS1_3gpuE2ELNS1_3repE0EEENS1_30default_config_static_selectorELNS0_4arch9wavefront6targetE0EEEvSM_
    .private_segment_fixed_size: 0
    .sgpr_count:     0
    .sgpr_spill_count: 0
    .symbol:         _ZN7rocprim17ROCPRIM_400000_NS6detail17trampoline_kernelINS0_14default_configENS1_22reduce_config_selectorIlEEZNS1_11reduce_implILb1ES3_PlS7_lN6hipcub16HIPCUB_304000_NS6detail34convert_binary_result_type_wrapperINS9_3SumENS9_22TransformInputIteratorIb7NonZeroIfEPflEElEEEE10hipError_tPvRmT1_T2_T3_mT4_P12ihipStream_tbEUlT_E1_NS1_11comp_targetILNS1_3genE8ELNS1_11target_archE1030ELNS1_3gpuE2ELNS1_3repE0EEENS1_30default_config_static_selectorELNS0_4arch9wavefront6targetE0EEEvSM_.kd
    .uniform_work_group_size: 1
    .uses_dynamic_stack: false
    .vgpr_count:     0
    .vgpr_spill_count: 0
    .wavefront_size: 32
    .workgroup_processor_mode: 1
  - .args:
      - .offset:         0
        .size:           72
        .value_kind:     by_value
    .group_segment_fixed_size: 0
    .kernarg_segment_align: 8
    .kernarg_segment_size: 72
    .language:       OpenCL C
    .language_version:
      - 2
      - 0
    .max_flat_workgroup_size: 256
    .name:           _ZN7rocprim17ROCPRIM_400000_NS6detail17trampoline_kernelINS0_14default_configENS1_22reduce_config_selectorIbEEZNS1_11reduce_implILb1ES3_N6hipcub16HIPCUB_304000_NS22TransformInputIteratorIb7NonZeroIfEPflEEPllNS8_6detail34convert_binary_result_type_wrapperINS8_3SumESD_lEEEE10hipError_tPvRmT1_T2_T3_mT4_P12ihipStream_tbEUlT_E0_NS1_11comp_targetILNS1_3genE0ELNS1_11target_archE4294967295ELNS1_3gpuE0ELNS1_3repE0EEENS1_30default_config_static_selectorELNS0_4arch9wavefront6targetE0EEEvSM_
    .private_segment_fixed_size: 0
    .sgpr_count:     0
    .sgpr_spill_count: 0
    .symbol:         _ZN7rocprim17ROCPRIM_400000_NS6detail17trampoline_kernelINS0_14default_configENS1_22reduce_config_selectorIbEEZNS1_11reduce_implILb1ES3_N6hipcub16HIPCUB_304000_NS22TransformInputIteratorIb7NonZeroIfEPflEEPllNS8_6detail34convert_binary_result_type_wrapperINS8_3SumESD_lEEEE10hipError_tPvRmT1_T2_T3_mT4_P12ihipStream_tbEUlT_E0_NS1_11comp_targetILNS1_3genE0ELNS1_11target_archE4294967295ELNS1_3gpuE0ELNS1_3repE0EEENS1_30default_config_static_selectorELNS0_4arch9wavefront6targetE0EEEvSM_.kd
    .uniform_work_group_size: 1
    .uses_dynamic_stack: false
    .vgpr_count:     0
    .vgpr_spill_count: 0
    .wavefront_size: 32
    .workgroup_processor_mode: 1
  - .args:
      - .offset:         0
        .size:           72
        .value_kind:     by_value
    .group_segment_fixed_size: 0
    .kernarg_segment_align: 8
    .kernarg_segment_size: 72
    .language:       OpenCL C
    .language_version:
      - 2
      - 0
    .max_flat_workgroup_size: 256
    .name:           _ZN7rocprim17ROCPRIM_400000_NS6detail17trampoline_kernelINS0_14default_configENS1_22reduce_config_selectorIbEEZNS1_11reduce_implILb1ES3_N6hipcub16HIPCUB_304000_NS22TransformInputIteratorIb7NonZeroIfEPflEEPllNS8_6detail34convert_binary_result_type_wrapperINS8_3SumESD_lEEEE10hipError_tPvRmT1_T2_T3_mT4_P12ihipStream_tbEUlT_E0_NS1_11comp_targetILNS1_3genE5ELNS1_11target_archE942ELNS1_3gpuE9ELNS1_3repE0EEENS1_30default_config_static_selectorELNS0_4arch9wavefront6targetE0EEEvSM_
    .private_segment_fixed_size: 0
    .sgpr_count:     0
    .sgpr_spill_count: 0
    .symbol:         _ZN7rocprim17ROCPRIM_400000_NS6detail17trampoline_kernelINS0_14default_configENS1_22reduce_config_selectorIbEEZNS1_11reduce_implILb1ES3_N6hipcub16HIPCUB_304000_NS22TransformInputIteratorIb7NonZeroIfEPflEEPllNS8_6detail34convert_binary_result_type_wrapperINS8_3SumESD_lEEEE10hipError_tPvRmT1_T2_T3_mT4_P12ihipStream_tbEUlT_E0_NS1_11comp_targetILNS1_3genE5ELNS1_11target_archE942ELNS1_3gpuE9ELNS1_3repE0EEENS1_30default_config_static_selectorELNS0_4arch9wavefront6targetE0EEEvSM_.kd
    .uniform_work_group_size: 1
    .uses_dynamic_stack: false
    .vgpr_count:     0
    .vgpr_spill_count: 0
    .wavefront_size: 32
    .workgroup_processor_mode: 1
  - .args:
      - .offset:         0
        .size:           72
        .value_kind:     by_value
    .group_segment_fixed_size: 0
    .kernarg_segment_align: 8
    .kernarg_segment_size: 72
    .language:       OpenCL C
    .language_version:
      - 2
      - 0
    .max_flat_workgroup_size: 128
    .name:           _ZN7rocprim17ROCPRIM_400000_NS6detail17trampoline_kernelINS0_14default_configENS1_22reduce_config_selectorIbEEZNS1_11reduce_implILb1ES3_N6hipcub16HIPCUB_304000_NS22TransformInputIteratorIb7NonZeroIfEPflEEPllNS8_6detail34convert_binary_result_type_wrapperINS8_3SumESD_lEEEE10hipError_tPvRmT1_T2_T3_mT4_P12ihipStream_tbEUlT_E0_NS1_11comp_targetILNS1_3genE4ELNS1_11target_archE910ELNS1_3gpuE8ELNS1_3repE0EEENS1_30default_config_static_selectorELNS0_4arch9wavefront6targetE0EEEvSM_
    .private_segment_fixed_size: 0
    .sgpr_count:     0
    .sgpr_spill_count: 0
    .symbol:         _ZN7rocprim17ROCPRIM_400000_NS6detail17trampoline_kernelINS0_14default_configENS1_22reduce_config_selectorIbEEZNS1_11reduce_implILb1ES3_N6hipcub16HIPCUB_304000_NS22TransformInputIteratorIb7NonZeroIfEPflEEPllNS8_6detail34convert_binary_result_type_wrapperINS8_3SumESD_lEEEE10hipError_tPvRmT1_T2_T3_mT4_P12ihipStream_tbEUlT_E0_NS1_11comp_targetILNS1_3genE4ELNS1_11target_archE910ELNS1_3gpuE8ELNS1_3repE0EEENS1_30default_config_static_selectorELNS0_4arch9wavefront6targetE0EEEvSM_.kd
    .uniform_work_group_size: 1
    .uses_dynamic_stack: false
    .vgpr_count:     0
    .vgpr_spill_count: 0
    .wavefront_size: 32
    .workgroup_processor_mode: 1
  - .args:
      - .offset:         0
        .size:           72
        .value_kind:     by_value
    .group_segment_fixed_size: 0
    .kernarg_segment_align: 8
    .kernarg_segment_size: 72
    .language:       OpenCL C
    .language_version:
      - 2
      - 0
    .max_flat_workgroup_size: 256
    .name:           _ZN7rocprim17ROCPRIM_400000_NS6detail17trampoline_kernelINS0_14default_configENS1_22reduce_config_selectorIbEEZNS1_11reduce_implILb1ES3_N6hipcub16HIPCUB_304000_NS22TransformInputIteratorIb7NonZeroIfEPflEEPllNS8_6detail34convert_binary_result_type_wrapperINS8_3SumESD_lEEEE10hipError_tPvRmT1_T2_T3_mT4_P12ihipStream_tbEUlT_E0_NS1_11comp_targetILNS1_3genE3ELNS1_11target_archE908ELNS1_3gpuE7ELNS1_3repE0EEENS1_30default_config_static_selectorELNS0_4arch9wavefront6targetE0EEEvSM_
    .private_segment_fixed_size: 0
    .sgpr_count:     0
    .sgpr_spill_count: 0
    .symbol:         _ZN7rocprim17ROCPRIM_400000_NS6detail17trampoline_kernelINS0_14default_configENS1_22reduce_config_selectorIbEEZNS1_11reduce_implILb1ES3_N6hipcub16HIPCUB_304000_NS22TransformInputIteratorIb7NonZeroIfEPflEEPllNS8_6detail34convert_binary_result_type_wrapperINS8_3SumESD_lEEEE10hipError_tPvRmT1_T2_T3_mT4_P12ihipStream_tbEUlT_E0_NS1_11comp_targetILNS1_3genE3ELNS1_11target_archE908ELNS1_3gpuE7ELNS1_3repE0EEENS1_30default_config_static_selectorELNS0_4arch9wavefront6targetE0EEEvSM_.kd
    .uniform_work_group_size: 1
    .uses_dynamic_stack: false
    .vgpr_count:     0
    .vgpr_spill_count: 0
    .wavefront_size: 32
    .workgroup_processor_mode: 1
  - .args:
      - .offset:         0
        .size:           72
        .value_kind:     by_value
    .group_segment_fixed_size: 0
    .kernarg_segment_align: 8
    .kernarg_segment_size: 72
    .language:       OpenCL C
    .language_version:
      - 2
      - 0
    .max_flat_workgroup_size: 128
    .name:           _ZN7rocprim17ROCPRIM_400000_NS6detail17trampoline_kernelINS0_14default_configENS1_22reduce_config_selectorIbEEZNS1_11reduce_implILb1ES3_N6hipcub16HIPCUB_304000_NS22TransformInputIteratorIb7NonZeroIfEPflEEPllNS8_6detail34convert_binary_result_type_wrapperINS8_3SumESD_lEEEE10hipError_tPvRmT1_T2_T3_mT4_P12ihipStream_tbEUlT_E0_NS1_11comp_targetILNS1_3genE2ELNS1_11target_archE906ELNS1_3gpuE6ELNS1_3repE0EEENS1_30default_config_static_selectorELNS0_4arch9wavefront6targetE0EEEvSM_
    .private_segment_fixed_size: 0
    .sgpr_count:     0
    .sgpr_spill_count: 0
    .symbol:         _ZN7rocprim17ROCPRIM_400000_NS6detail17trampoline_kernelINS0_14default_configENS1_22reduce_config_selectorIbEEZNS1_11reduce_implILb1ES3_N6hipcub16HIPCUB_304000_NS22TransformInputIteratorIb7NonZeroIfEPflEEPllNS8_6detail34convert_binary_result_type_wrapperINS8_3SumESD_lEEEE10hipError_tPvRmT1_T2_T3_mT4_P12ihipStream_tbEUlT_E0_NS1_11comp_targetILNS1_3genE2ELNS1_11target_archE906ELNS1_3gpuE6ELNS1_3repE0EEENS1_30default_config_static_selectorELNS0_4arch9wavefront6targetE0EEEvSM_.kd
    .uniform_work_group_size: 1
    .uses_dynamic_stack: false
    .vgpr_count:     0
    .vgpr_spill_count: 0
    .wavefront_size: 32
    .workgroup_processor_mode: 1
  - .args:
      - .offset:         0
        .size:           72
        .value_kind:     by_value
    .group_segment_fixed_size: 0
    .kernarg_segment_align: 8
    .kernarg_segment_size: 72
    .language:       OpenCL C
    .language_version:
      - 2
      - 0
    .max_flat_workgroup_size: 256
    .name:           _ZN7rocprim17ROCPRIM_400000_NS6detail17trampoline_kernelINS0_14default_configENS1_22reduce_config_selectorIbEEZNS1_11reduce_implILb1ES3_N6hipcub16HIPCUB_304000_NS22TransformInputIteratorIb7NonZeroIfEPflEEPllNS8_6detail34convert_binary_result_type_wrapperINS8_3SumESD_lEEEE10hipError_tPvRmT1_T2_T3_mT4_P12ihipStream_tbEUlT_E0_NS1_11comp_targetILNS1_3genE10ELNS1_11target_archE1201ELNS1_3gpuE5ELNS1_3repE0EEENS1_30default_config_static_selectorELNS0_4arch9wavefront6targetE0EEEvSM_
    .private_segment_fixed_size: 0
    .sgpr_count:     0
    .sgpr_spill_count: 0
    .symbol:         _ZN7rocprim17ROCPRIM_400000_NS6detail17trampoline_kernelINS0_14default_configENS1_22reduce_config_selectorIbEEZNS1_11reduce_implILb1ES3_N6hipcub16HIPCUB_304000_NS22TransformInputIteratorIb7NonZeroIfEPflEEPllNS8_6detail34convert_binary_result_type_wrapperINS8_3SumESD_lEEEE10hipError_tPvRmT1_T2_T3_mT4_P12ihipStream_tbEUlT_E0_NS1_11comp_targetILNS1_3genE10ELNS1_11target_archE1201ELNS1_3gpuE5ELNS1_3repE0EEENS1_30default_config_static_selectorELNS0_4arch9wavefront6targetE0EEEvSM_.kd
    .uniform_work_group_size: 1
    .uses_dynamic_stack: false
    .vgpr_count:     0
    .vgpr_spill_count: 0
    .wavefront_size: 32
    .workgroup_processor_mode: 1
  - .args:
      - .offset:         0
        .size:           72
        .value_kind:     by_value
    .group_segment_fixed_size: 0
    .kernarg_segment_align: 8
    .kernarg_segment_size: 72
    .language:       OpenCL C
    .language_version:
      - 2
      - 0
    .max_flat_workgroup_size: 256
    .name:           _ZN7rocprim17ROCPRIM_400000_NS6detail17trampoline_kernelINS0_14default_configENS1_22reduce_config_selectorIbEEZNS1_11reduce_implILb1ES3_N6hipcub16HIPCUB_304000_NS22TransformInputIteratorIb7NonZeroIfEPflEEPllNS8_6detail34convert_binary_result_type_wrapperINS8_3SumESD_lEEEE10hipError_tPvRmT1_T2_T3_mT4_P12ihipStream_tbEUlT_E0_NS1_11comp_targetILNS1_3genE10ELNS1_11target_archE1200ELNS1_3gpuE4ELNS1_3repE0EEENS1_30default_config_static_selectorELNS0_4arch9wavefront6targetE0EEEvSM_
    .private_segment_fixed_size: 0
    .sgpr_count:     0
    .sgpr_spill_count: 0
    .symbol:         _ZN7rocprim17ROCPRIM_400000_NS6detail17trampoline_kernelINS0_14default_configENS1_22reduce_config_selectorIbEEZNS1_11reduce_implILb1ES3_N6hipcub16HIPCUB_304000_NS22TransformInputIteratorIb7NonZeroIfEPflEEPllNS8_6detail34convert_binary_result_type_wrapperINS8_3SumESD_lEEEE10hipError_tPvRmT1_T2_T3_mT4_P12ihipStream_tbEUlT_E0_NS1_11comp_targetILNS1_3genE10ELNS1_11target_archE1200ELNS1_3gpuE4ELNS1_3repE0EEENS1_30default_config_static_selectorELNS0_4arch9wavefront6targetE0EEEvSM_.kd
    .uniform_work_group_size: 1
    .uses_dynamic_stack: false
    .vgpr_count:     0
    .vgpr_spill_count: 0
    .wavefront_size: 32
    .workgroup_processor_mode: 1
  - .args:
      - .offset:         0
        .size:           72
        .value_kind:     by_value
    .group_segment_fixed_size: 64
    .kernarg_segment_align: 8
    .kernarg_segment_size: 72
    .language:       OpenCL C
    .language_version:
      - 2
      - 0
    .max_flat_workgroup_size: 128
    .name:           _ZN7rocprim17ROCPRIM_400000_NS6detail17trampoline_kernelINS0_14default_configENS1_22reduce_config_selectorIbEEZNS1_11reduce_implILb1ES3_N6hipcub16HIPCUB_304000_NS22TransformInputIteratorIb7NonZeroIfEPflEEPllNS8_6detail34convert_binary_result_type_wrapperINS8_3SumESD_lEEEE10hipError_tPvRmT1_T2_T3_mT4_P12ihipStream_tbEUlT_E0_NS1_11comp_targetILNS1_3genE9ELNS1_11target_archE1100ELNS1_3gpuE3ELNS1_3repE0EEENS1_30default_config_static_selectorELNS0_4arch9wavefront6targetE0EEEvSM_
    .private_segment_fixed_size: 0
    .sgpr_count:     32
    .sgpr_spill_count: 0
    .symbol:         _ZN7rocprim17ROCPRIM_400000_NS6detail17trampoline_kernelINS0_14default_configENS1_22reduce_config_selectorIbEEZNS1_11reduce_implILb1ES3_N6hipcub16HIPCUB_304000_NS22TransformInputIteratorIb7NonZeroIfEPflEEPllNS8_6detail34convert_binary_result_type_wrapperINS8_3SumESD_lEEEE10hipError_tPvRmT1_T2_T3_mT4_P12ihipStream_tbEUlT_E0_NS1_11comp_targetILNS1_3genE9ELNS1_11target_archE1100ELNS1_3gpuE3ELNS1_3repE0EEENS1_30default_config_static_selectorELNS0_4arch9wavefront6targetE0EEEvSM_.kd
    .uniform_work_group_size: 1
    .uses_dynamic_stack: false
    .vgpr_count:     36
    .vgpr_spill_count: 0
    .wavefront_size: 32
    .workgroup_processor_mode: 1
  - .args:
      - .offset:         0
        .size:           72
        .value_kind:     by_value
    .group_segment_fixed_size: 0
    .kernarg_segment_align: 8
    .kernarg_segment_size: 72
    .language:       OpenCL C
    .language_version:
      - 2
      - 0
    .max_flat_workgroup_size: 256
    .name:           _ZN7rocprim17ROCPRIM_400000_NS6detail17trampoline_kernelINS0_14default_configENS1_22reduce_config_selectorIbEEZNS1_11reduce_implILb1ES3_N6hipcub16HIPCUB_304000_NS22TransformInputIteratorIb7NonZeroIfEPflEEPllNS8_6detail34convert_binary_result_type_wrapperINS8_3SumESD_lEEEE10hipError_tPvRmT1_T2_T3_mT4_P12ihipStream_tbEUlT_E0_NS1_11comp_targetILNS1_3genE8ELNS1_11target_archE1030ELNS1_3gpuE2ELNS1_3repE0EEENS1_30default_config_static_selectorELNS0_4arch9wavefront6targetE0EEEvSM_
    .private_segment_fixed_size: 0
    .sgpr_count:     0
    .sgpr_spill_count: 0
    .symbol:         _ZN7rocprim17ROCPRIM_400000_NS6detail17trampoline_kernelINS0_14default_configENS1_22reduce_config_selectorIbEEZNS1_11reduce_implILb1ES3_N6hipcub16HIPCUB_304000_NS22TransformInputIteratorIb7NonZeroIfEPflEEPllNS8_6detail34convert_binary_result_type_wrapperINS8_3SumESD_lEEEE10hipError_tPvRmT1_T2_T3_mT4_P12ihipStream_tbEUlT_E0_NS1_11comp_targetILNS1_3genE8ELNS1_11target_archE1030ELNS1_3gpuE2ELNS1_3repE0EEENS1_30default_config_static_selectorELNS0_4arch9wavefront6targetE0EEEvSM_.kd
    .uniform_work_group_size: 1
    .uses_dynamic_stack: false
    .vgpr_count:     0
    .vgpr_spill_count: 0
    .wavefront_size: 32
    .workgroup_processor_mode: 1
  - .args:
      - .offset:         0
        .size:           56
        .value_kind:     by_value
    .group_segment_fixed_size: 0
    .kernarg_segment_align: 8
    .kernarg_segment_size: 56
    .language:       OpenCL C
    .language_version:
      - 2
      - 0
    .max_flat_workgroup_size: 256
    .name:           _ZN7rocprim17ROCPRIM_400000_NS6detail17trampoline_kernelINS0_14default_configENS1_22reduce_config_selectorIbEEZNS1_11reduce_implILb1ES3_N6hipcub16HIPCUB_304000_NS22TransformInputIteratorIb7NonZeroIfEPflEEPllNS8_6detail34convert_binary_result_type_wrapperINS8_3SumESD_lEEEE10hipError_tPvRmT1_T2_T3_mT4_P12ihipStream_tbEUlT_E1_NS1_11comp_targetILNS1_3genE0ELNS1_11target_archE4294967295ELNS1_3gpuE0ELNS1_3repE0EEENS1_30default_config_static_selectorELNS0_4arch9wavefront6targetE0EEEvSM_
    .private_segment_fixed_size: 0
    .sgpr_count:     0
    .sgpr_spill_count: 0
    .symbol:         _ZN7rocprim17ROCPRIM_400000_NS6detail17trampoline_kernelINS0_14default_configENS1_22reduce_config_selectorIbEEZNS1_11reduce_implILb1ES3_N6hipcub16HIPCUB_304000_NS22TransformInputIteratorIb7NonZeroIfEPflEEPllNS8_6detail34convert_binary_result_type_wrapperINS8_3SumESD_lEEEE10hipError_tPvRmT1_T2_T3_mT4_P12ihipStream_tbEUlT_E1_NS1_11comp_targetILNS1_3genE0ELNS1_11target_archE4294967295ELNS1_3gpuE0ELNS1_3repE0EEENS1_30default_config_static_selectorELNS0_4arch9wavefront6targetE0EEEvSM_.kd
    .uniform_work_group_size: 1
    .uses_dynamic_stack: false
    .vgpr_count:     0
    .vgpr_spill_count: 0
    .wavefront_size: 32
    .workgroup_processor_mode: 1
  - .args:
      - .offset:         0
        .size:           56
        .value_kind:     by_value
    .group_segment_fixed_size: 0
    .kernarg_segment_align: 8
    .kernarg_segment_size: 56
    .language:       OpenCL C
    .language_version:
      - 2
      - 0
    .max_flat_workgroup_size: 256
    .name:           _ZN7rocprim17ROCPRIM_400000_NS6detail17trampoline_kernelINS0_14default_configENS1_22reduce_config_selectorIbEEZNS1_11reduce_implILb1ES3_N6hipcub16HIPCUB_304000_NS22TransformInputIteratorIb7NonZeroIfEPflEEPllNS8_6detail34convert_binary_result_type_wrapperINS8_3SumESD_lEEEE10hipError_tPvRmT1_T2_T3_mT4_P12ihipStream_tbEUlT_E1_NS1_11comp_targetILNS1_3genE5ELNS1_11target_archE942ELNS1_3gpuE9ELNS1_3repE0EEENS1_30default_config_static_selectorELNS0_4arch9wavefront6targetE0EEEvSM_
    .private_segment_fixed_size: 0
    .sgpr_count:     0
    .sgpr_spill_count: 0
    .symbol:         _ZN7rocprim17ROCPRIM_400000_NS6detail17trampoline_kernelINS0_14default_configENS1_22reduce_config_selectorIbEEZNS1_11reduce_implILb1ES3_N6hipcub16HIPCUB_304000_NS22TransformInputIteratorIb7NonZeroIfEPflEEPllNS8_6detail34convert_binary_result_type_wrapperINS8_3SumESD_lEEEE10hipError_tPvRmT1_T2_T3_mT4_P12ihipStream_tbEUlT_E1_NS1_11comp_targetILNS1_3genE5ELNS1_11target_archE942ELNS1_3gpuE9ELNS1_3repE0EEENS1_30default_config_static_selectorELNS0_4arch9wavefront6targetE0EEEvSM_.kd
    .uniform_work_group_size: 1
    .uses_dynamic_stack: false
    .vgpr_count:     0
    .vgpr_spill_count: 0
    .wavefront_size: 32
    .workgroup_processor_mode: 1
  - .args:
      - .offset:         0
        .size:           56
        .value_kind:     by_value
    .group_segment_fixed_size: 0
    .kernarg_segment_align: 8
    .kernarg_segment_size: 56
    .language:       OpenCL C
    .language_version:
      - 2
      - 0
    .max_flat_workgroup_size: 128
    .name:           _ZN7rocprim17ROCPRIM_400000_NS6detail17trampoline_kernelINS0_14default_configENS1_22reduce_config_selectorIbEEZNS1_11reduce_implILb1ES3_N6hipcub16HIPCUB_304000_NS22TransformInputIteratorIb7NonZeroIfEPflEEPllNS8_6detail34convert_binary_result_type_wrapperINS8_3SumESD_lEEEE10hipError_tPvRmT1_T2_T3_mT4_P12ihipStream_tbEUlT_E1_NS1_11comp_targetILNS1_3genE4ELNS1_11target_archE910ELNS1_3gpuE8ELNS1_3repE0EEENS1_30default_config_static_selectorELNS0_4arch9wavefront6targetE0EEEvSM_
    .private_segment_fixed_size: 0
    .sgpr_count:     0
    .sgpr_spill_count: 0
    .symbol:         _ZN7rocprim17ROCPRIM_400000_NS6detail17trampoline_kernelINS0_14default_configENS1_22reduce_config_selectorIbEEZNS1_11reduce_implILb1ES3_N6hipcub16HIPCUB_304000_NS22TransformInputIteratorIb7NonZeroIfEPflEEPllNS8_6detail34convert_binary_result_type_wrapperINS8_3SumESD_lEEEE10hipError_tPvRmT1_T2_T3_mT4_P12ihipStream_tbEUlT_E1_NS1_11comp_targetILNS1_3genE4ELNS1_11target_archE910ELNS1_3gpuE8ELNS1_3repE0EEENS1_30default_config_static_selectorELNS0_4arch9wavefront6targetE0EEEvSM_.kd
    .uniform_work_group_size: 1
    .uses_dynamic_stack: false
    .vgpr_count:     0
    .vgpr_spill_count: 0
    .wavefront_size: 32
    .workgroup_processor_mode: 1
  - .args:
      - .offset:         0
        .size:           56
        .value_kind:     by_value
    .group_segment_fixed_size: 0
    .kernarg_segment_align: 8
    .kernarg_segment_size: 56
    .language:       OpenCL C
    .language_version:
      - 2
      - 0
    .max_flat_workgroup_size: 256
    .name:           _ZN7rocprim17ROCPRIM_400000_NS6detail17trampoline_kernelINS0_14default_configENS1_22reduce_config_selectorIbEEZNS1_11reduce_implILb1ES3_N6hipcub16HIPCUB_304000_NS22TransformInputIteratorIb7NonZeroIfEPflEEPllNS8_6detail34convert_binary_result_type_wrapperINS8_3SumESD_lEEEE10hipError_tPvRmT1_T2_T3_mT4_P12ihipStream_tbEUlT_E1_NS1_11comp_targetILNS1_3genE3ELNS1_11target_archE908ELNS1_3gpuE7ELNS1_3repE0EEENS1_30default_config_static_selectorELNS0_4arch9wavefront6targetE0EEEvSM_
    .private_segment_fixed_size: 0
    .sgpr_count:     0
    .sgpr_spill_count: 0
    .symbol:         _ZN7rocprim17ROCPRIM_400000_NS6detail17trampoline_kernelINS0_14default_configENS1_22reduce_config_selectorIbEEZNS1_11reduce_implILb1ES3_N6hipcub16HIPCUB_304000_NS22TransformInputIteratorIb7NonZeroIfEPflEEPllNS8_6detail34convert_binary_result_type_wrapperINS8_3SumESD_lEEEE10hipError_tPvRmT1_T2_T3_mT4_P12ihipStream_tbEUlT_E1_NS1_11comp_targetILNS1_3genE3ELNS1_11target_archE908ELNS1_3gpuE7ELNS1_3repE0EEENS1_30default_config_static_selectorELNS0_4arch9wavefront6targetE0EEEvSM_.kd
    .uniform_work_group_size: 1
    .uses_dynamic_stack: false
    .vgpr_count:     0
    .vgpr_spill_count: 0
    .wavefront_size: 32
    .workgroup_processor_mode: 1
  - .args:
      - .offset:         0
        .size:           56
        .value_kind:     by_value
    .group_segment_fixed_size: 0
    .kernarg_segment_align: 8
    .kernarg_segment_size: 56
    .language:       OpenCL C
    .language_version:
      - 2
      - 0
    .max_flat_workgroup_size: 128
    .name:           _ZN7rocprim17ROCPRIM_400000_NS6detail17trampoline_kernelINS0_14default_configENS1_22reduce_config_selectorIbEEZNS1_11reduce_implILb1ES3_N6hipcub16HIPCUB_304000_NS22TransformInputIteratorIb7NonZeroIfEPflEEPllNS8_6detail34convert_binary_result_type_wrapperINS8_3SumESD_lEEEE10hipError_tPvRmT1_T2_T3_mT4_P12ihipStream_tbEUlT_E1_NS1_11comp_targetILNS1_3genE2ELNS1_11target_archE906ELNS1_3gpuE6ELNS1_3repE0EEENS1_30default_config_static_selectorELNS0_4arch9wavefront6targetE0EEEvSM_
    .private_segment_fixed_size: 0
    .sgpr_count:     0
    .sgpr_spill_count: 0
    .symbol:         _ZN7rocprim17ROCPRIM_400000_NS6detail17trampoline_kernelINS0_14default_configENS1_22reduce_config_selectorIbEEZNS1_11reduce_implILb1ES3_N6hipcub16HIPCUB_304000_NS22TransformInputIteratorIb7NonZeroIfEPflEEPllNS8_6detail34convert_binary_result_type_wrapperINS8_3SumESD_lEEEE10hipError_tPvRmT1_T2_T3_mT4_P12ihipStream_tbEUlT_E1_NS1_11comp_targetILNS1_3genE2ELNS1_11target_archE906ELNS1_3gpuE6ELNS1_3repE0EEENS1_30default_config_static_selectorELNS0_4arch9wavefront6targetE0EEEvSM_.kd
    .uniform_work_group_size: 1
    .uses_dynamic_stack: false
    .vgpr_count:     0
    .vgpr_spill_count: 0
    .wavefront_size: 32
    .workgroup_processor_mode: 1
  - .args:
      - .offset:         0
        .size:           56
        .value_kind:     by_value
    .group_segment_fixed_size: 0
    .kernarg_segment_align: 8
    .kernarg_segment_size: 56
    .language:       OpenCL C
    .language_version:
      - 2
      - 0
    .max_flat_workgroup_size: 256
    .name:           _ZN7rocprim17ROCPRIM_400000_NS6detail17trampoline_kernelINS0_14default_configENS1_22reduce_config_selectorIbEEZNS1_11reduce_implILb1ES3_N6hipcub16HIPCUB_304000_NS22TransformInputIteratorIb7NonZeroIfEPflEEPllNS8_6detail34convert_binary_result_type_wrapperINS8_3SumESD_lEEEE10hipError_tPvRmT1_T2_T3_mT4_P12ihipStream_tbEUlT_E1_NS1_11comp_targetILNS1_3genE10ELNS1_11target_archE1201ELNS1_3gpuE5ELNS1_3repE0EEENS1_30default_config_static_selectorELNS0_4arch9wavefront6targetE0EEEvSM_
    .private_segment_fixed_size: 0
    .sgpr_count:     0
    .sgpr_spill_count: 0
    .symbol:         _ZN7rocprim17ROCPRIM_400000_NS6detail17trampoline_kernelINS0_14default_configENS1_22reduce_config_selectorIbEEZNS1_11reduce_implILb1ES3_N6hipcub16HIPCUB_304000_NS22TransformInputIteratorIb7NonZeroIfEPflEEPllNS8_6detail34convert_binary_result_type_wrapperINS8_3SumESD_lEEEE10hipError_tPvRmT1_T2_T3_mT4_P12ihipStream_tbEUlT_E1_NS1_11comp_targetILNS1_3genE10ELNS1_11target_archE1201ELNS1_3gpuE5ELNS1_3repE0EEENS1_30default_config_static_selectorELNS0_4arch9wavefront6targetE0EEEvSM_.kd
    .uniform_work_group_size: 1
    .uses_dynamic_stack: false
    .vgpr_count:     0
    .vgpr_spill_count: 0
    .wavefront_size: 32
    .workgroup_processor_mode: 1
  - .args:
      - .offset:         0
        .size:           56
        .value_kind:     by_value
    .group_segment_fixed_size: 0
    .kernarg_segment_align: 8
    .kernarg_segment_size: 56
    .language:       OpenCL C
    .language_version:
      - 2
      - 0
    .max_flat_workgroup_size: 256
    .name:           _ZN7rocprim17ROCPRIM_400000_NS6detail17trampoline_kernelINS0_14default_configENS1_22reduce_config_selectorIbEEZNS1_11reduce_implILb1ES3_N6hipcub16HIPCUB_304000_NS22TransformInputIteratorIb7NonZeroIfEPflEEPllNS8_6detail34convert_binary_result_type_wrapperINS8_3SumESD_lEEEE10hipError_tPvRmT1_T2_T3_mT4_P12ihipStream_tbEUlT_E1_NS1_11comp_targetILNS1_3genE10ELNS1_11target_archE1200ELNS1_3gpuE4ELNS1_3repE0EEENS1_30default_config_static_selectorELNS0_4arch9wavefront6targetE0EEEvSM_
    .private_segment_fixed_size: 0
    .sgpr_count:     0
    .sgpr_spill_count: 0
    .symbol:         _ZN7rocprim17ROCPRIM_400000_NS6detail17trampoline_kernelINS0_14default_configENS1_22reduce_config_selectorIbEEZNS1_11reduce_implILb1ES3_N6hipcub16HIPCUB_304000_NS22TransformInputIteratorIb7NonZeroIfEPflEEPllNS8_6detail34convert_binary_result_type_wrapperINS8_3SumESD_lEEEE10hipError_tPvRmT1_T2_T3_mT4_P12ihipStream_tbEUlT_E1_NS1_11comp_targetILNS1_3genE10ELNS1_11target_archE1200ELNS1_3gpuE4ELNS1_3repE0EEENS1_30default_config_static_selectorELNS0_4arch9wavefront6targetE0EEEvSM_.kd
    .uniform_work_group_size: 1
    .uses_dynamic_stack: false
    .vgpr_count:     0
    .vgpr_spill_count: 0
    .wavefront_size: 32
    .workgroup_processor_mode: 1
  - .args:
      - .offset:         0
        .size:           56
        .value_kind:     by_value
    .group_segment_fixed_size: 288
    .kernarg_segment_align: 8
    .kernarg_segment_size: 56
    .language:       OpenCL C
    .language_version:
      - 2
      - 0
    .max_flat_workgroup_size: 128
    .name:           _ZN7rocprim17ROCPRIM_400000_NS6detail17trampoline_kernelINS0_14default_configENS1_22reduce_config_selectorIbEEZNS1_11reduce_implILb1ES3_N6hipcub16HIPCUB_304000_NS22TransformInputIteratorIb7NonZeroIfEPflEEPllNS8_6detail34convert_binary_result_type_wrapperINS8_3SumESD_lEEEE10hipError_tPvRmT1_T2_T3_mT4_P12ihipStream_tbEUlT_E1_NS1_11comp_targetILNS1_3genE9ELNS1_11target_archE1100ELNS1_3gpuE3ELNS1_3repE0EEENS1_30default_config_static_selectorELNS0_4arch9wavefront6targetE0EEEvSM_
    .private_segment_fixed_size: 20
    .sgpr_count:     31
    .sgpr_spill_count: 0
    .symbol:         _ZN7rocprim17ROCPRIM_400000_NS6detail17trampoline_kernelINS0_14default_configENS1_22reduce_config_selectorIbEEZNS1_11reduce_implILb1ES3_N6hipcub16HIPCUB_304000_NS22TransformInputIteratorIb7NonZeroIfEPflEEPllNS8_6detail34convert_binary_result_type_wrapperINS8_3SumESD_lEEEE10hipError_tPvRmT1_T2_T3_mT4_P12ihipStream_tbEUlT_E1_NS1_11comp_targetILNS1_3genE9ELNS1_11target_archE1100ELNS1_3gpuE3ELNS1_3repE0EEENS1_30default_config_static_selectorELNS0_4arch9wavefront6targetE0EEEvSM_.kd
    .uniform_work_group_size: 1
    .uses_dynamic_stack: false
    .vgpr_count:     256
    .vgpr_spill_count: 6
    .wavefront_size: 32
    .workgroup_processor_mode: 1
  - .args:
      - .offset:         0
        .size:           56
        .value_kind:     by_value
    .group_segment_fixed_size: 0
    .kernarg_segment_align: 8
    .kernarg_segment_size: 56
    .language:       OpenCL C
    .language_version:
      - 2
      - 0
    .max_flat_workgroup_size: 256
    .name:           _ZN7rocprim17ROCPRIM_400000_NS6detail17trampoline_kernelINS0_14default_configENS1_22reduce_config_selectorIbEEZNS1_11reduce_implILb1ES3_N6hipcub16HIPCUB_304000_NS22TransformInputIteratorIb7NonZeroIfEPflEEPllNS8_6detail34convert_binary_result_type_wrapperINS8_3SumESD_lEEEE10hipError_tPvRmT1_T2_T3_mT4_P12ihipStream_tbEUlT_E1_NS1_11comp_targetILNS1_3genE8ELNS1_11target_archE1030ELNS1_3gpuE2ELNS1_3repE0EEENS1_30default_config_static_selectorELNS0_4arch9wavefront6targetE0EEEvSM_
    .private_segment_fixed_size: 0
    .sgpr_count:     0
    .sgpr_spill_count: 0
    .symbol:         _ZN7rocprim17ROCPRIM_400000_NS6detail17trampoline_kernelINS0_14default_configENS1_22reduce_config_selectorIbEEZNS1_11reduce_implILb1ES3_N6hipcub16HIPCUB_304000_NS22TransformInputIteratorIb7NonZeroIfEPflEEPllNS8_6detail34convert_binary_result_type_wrapperINS8_3SumESD_lEEEE10hipError_tPvRmT1_T2_T3_mT4_P12ihipStream_tbEUlT_E1_NS1_11comp_targetILNS1_3genE8ELNS1_11target_archE1030ELNS1_3gpuE2ELNS1_3repE0EEENS1_30default_config_static_selectorELNS0_4arch9wavefront6targetE0EEEvSM_.kd
    .uniform_work_group_size: 1
    .uses_dynamic_stack: false
    .vgpr_count:     0
    .vgpr_spill_count: 0
    .wavefront_size: 32
    .workgroup_processor_mode: 1
  - .args:
      - .offset:         0
        .size:           120
        .value_kind:     by_value
    .group_segment_fixed_size: 0
    .kernarg_segment_align: 8
    .kernarg_segment_size: 120
    .language:       OpenCL C
    .language_version:
      - 2
      - 0
    .max_flat_workgroup_size: 128
    .name:           _ZN7rocprim17ROCPRIM_400000_NS6detail17trampoline_kernelINS0_14default_configENS1_25partition_config_selectorILNS1_17partition_subalgoE5ElNS0_10empty_typeEbEEZZNS1_14partition_implILS5_5ELb0ES3_mN6hipcub16HIPCUB_304000_NS21CountingInputIteratorIllEEPS6_NSA_22TransformInputIteratorIb7NonZeroIfEPflEENS0_5tupleIJPlS6_EEENSJ_IJSD_SD_EEES6_SK_JS6_EEE10hipError_tPvRmT3_T4_T5_T6_T7_T9_mT8_P12ihipStream_tbDpT10_ENKUlT_T0_E_clISt17integral_constantIbLb0EES16_EEDaS11_S12_EUlS11_E_NS1_11comp_targetILNS1_3genE0ELNS1_11target_archE4294967295ELNS1_3gpuE0ELNS1_3repE0EEENS1_30default_config_static_selectorELNS0_4arch9wavefront6targetE0EEEvT1_
    .private_segment_fixed_size: 0
    .sgpr_count:     0
    .sgpr_spill_count: 0
    .symbol:         _ZN7rocprim17ROCPRIM_400000_NS6detail17trampoline_kernelINS0_14default_configENS1_25partition_config_selectorILNS1_17partition_subalgoE5ElNS0_10empty_typeEbEEZZNS1_14partition_implILS5_5ELb0ES3_mN6hipcub16HIPCUB_304000_NS21CountingInputIteratorIllEEPS6_NSA_22TransformInputIteratorIb7NonZeroIfEPflEENS0_5tupleIJPlS6_EEENSJ_IJSD_SD_EEES6_SK_JS6_EEE10hipError_tPvRmT3_T4_T5_T6_T7_T9_mT8_P12ihipStream_tbDpT10_ENKUlT_T0_E_clISt17integral_constantIbLb0EES16_EEDaS11_S12_EUlS11_E_NS1_11comp_targetILNS1_3genE0ELNS1_11target_archE4294967295ELNS1_3gpuE0ELNS1_3repE0EEENS1_30default_config_static_selectorELNS0_4arch9wavefront6targetE0EEEvT1_.kd
    .uniform_work_group_size: 1
    .uses_dynamic_stack: false
    .vgpr_count:     0
    .vgpr_spill_count: 0
    .wavefront_size: 32
    .workgroup_processor_mode: 1
  - .args:
      - .offset:         0
        .size:           120
        .value_kind:     by_value
    .group_segment_fixed_size: 0
    .kernarg_segment_align: 8
    .kernarg_segment_size: 120
    .language:       OpenCL C
    .language_version:
      - 2
      - 0
    .max_flat_workgroup_size: 512
    .name:           _ZN7rocprim17ROCPRIM_400000_NS6detail17trampoline_kernelINS0_14default_configENS1_25partition_config_selectorILNS1_17partition_subalgoE5ElNS0_10empty_typeEbEEZZNS1_14partition_implILS5_5ELb0ES3_mN6hipcub16HIPCUB_304000_NS21CountingInputIteratorIllEEPS6_NSA_22TransformInputIteratorIb7NonZeroIfEPflEENS0_5tupleIJPlS6_EEENSJ_IJSD_SD_EEES6_SK_JS6_EEE10hipError_tPvRmT3_T4_T5_T6_T7_T9_mT8_P12ihipStream_tbDpT10_ENKUlT_T0_E_clISt17integral_constantIbLb0EES16_EEDaS11_S12_EUlS11_E_NS1_11comp_targetILNS1_3genE5ELNS1_11target_archE942ELNS1_3gpuE9ELNS1_3repE0EEENS1_30default_config_static_selectorELNS0_4arch9wavefront6targetE0EEEvT1_
    .private_segment_fixed_size: 0
    .sgpr_count:     0
    .sgpr_spill_count: 0
    .symbol:         _ZN7rocprim17ROCPRIM_400000_NS6detail17trampoline_kernelINS0_14default_configENS1_25partition_config_selectorILNS1_17partition_subalgoE5ElNS0_10empty_typeEbEEZZNS1_14partition_implILS5_5ELb0ES3_mN6hipcub16HIPCUB_304000_NS21CountingInputIteratorIllEEPS6_NSA_22TransformInputIteratorIb7NonZeroIfEPflEENS0_5tupleIJPlS6_EEENSJ_IJSD_SD_EEES6_SK_JS6_EEE10hipError_tPvRmT3_T4_T5_T6_T7_T9_mT8_P12ihipStream_tbDpT10_ENKUlT_T0_E_clISt17integral_constantIbLb0EES16_EEDaS11_S12_EUlS11_E_NS1_11comp_targetILNS1_3genE5ELNS1_11target_archE942ELNS1_3gpuE9ELNS1_3repE0EEENS1_30default_config_static_selectorELNS0_4arch9wavefront6targetE0EEEvT1_.kd
    .uniform_work_group_size: 1
    .uses_dynamic_stack: false
    .vgpr_count:     0
    .vgpr_spill_count: 0
    .wavefront_size: 32
    .workgroup_processor_mode: 1
  - .args:
      - .offset:         0
        .size:           120
        .value_kind:     by_value
    .group_segment_fixed_size: 0
    .kernarg_segment_align: 8
    .kernarg_segment_size: 120
    .language:       OpenCL C
    .language_version:
      - 2
      - 0
    .max_flat_workgroup_size: 192
    .name:           _ZN7rocprim17ROCPRIM_400000_NS6detail17trampoline_kernelINS0_14default_configENS1_25partition_config_selectorILNS1_17partition_subalgoE5ElNS0_10empty_typeEbEEZZNS1_14partition_implILS5_5ELb0ES3_mN6hipcub16HIPCUB_304000_NS21CountingInputIteratorIllEEPS6_NSA_22TransformInputIteratorIb7NonZeroIfEPflEENS0_5tupleIJPlS6_EEENSJ_IJSD_SD_EEES6_SK_JS6_EEE10hipError_tPvRmT3_T4_T5_T6_T7_T9_mT8_P12ihipStream_tbDpT10_ENKUlT_T0_E_clISt17integral_constantIbLb0EES16_EEDaS11_S12_EUlS11_E_NS1_11comp_targetILNS1_3genE4ELNS1_11target_archE910ELNS1_3gpuE8ELNS1_3repE0EEENS1_30default_config_static_selectorELNS0_4arch9wavefront6targetE0EEEvT1_
    .private_segment_fixed_size: 0
    .sgpr_count:     0
    .sgpr_spill_count: 0
    .symbol:         _ZN7rocprim17ROCPRIM_400000_NS6detail17trampoline_kernelINS0_14default_configENS1_25partition_config_selectorILNS1_17partition_subalgoE5ElNS0_10empty_typeEbEEZZNS1_14partition_implILS5_5ELb0ES3_mN6hipcub16HIPCUB_304000_NS21CountingInputIteratorIllEEPS6_NSA_22TransformInputIteratorIb7NonZeroIfEPflEENS0_5tupleIJPlS6_EEENSJ_IJSD_SD_EEES6_SK_JS6_EEE10hipError_tPvRmT3_T4_T5_T6_T7_T9_mT8_P12ihipStream_tbDpT10_ENKUlT_T0_E_clISt17integral_constantIbLb0EES16_EEDaS11_S12_EUlS11_E_NS1_11comp_targetILNS1_3genE4ELNS1_11target_archE910ELNS1_3gpuE8ELNS1_3repE0EEENS1_30default_config_static_selectorELNS0_4arch9wavefront6targetE0EEEvT1_.kd
    .uniform_work_group_size: 1
    .uses_dynamic_stack: false
    .vgpr_count:     0
    .vgpr_spill_count: 0
    .wavefront_size: 32
    .workgroup_processor_mode: 1
  - .args:
      - .offset:         0
        .size:           120
        .value_kind:     by_value
    .group_segment_fixed_size: 0
    .kernarg_segment_align: 8
    .kernarg_segment_size: 120
    .language:       OpenCL C
    .language_version:
      - 2
      - 0
    .max_flat_workgroup_size: 128
    .name:           _ZN7rocprim17ROCPRIM_400000_NS6detail17trampoline_kernelINS0_14default_configENS1_25partition_config_selectorILNS1_17partition_subalgoE5ElNS0_10empty_typeEbEEZZNS1_14partition_implILS5_5ELb0ES3_mN6hipcub16HIPCUB_304000_NS21CountingInputIteratorIllEEPS6_NSA_22TransformInputIteratorIb7NonZeroIfEPflEENS0_5tupleIJPlS6_EEENSJ_IJSD_SD_EEES6_SK_JS6_EEE10hipError_tPvRmT3_T4_T5_T6_T7_T9_mT8_P12ihipStream_tbDpT10_ENKUlT_T0_E_clISt17integral_constantIbLb0EES16_EEDaS11_S12_EUlS11_E_NS1_11comp_targetILNS1_3genE3ELNS1_11target_archE908ELNS1_3gpuE7ELNS1_3repE0EEENS1_30default_config_static_selectorELNS0_4arch9wavefront6targetE0EEEvT1_
    .private_segment_fixed_size: 0
    .sgpr_count:     0
    .sgpr_spill_count: 0
    .symbol:         _ZN7rocprim17ROCPRIM_400000_NS6detail17trampoline_kernelINS0_14default_configENS1_25partition_config_selectorILNS1_17partition_subalgoE5ElNS0_10empty_typeEbEEZZNS1_14partition_implILS5_5ELb0ES3_mN6hipcub16HIPCUB_304000_NS21CountingInputIteratorIllEEPS6_NSA_22TransformInputIteratorIb7NonZeroIfEPflEENS0_5tupleIJPlS6_EEENSJ_IJSD_SD_EEES6_SK_JS6_EEE10hipError_tPvRmT3_T4_T5_T6_T7_T9_mT8_P12ihipStream_tbDpT10_ENKUlT_T0_E_clISt17integral_constantIbLb0EES16_EEDaS11_S12_EUlS11_E_NS1_11comp_targetILNS1_3genE3ELNS1_11target_archE908ELNS1_3gpuE7ELNS1_3repE0EEENS1_30default_config_static_selectorELNS0_4arch9wavefront6targetE0EEEvT1_.kd
    .uniform_work_group_size: 1
    .uses_dynamic_stack: false
    .vgpr_count:     0
    .vgpr_spill_count: 0
    .wavefront_size: 32
    .workgroup_processor_mode: 1
  - .args:
      - .offset:         0
        .size:           120
        .value_kind:     by_value
    .group_segment_fixed_size: 0
    .kernarg_segment_align: 8
    .kernarg_segment_size: 120
    .language:       OpenCL C
    .language_version:
      - 2
      - 0
    .max_flat_workgroup_size: 256
    .name:           _ZN7rocprim17ROCPRIM_400000_NS6detail17trampoline_kernelINS0_14default_configENS1_25partition_config_selectorILNS1_17partition_subalgoE5ElNS0_10empty_typeEbEEZZNS1_14partition_implILS5_5ELb0ES3_mN6hipcub16HIPCUB_304000_NS21CountingInputIteratorIllEEPS6_NSA_22TransformInputIteratorIb7NonZeroIfEPflEENS0_5tupleIJPlS6_EEENSJ_IJSD_SD_EEES6_SK_JS6_EEE10hipError_tPvRmT3_T4_T5_T6_T7_T9_mT8_P12ihipStream_tbDpT10_ENKUlT_T0_E_clISt17integral_constantIbLb0EES16_EEDaS11_S12_EUlS11_E_NS1_11comp_targetILNS1_3genE2ELNS1_11target_archE906ELNS1_3gpuE6ELNS1_3repE0EEENS1_30default_config_static_selectorELNS0_4arch9wavefront6targetE0EEEvT1_
    .private_segment_fixed_size: 0
    .sgpr_count:     0
    .sgpr_spill_count: 0
    .symbol:         _ZN7rocprim17ROCPRIM_400000_NS6detail17trampoline_kernelINS0_14default_configENS1_25partition_config_selectorILNS1_17partition_subalgoE5ElNS0_10empty_typeEbEEZZNS1_14partition_implILS5_5ELb0ES3_mN6hipcub16HIPCUB_304000_NS21CountingInputIteratorIllEEPS6_NSA_22TransformInputIteratorIb7NonZeroIfEPflEENS0_5tupleIJPlS6_EEENSJ_IJSD_SD_EEES6_SK_JS6_EEE10hipError_tPvRmT3_T4_T5_T6_T7_T9_mT8_P12ihipStream_tbDpT10_ENKUlT_T0_E_clISt17integral_constantIbLb0EES16_EEDaS11_S12_EUlS11_E_NS1_11comp_targetILNS1_3genE2ELNS1_11target_archE906ELNS1_3gpuE6ELNS1_3repE0EEENS1_30default_config_static_selectorELNS0_4arch9wavefront6targetE0EEEvT1_.kd
    .uniform_work_group_size: 1
    .uses_dynamic_stack: false
    .vgpr_count:     0
    .vgpr_spill_count: 0
    .wavefront_size: 32
    .workgroup_processor_mode: 1
  - .args:
      - .offset:         0
        .size:           120
        .value_kind:     by_value
    .group_segment_fixed_size: 0
    .kernarg_segment_align: 8
    .kernarg_segment_size: 120
    .language:       OpenCL C
    .language_version:
      - 2
      - 0
    .max_flat_workgroup_size: 256
    .name:           _ZN7rocprim17ROCPRIM_400000_NS6detail17trampoline_kernelINS0_14default_configENS1_25partition_config_selectorILNS1_17partition_subalgoE5ElNS0_10empty_typeEbEEZZNS1_14partition_implILS5_5ELb0ES3_mN6hipcub16HIPCUB_304000_NS21CountingInputIteratorIllEEPS6_NSA_22TransformInputIteratorIb7NonZeroIfEPflEENS0_5tupleIJPlS6_EEENSJ_IJSD_SD_EEES6_SK_JS6_EEE10hipError_tPvRmT3_T4_T5_T6_T7_T9_mT8_P12ihipStream_tbDpT10_ENKUlT_T0_E_clISt17integral_constantIbLb0EES16_EEDaS11_S12_EUlS11_E_NS1_11comp_targetILNS1_3genE10ELNS1_11target_archE1200ELNS1_3gpuE4ELNS1_3repE0EEENS1_30default_config_static_selectorELNS0_4arch9wavefront6targetE0EEEvT1_
    .private_segment_fixed_size: 0
    .sgpr_count:     0
    .sgpr_spill_count: 0
    .symbol:         _ZN7rocprim17ROCPRIM_400000_NS6detail17trampoline_kernelINS0_14default_configENS1_25partition_config_selectorILNS1_17partition_subalgoE5ElNS0_10empty_typeEbEEZZNS1_14partition_implILS5_5ELb0ES3_mN6hipcub16HIPCUB_304000_NS21CountingInputIteratorIllEEPS6_NSA_22TransformInputIteratorIb7NonZeroIfEPflEENS0_5tupleIJPlS6_EEENSJ_IJSD_SD_EEES6_SK_JS6_EEE10hipError_tPvRmT3_T4_T5_T6_T7_T9_mT8_P12ihipStream_tbDpT10_ENKUlT_T0_E_clISt17integral_constantIbLb0EES16_EEDaS11_S12_EUlS11_E_NS1_11comp_targetILNS1_3genE10ELNS1_11target_archE1200ELNS1_3gpuE4ELNS1_3repE0EEENS1_30default_config_static_selectorELNS0_4arch9wavefront6targetE0EEEvT1_.kd
    .uniform_work_group_size: 1
    .uses_dynamic_stack: false
    .vgpr_count:     0
    .vgpr_spill_count: 0
    .wavefront_size: 32
    .workgroup_processor_mode: 1
  - .args:
      - .offset:         0
        .size:           120
        .value_kind:     by_value
    .group_segment_fixed_size: 6160
    .kernarg_segment_align: 8
    .kernarg_segment_size: 120
    .language:       OpenCL C
    .language_version:
      - 2
      - 0
    .max_flat_workgroup_size: 128
    .name:           _ZN7rocprim17ROCPRIM_400000_NS6detail17trampoline_kernelINS0_14default_configENS1_25partition_config_selectorILNS1_17partition_subalgoE5ElNS0_10empty_typeEbEEZZNS1_14partition_implILS5_5ELb0ES3_mN6hipcub16HIPCUB_304000_NS21CountingInputIteratorIllEEPS6_NSA_22TransformInputIteratorIb7NonZeroIfEPflEENS0_5tupleIJPlS6_EEENSJ_IJSD_SD_EEES6_SK_JS6_EEE10hipError_tPvRmT3_T4_T5_T6_T7_T9_mT8_P12ihipStream_tbDpT10_ENKUlT_T0_E_clISt17integral_constantIbLb0EES16_EEDaS11_S12_EUlS11_E_NS1_11comp_targetILNS1_3genE9ELNS1_11target_archE1100ELNS1_3gpuE3ELNS1_3repE0EEENS1_30default_config_static_selectorELNS0_4arch9wavefront6targetE0EEEvT1_
    .private_segment_fixed_size: 0
    .sgpr_count:     23
    .sgpr_spill_count: 0
    .symbol:         _ZN7rocprim17ROCPRIM_400000_NS6detail17trampoline_kernelINS0_14default_configENS1_25partition_config_selectorILNS1_17partition_subalgoE5ElNS0_10empty_typeEbEEZZNS1_14partition_implILS5_5ELb0ES3_mN6hipcub16HIPCUB_304000_NS21CountingInputIteratorIllEEPS6_NSA_22TransformInputIteratorIb7NonZeroIfEPflEENS0_5tupleIJPlS6_EEENSJ_IJSD_SD_EEES6_SK_JS6_EEE10hipError_tPvRmT3_T4_T5_T6_T7_T9_mT8_P12ihipStream_tbDpT10_ENKUlT_T0_E_clISt17integral_constantIbLb0EES16_EEDaS11_S12_EUlS11_E_NS1_11comp_targetILNS1_3genE9ELNS1_11target_archE1100ELNS1_3gpuE3ELNS1_3repE0EEENS1_30default_config_static_selectorELNS0_4arch9wavefront6targetE0EEEvT1_.kd
    .uniform_work_group_size: 1
    .uses_dynamic_stack: false
    .vgpr_count:     57
    .vgpr_spill_count: 0
    .wavefront_size: 32
    .workgroup_processor_mode: 1
  - .args:
      - .offset:         0
        .size:           120
        .value_kind:     by_value
    .group_segment_fixed_size: 0
    .kernarg_segment_align: 8
    .kernarg_segment_size: 120
    .language:       OpenCL C
    .language_version:
      - 2
      - 0
    .max_flat_workgroup_size: 512
    .name:           _ZN7rocprim17ROCPRIM_400000_NS6detail17trampoline_kernelINS0_14default_configENS1_25partition_config_selectorILNS1_17partition_subalgoE5ElNS0_10empty_typeEbEEZZNS1_14partition_implILS5_5ELb0ES3_mN6hipcub16HIPCUB_304000_NS21CountingInputIteratorIllEEPS6_NSA_22TransformInputIteratorIb7NonZeroIfEPflEENS0_5tupleIJPlS6_EEENSJ_IJSD_SD_EEES6_SK_JS6_EEE10hipError_tPvRmT3_T4_T5_T6_T7_T9_mT8_P12ihipStream_tbDpT10_ENKUlT_T0_E_clISt17integral_constantIbLb0EES16_EEDaS11_S12_EUlS11_E_NS1_11comp_targetILNS1_3genE8ELNS1_11target_archE1030ELNS1_3gpuE2ELNS1_3repE0EEENS1_30default_config_static_selectorELNS0_4arch9wavefront6targetE0EEEvT1_
    .private_segment_fixed_size: 0
    .sgpr_count:     0
    .sgpr_spill_count: 0
    .symbol:         _ZN7rocprim17ROCPRIM_400000_NS6detail17trampoline_kernelINS0_14default_configENS1_25partition_config_selectorILNS1_17partition_subalgoE5ElNS0_10empty_typeEbEEZZNS1_14partition_implILS5_5ELb0ES3_mN6hipcub16HIPCUB_304000_NS21CountingInputIteratorIllEEPS6_NSA_22TransformInputIteratorIb7NonZeroIfEPflEENS0_5tupleIJPlS6_EEENSJ_IJSD_SD_EEES6_SK_JS6_EEE10hipError_tPvRmT3_T4_T5_T6_T7_T9_mT8_P12ihipStream_tbDpT10_ENKUlT_T0_E_clISt17integral_constantIbLb0EES16_EEDaS11_S12_EUlS11_E_NS1_11comp_targetILNS1_3genE8ELNS1_11target_archE1030ELNS1_3gpuE2ELNS1_3repE0EEENS1_30default_config_static_selectorELNS0_4arch9wavefront6targetE0EEEvT1_.kd
    .uniform_work_group_size: 1
    .uses_dynamic_stack: false
    .vgpr_count:     0
    .vgpr_spill_count: 0
    .wavefront_size: 32
    .workgroup_processor_mode: 1
  - .args:
      - .offset:         0
        .size:           136
        .value_kind:     by_value
    .group_segment_fixed_size: 0
    .kernarg_segment_align: 8
    .kernarg_segment_size: 136
    .language:       OpenCL C
    .language_version:
      - 2
      - 0
    .max_flat_workgroup_size: 128
    .name:           _ZN7rocprim17ROCPRIM_400000_NS6detail17trampoline_kernelINS0_14default_configENS1_25partition_config_selectorILNS1_17partition_subalgoE5ElNS0_10empty_typeEbEEZZNS1_14partition_implILS5_5ELb0ES3_mN6hipcub16HIPCUB_304000_NS21CountingInputIteratorIllEEPS6_NSA_22TransformInputIteratorIb7NonZeroIfEPflEENS0_5tupleIJPlS6_EEENSJ_IJSD_SD_EEES6_SK_JS6_EEE10hipError_tPvRmT3_T4_T5_T6_T7_T9_mT8_P12ihipStream_tbDpT10_ENKUlT_T0_E_clISt17integral_constantIbLb1EES16_EEDaS11_S12_EUlS11_E_NS1_11comp_targetILNS1_3genE0ELNS1_11target_archE4294967295ELNS1_3gpuE0ELNS1_3repE0EEENS1_30default_config_static_selectorELNS0_4arch9wavefront6targetE0EEEvT1_
    .private_segment_fixed_size: 0
    .sgpr_count:     0
    .sgpr_spill_count: 0
    .symbol:         _ZN7rocprim17ROCPRIM_400000_NS6detail17trampoline_kernelINS0_14default_configENS1_25partition_config_selectorILNS1_17partition_subalgoE5ElNS0_10empty_typeEbEEZZNS1_14partition_implILS5_5ELb0ES3_mN6hipcub16HIPCUB_304000_NS21CountingInputIteratorIllEEPS6_NSA_22TransformInputIteratorIb7NonZeroIfEPflEENS0_5tupleIJPlS6_EEENSJ_IJSD_SD_EEES6_SK_JS6_EEE10hipError_tPvRmT3_T4_T5_T6_T7_T9_mT8_P12ihipStream_tbDpT10_ENKUlT_T0_E_clISt17integral_constantIbLb1EES16_EEDaS11_S12_EUlS11_E_NS1_11comp_targetILNS1_3genE0ELNS1_11target_archE4294967295ELNS1_3gpuE0ELNS1_3repE0EEENS1_30default_config_static_selectorELNS0_4arch9wavefront6targetE0EEEvT1_.kd
    .uniform_work_group_size: 1
    .uses_dynamic_stack: false
    .vgpr_count:     0
    .vgpr_spill_count: 0
    .wavefront_size: 32
    .workgroup_processor_mode: 1
  - .args:
      - .offset:         0
        .size:           136
        .value_kind:     by_value
    .group_segment_fixed_size: 0
    .kernarg_segment_align: 8
    .kernarg_segment_size: 136
    .language:       OpenCL C
    .language_version:
      - 2
      - 0
    .max_flat_workgroup_size: 512
    .name:           _ZN7rocprim17ROCPRIM_400000_NS6detail17trampoline_kernelINS0_14default_configENS1_25partition_config_selectorILNS1_17partition_subalgoE5ElNS0_10empty_typeEbEEZZNS1_14partition_implILS5_5ELb0ES3_mN6hipcub16HIPCUB_304000_NS21CountingInputIteratorIllEEPS6_NSA_22TransformInputIteratorIb7NonZeroIfEPflEENS0_5tupleIJPlS6_EEENSJ_IJSD_SD_EEES6_SK_JS6_EEE10hipError_tPvRmT3_T4_T5_T6_T7_T9_mT8_P12ihipStream_tbDpT10_ENKUlT_T0_E_clISt17integral_constantIbLb1EES16_EEDaS11_S12_EUlS11_E_NS1_11comp_targetILNS1_3genE5ELNS1_11target_archE942ELNS1_3gpuE9ELNS1_3repE0EEENS1_30default_config_static_selectorELNS0_4arch9wavefront6targetE0EEEvT1_
    .private_segment_fixed_size: 0
    .sgpr_count:     0
    .sgpr_spill_count: 0
    .symbol:         _ZN7rocprim17ROCPRIM_400000_NS6detail17trampoline_kernelINS0_14default_configENS1_25partition_config_selectorILNS1_17partition_subalgoE5ElNS0_10empty_typeEbEEZZNS1_14partition_implILS5_5ELb0ES3_mN6hipcub16HIPCUB_304000_NS21CountingInputIteratorIllEEPS6_NSA_22TransformInputIteratorIb7NonZeroIfEPflEENS0_5tupleIJPlS6_EEENSJ_IJSD_SD_EEES6_SK_JS6_EEE10hipError_tPvRmT3_T4_T5_T6_T7_T9_mT8_P12ihipStream_tbDpT10_ENKUlT_T0_E_clISt17integral_constantIbLb1EES16_EEDaS11_S12_EUlS11_E_NS1_11comp_targetILNS1_3genE5ELNS1_11target_archE942ELNS1_3gpuE9ELNS1_3repE0EEENS1_30default_config_static_selectorELNS0_4arch9wavefront6targetE0EEEvT1_.kd
    .uniform_work_group_size: 1
    .uses_dynamic_stack: false
    .vgpr_count:     0
    .vgpr_spill_count: 0
    .wavefront_size: 32
    .workgroup_processor_mode: 1
  - .args:
      - .offset:         0
        .size:           136
        .value_kind:     by_value
    .group_segment_fixed_size: 0
    .kernarg_segment_align: 8
    .kernarg_segment_size: 136
    .language:       OpenCL C
    .language_version:
      - 2
      - 0
    .max_flat_workgroup_size: 192
    .name:           _ZN7rocprim17ROCPRIM_400000_NS6detail17trampoline_kernelINS0_14default_configENS1_25partition_config_selectorILNS1_17partition_subalgoE5ElNS0_10empty_typeEbEEZZNS1_14partition_implILS5_5ELb0ES3_mN6hipcub16HIPCUB_304000_NS21CountingInputIteratorIllEEPS6_NSA_22TransformInputIteratorIb7NonZeroIfEPflEENS0_5tupleIJPlS6_EEENSJ_IJSD_SD_EEES6_SK_JS6_EEE10hipError_tPvRmT3_T4_T5_T6_T7_T9_mT8_P12ihipStream_tbDpT10_ENKUlT_T0_E_clISt17integral_constantIbLb1EES16_EEDaS11_S12_EUlS11_E_NS1_11comp_targetILNS1_3genE4ELNS1_11target_archE910ELNS1_3gpuE8ELNS1_3repE0EEENS1_30default_config_static_selectorELNS0_4arch9wavefront6targetE0EEEvT1_
    .private_segment_fixed_size: 0
    .sgpr_count:     0
    .sgpr_spill_count: 0
    .symbol:         _ZN7rocprim17ROCPRIM_400000_NS6detail17trampoline_kernelINS0_14default_configENS1_25partition_config_selectorILNS1_17partition_subalgoE5ElNS0_10empty_typeEbEEZZNS1_14partition_implILS5_5ELb0ES3_mN6hipcub16HIPCUB_304000_NS21CountingInputIteratorIllEEPS6_NSA_22TransformInputIteratorIb7NonZeroIfEPflEENS0_5tupleIJPlS6_EEENSJ_IJSD_SD_EEES6_SK_JS6_EEE10hipError_tPvRmT3_T4_T5_T6_T7_T9_mT8_P12ihipStream_tbDpT10_ENKUlT_T0_E_clISt17integral_constantIbLb1EES16_EEDaS11_S12_EUlS11_E_NS1_11comp_targetILNS1_3genE4ELNS1_11target_archE910ELNS1_3gpuE8ELNS1_3repE0EEENS1_30default_config_static_selectorELNS0_4arch9wavefront6targetE0EEEvT1_.kd
    .uniform_work_group_size: 1
    .uses_dynamic_stack: false
    .vgpr_count:     0
    .vgpr_spill_count: 0
    .wavefront_size: 32
    .workgroup_processor_mode: 1
  - .args:
      - .offset:         0
        .size:           136
        .value_kind:     by_value
    .group_segment_fixed_size: 0
    .kernarg_segment_align: 8
    .kernarg_segment_size: 136
    .language:       OpenCL C
    .language_version:
      - 2
      - 0
    .max_flat_workgroup_size: 128
    .name:           _ZN7rocprim17ROCPRIM_400000_NS6detail17trampoline_kernelINS0_14default_configENS1_25partition_config_selectorILNS1_17partition_subalgoE5ElNS0_10empty_typeEbEEZZNS1_14partition_implILS5_5ELb0ES3_mN6hipcub16HIPCUB_304000_NS21CountingInputIteratorIllEEPS6_NSA_22TransformInputIteratorIb7NonZeroIfEPflEENS0_5tupleIJPlS6_EEENSJ_IJSD_SD_EEES6_SK_JS6_EEE10hipError_tPvRmT3_T4_T5_T6_T7_T9_mT8_P12ihipStream_tbDpT10_ENKUlT_T0_E_clISt17integral_constantIbLb1EES16_EEDaS11_S12_EUlS11_E_NS1_11comp_targetILNS1_3genE3ELNS1_11target_archE908ELNS1_3gpuE7ELNS1_3repE0EEENS1_30default_config_static_selectorELNS0_4arch9wavefront6targetE0EEEvT1_
    .private_segment_fixed_size: 0
    .sgpr_count:     0
    .sgpr_spill_count: 0
    .symbol:         _ZN7rocprim17ROCPRIM_400000_NS6detail17trampoline_kernelINS0_14default_configENS1_25partition_config_selectorILNS1_17partition_subalgoE5ElNS0_10empty_typeEbEEZZNS1_14partition_implILS5_5ELb0ES3_mN6hipcub16HIPCUB_304000_NS21CountingInputIteratorIllEEPS6_NSA_22TransformInputIteratorIb7NonZeroIfEPflEENS0_5tupleIJPlS6_EEENSJ_IJSD_SD_EEES6_SK_JS6_EEE10hipError_tPvRmT3_T4_T5_T6_T7_T9_mT8_P12ihipStream_tbDpT10_ENKUlT_T0_E_clISt17integral_constantIbLb1EES16_EEDaS11_S12_EUlS11_E_NS1_11comp_targetILNS1_3genE3ELNS1_11target_archE908ELNS1_3gpuE7ELNS1_3repE0EEENS1_30default_config_static_selectorELNS0_4arch9wavefront6targetE0EEEvT1_.kd
    .uniform_work_group_size: 1
    .uses_dynamic_stack: false
    .vgpr_count:     0
    .vgpr_spill_count: 0
    .wavefront_size: 32
    .workgroup_processor_mode: 1
  - .args:
      - .offset:         0
        .size:           136
        .value_kind:     by_value
    .group_segment_fixed_size: 0
    .kernarg_segment_align: 8
    .kernarg_segment_size: 136
    .language:       OpenCL C
    .language_version:
      - 2
      - 0
    .max_flat_workgroup_size: 256
    .name:           _ZN7rocprim17ROCPRIM_400000_NS6detail17trampoline_kernelINS0_14default_configENS1_25partition_config_selectorILNS1_17partition_subalgoE5ElNS0_10empty_typeEbEEZZNS1_14partition_implILS5_5ELb0ES3_mN6hipcub16HIPCUB_304000_NS21CountingInputIteratorIllEEPS6_NSA_22TransformInputIteratorIb7NonZeroIfEPflEENS0_5tupleIJPlS6_EEENSJ_IJSD_SD_EEES6_SK_JS6_EEE10hipError_tPvRmT3_T4_T5_T6_T7_T9_mT8_P12ihipStream_tbDpT10_ENKUlT_T0_E_clISt17integral_constantIbLb1EES16_EEDaS11_S12_EUlS11_E_NS1_11comp_targetILNS1_3genE2ELNS1_11target_archE906ELNS1_3gpuE6ELNS1_3repE0EEENS1_30default_config_static_selectorELNS0_4arch9wavefront6targetE0EEEvT1_
    .private_segment_fixed_size: 0
    .sgpr_count:     0
    .sgpr_spill_count: 0
    .symbol:         _ZN7rocprim17ROCPRIM_400000_NS6detail17trampoline_kernelINS0_14default_configENS1_25partition_config_selectorILNS1_17partition_subalgoE5ElNS0_10empty_typeEbEEZZNS1_14partition_implILS5_5ELb0ES3_mN6hipcub16HIPCUB_304000_NS21CountingInputIteratorIllEEPS6_NSA_22TransformInputIteratorIb7NonZeroIfEPflEENS0_5tupleIJPlS6_EEENSJ_IJSD_SD_EEES6_SK_JS6_EEE10hipError_tPvRmT3_T4_T5_T6_T7_T9_mT8_P12ihipStream_tbDpT10_ENKUlT_T0_E_clISt17integral_constantIbLb1EES16_EEDaS11_S12_EUlS11_E_NS1_11comp_targetILNS1_3genE2ELNS1_11target_archE906ELNS1_3gpuE6ELNS1_3repE0EEENS1_30default_config_static_selectorELNS0_4arch9wavefront6targetE0EEEvT1_.kd
    .uniform_work_group_size: 1
    .uses_dynamic_stack: false
    .vgpr_count:     0
    .vgpr_spill_count: 0
    .wavefront_size: 32
    .workgroup_processor_mode: 1
  - .args:
      - .offset:         0
        .size:           136
        .value_kind:     by_value
    .group_segment_fixed_size: 0
    .kernarg_segment_align: 8
    .kernarg_segment_size: 136
    .language:       OpenCL C
    .language_version:
      - 2
      - 0
    .max_flat_workgroup_size: 256
    .name:           _ZN7rocprim17ROCPRIM_400000_NS6detail17trampoline_kernelINS0_14default_configENS1_25partition_config_selectorILNS1_17partition_subalgoE5ElNS0_10empty_typeEbEEZZNS1_14partition_implILS5_5ELb0ES3_mN6hipcub16HIPCUB_304000_NS21CountingInputIteratorIllEEPS6_NSA_22TransformInputIteratorIb7NonZeroIfEPflEENS0_5tupleIJPlS6_EEENSJ_IJSD_SD_EEES6_SK_JS6_EEE10hipError_tPvRmT3_T4_T5_T6_T7_T9_mT8_P12ihipStream_tbDpT10_ENKUlT_T0_E_clISt17integral_constantIbLb1EES16_EEDaS11_S12_EUlS11_E_NS1_11comp_targetILNS1_3genE10ELNS1_11target_archE1200ELNS1_3gpuE4ELNS1_3repE0EEENS1_30default_config_static_selectorELNS0_4arch9wavefront6targetE0EEEvT1_
    .private_segment_fixed_size: 0
    .sgpr_count:     0
    .sgpr_spill_count: 0
    .symbol:         _ZN7rocprim17ROCPRIM_400000_NS6detail17trampoline_kernelINS0_14default_configENS1_25partition_config_selectorILNS1_17partition_subalgoE5ElNS0_10empty_typeEbEEZZNS1_14partition_implILS5_5ELb0ES3_mN6hipcub16HIPCUB_304000_NS21CountingInputIteratorIllEEPS6_NSA_22TransformInputIteratorIb7NonZeroIfEPflEENS0_5tupleIJPlS6_EEENSJ_IJSD_SD_EEES6_SK_JS6_EEE10hipError_tPvRmT3_T4_T5_T6_T7_T9_mT8_P12ihipStream_tbDpT10_ENKUlT_T0_E_clISt17integral_constantIbLb1EES16_EEDaS11_S12_EUlS11_E_NS1_11comp_targetILNS1_3genE10ELNS1_11target_archE1200ELNS1_3gpuE4ELNS1_3repE0EEENS1_30default_config_static_selectorELNS0_4arch9wavefront6targetE0EEEvT1_.kd
    .uniform_work_group_size: 1
    .uses_dynamic_stack: false
    .vgpr_count:     0
    .vgpr_spill_count: 0
    .wavefront_size: 32
    .workgroup_processor_mode: 1
  - .args:
      - .offset:         0
        .size:           136
        .value_kind:     by_value
    .group_segment_fixed_size: 6160
    .kernarg_segment_align: 8
    .kernarg_segment_size: 136
    .language:       OpenCL C
    .language_version:
      - 2
      - 0
    .max_flat_workgroup_size: 128
    .name:           _ZN7rocprim17ROCPRIM_400000_NS6detail17trampoline_kernelINS0_14default_configENS1_25partition_config_selectorILNS1_17partition_subalgoE5ElNS0_10empty_typeEbEEZZNS1_14partition_implILS5_5ELb0ES3_mN6hipcub16HIPCUB_304000_NS21CountingInputIteratorIllEEPS6_NSA_22TransformInputIteratorIb7NonZeroIfEPflEENS0_5tupleIJPlS6_EEENSJ_IJSD_SD_EEES6_SK_JS6_EEE10hipError_tPvRmT3_T4_T5_T6_T7_T9_mT8_P12ihipStream_tbDpT10_ENKUlT_T0_E_clISt17integral_constantIbLb1EES16_EEDaS11_S12_EUlS11_E_NS1_11comp_targetILNS1_3genE9ELNS1_11target_archE1100ELNS1_3gpuE3ELNS1_3repE0EEENS1_30default_config_static_selectorELNS0_4arch9wavefront6targetE0EEEvT1_
    .private_segment_fixed_size: 0
    .sgpr_count:     26
    .sgpr_spill_count: 0
    .symbol:         _ZN7rocprim17ROCPRIM_400000_NS6detail17trampoline_kernelINS0_14default_configENS1_25partition_config_selectorILNS1_17partition_subalgoE5ElNS0_10empty_typeEbEEZZNS1_14partition_implILS5_5ELb0ES3_mN6hipcub16HIPCUB_304000_NS21CountingInputIteratorIllEEPS6_NSA_22TransformInputIteratorIb7NonZeroIfEPflEENS0_5tupleIJPlS6_EEENSJ_IJSD_SD_EEES6_SK_JS6_EEE10hipError_tPvRmT3_T4_T5_T6_T7_T9_mT8_P12ihipStream_tbDpT10_ENKUlT_T0_E_clISt17integral_constantIbLb1EES16_EEDaS11_S12_EUlS11_E_NS1_11comp_targetILNS1_3genE9ELNS1_11target_archE1100ELNS1_3gpuE3ELNS1_3repE0EEENS1_30default_config_static_selectorELNS0_4arch9wavefront6targetE0EEEvT1_.kd
    .uniform_work_group_size: 1
    .uses_dynamic_stack: false
    .vgpr_count:     57
    .vgpr_spill_count: 0
    .wavefront_size: 32
    .workgroup_processor_mode: 1
  - .args:
      - .offset:         0
        .size:           136
        .value_kind:     by_value
    .group_segment_fixed_size: 0
    .kernarg_segment_align: 8
    .kernarg_segment_size: 136
    .language:       OpenCL C
    .language_version:
      - 2
      - 0
    .max_flat_workgroup_size: 512
    .name:           _ZN7rocprim17ROCPRIM_400000_NS6detail17trampoline_kernelINS0_14default_configENS1_25partition_config_selectorILNS1_17partition_subalgoE5ElNS0_10empty_typeEbEEZZNS1_14partition_implILS5_5ELb0ES3_mN6hipcub16HIPCUB_304000_NS21CountingInputIteratorIllEEPS6_NSA_22TransformInputIteratorIb7NonZeroIfEPflEENS0_5tupleIJPlS6_EEENSJ_IJSD_SD_EEES6_SK_JS6_EEE10hipError_tPvRmT3_T4_T5_T6_T7_T9_mT8_P12ihipStream_tbDpT10_ENKUlT_T0_E_clISt17integral_constantIbLb1EES16_EEDaS11_S12_EUlS11_E_NS1_11comp_targetILNS1_3genE8ELNS1_11target_archE1030ELNS1_3gpuE2ELNS1_3repE0EEENS1_30default_config_static_selectorELNS0_4arch9wavefront6targetE0EEEvT1_
    .private_segment_fixed_size: 0
    .sgpr_count:     0
    .sgpr_spill_count: 0
    .symbol:         _ZN7rocprim17ROCPRIM_400000_NS6detail17trampoline_kernelINS0_14default_configENS1_25partition_config_selectorILNS1_17partition_subalgoE5ElNS0_10empty_typeEbEEZZNS1_14partition_implILS5_5ELb0ES3_mN6hipcub16HIPCUB_304000_NS21CountingInputIteratorIllEEPS6_NSA_22TransformInputIteratorIb7NonZeroIfEPflEENS0_5tupleIJPlS6_EEENSJ_IJSD_SD_EEES6_SK_JS6_EEE10hipError_tPvRmT3_T4_T5_T6_T7_T9_mT8_P12ihipStream_tbDpT10_ENKUlT_T0_E_clISt17integral_constantIbLb1EES16_EEDaS11_S12_EUlS11_E_NS1_11comp_targetILNS1_3genE8ELNS1_11target_archE1030ELNS1_3gpuE2ELNS1_3repE0EEENS1_30default_config_static_selectorELNS0_4arch9wavefront6targetE0EEEvT1_.kd
    .uniform_work_group_size: 1
    .uses_dynamic_stack: false
    .vgpr_count:     0
    .vgpr_spill_count: 0
    .wavefront_size: 32
    .workgroup_processor_mode: 1
  - .args:
      - .offset:         0
        .size:           120
        .value_kind:     by_value
    .group_segment_fixed_size: 0
    .kernarg_segment_align: 8
    .kernarg_segment_size: 120
    .language:       OpenCL C
    .language_version:
      - 2
      - 0
    .max_flat_workgroup_size: 128
    .name:           _ZN7rocprim17ROCPRIM_400000_NS6detail17trampoline_kernelINS0_14default_configENS1_25partition_config_selectorILNS1_17partition_subalgoE5ElNS0_10empty_typeEbEEZZNS1_14partition_implILS5_5ELb0ES3_mN6hipcub16HIPCUB_304000_NS21CountingInputIteratorIllEEPS6_NSA_22TransformInputIteratorIb7NonZeroIfEPflEENS0_5tupleIJPlS6_EEENSJ_IJSD_SD_EEES6_SK_JS6_EEE10hipError_tPvRmT3_T4_T5_T6_T7_T9_mT8_P12ihipStream_tbDpT10_ENKUlT_T0_E_clISt17integral_constantIbLb1EES15_IbLb0EEEEDaS11_S12_EUlS11_E_NS1_11comp_targetILNS1_3genE0ELNS1_11target_archE4294967295ELNS1_3gpuE0ELNS1_3repE0EEENS1_30default_config_static_selectorELNS0_4arch9wavefront6targetE0EEEvT1_
    .private_segment_fixed_size: 0
    .sgpr_count:     0
    .sgpr_spill_count: 0
    .symbol:         _ZN7rocprim17ROCPRIM_400000_NS6detail17trampoline_kernelINS0_14default_configENS1_25partition_config_selectorILNS1_17partition_subalgoE5ElNS0_10empty_typeEbEEZZNS1_14partition_implILS5_5ELb0ES3_mN6hipcub16HIPCUB_304000_NS21CountingInputIteratorIllEEPS6_NSA_22TransformInputIteratorIb7NonZeroIfEPflEENS0_5tupleIJPlS6_EEENSJ_IJSD_SD_EEES6_SK_JS6_EEE10hipError_tPvRmT3_T4_T5_T6_T7_T9_mT8_P12ihipStream_tbDpT10_ENKUlT_T0_E_clISt17integral_constantIbLb1EES15_IbLb0EEEEDaS11_S12_EUlS11_E_NS1_11comp_targetILNS1_3genE0ELNS1_11target_archE4294967295ELNS1_3gpuE0ELNS1_3repE0EEENS1_30default_config_static_selectorELNS0_4arch9wavefront6targetE0EEEvT1_.kd
    .uniform_work_group_size: 1
    .uses_dynamic_stack: false
    .vgpr_count:     0
    .vgpr_spill_count: 0
    .wavefront_size: 32
    .workgroup_processor_mode: 1
  - .args:
      - .offset:         0
        .size:           120
        .value_kind:     by_value
    .group_segment_fixed_size: 0
    .kernarg_segment_align: 8
    .kernarg_segment_size: 120
    .language:       OpenCL C
    .language_version:
      - 2
      - 0
    .max_flat_workgroup_size: 512
    .name:           _ZN7rocprim17ROCPRIM_400000_NS6detail17trampoline_kernelINS0_14default_configENS1_25partition_config_selectorILNS1_17partition_subalgoE5ElNS0_10empty_typeEbEEZZNS1_14partition_implILS5_5ELb0ES3_mN6hipcub16HIPCUB_304000_NS21CountingInputIteratorIllEEPS6_NSA_22TransformInputIteratorIb7NonZeroIfEPflEENS0_5tupleIJPlS6_EEENSJ_IJSD_SD_EEES6_SK_JS6_EEE10hipError_tPvRmT3_T4_T5_T6_T7_T9_mT8_P12ihipStream_tbDpT10_ENKUlT_T0_E_clISt17integral_constantIbLb1EES15_IbLb0EEEEDaS11_S12_EUlS11_E_NS1_11comp_targetILNS1_3genE5ELNS1_11target_archE942ELNS1_3gpuE9ELNS1_3repE0EEENS1_30default_config_static_selectorELNS0_4arch9wavefront6targetE0EEEvT1_
    .private_segment_fixed_size: 0
    .sgpr_count:     0
    .sgpr_spill_count: 0
    .symbol:         _ZN7rocprim17ROCPRIM_400000_NS6detail17trampoline_kernelINS0_14default_configENS1_25partition_config_selectorILNS1_17partition_subalgoE5ElNS0_10empty_typeEbEEZZNS1_14partition_implILS5_5ELb0ES3_mN6hipcub16HIPCUB_304000_NS21CountingInputIteratorIllEEPS6_NSA_22TransformInputIteratorIb7NonZeroIfEPflEENS0_5tupleIJPlS6_EEENSJ_IJSD_SD_EEES6_SK_JS6_EEE10hipError_tPvRmT3_T4_T5_T6_T7_T9_mT8_P12ihipStream_tbDpT10_ENKUlT_T0_E_clISt17integral_constantIbLb1EES15_IbLb0EEEEDaS11_S12_EUlS11_E_NS1_11comp_targetILNS1_3genE5ELNS1_11target_archE942ELNS1_3gpuE9ELNS1_3repE0EEENS1_30default_config_static_selectorELNS0_4arch9wavefront6targetE0EEEvT1_.kd
    .uniform_work_group_size: 1
    .uses_dynamic_stack: false
    .vgpr_count:     0
    .vgpr_spill_count: 0
    .wavefront_size: 32
    .workgroup_processor_mode: 1
  - .args:
      - .offset:         0
        .size:           120
        .value_kind:     by_value
    .group_segment_fixed_size: 0
    .kernarg_segment_align: 8
    .kernarg_segment_size: 120
    .language:       OpenCL C
    .language_version:
      - 2
      - 0
    .max_flat_workgroup_size: 192
    .name:           _ZN7rocprim17ROCPRIM_400000_NS6detail17trampoline_kernelINS0_14default_configENS1_25partition_config_selectorILNS1_17partition_subalgoE5ElNS0_10empty_typeEbEEZZNS1_14partition_implILS5_5ELb0ES3_mN6hipcub16HIPCUB_304000_NS21CountingInputIteratorIllEEPS6_NSA_22TransformInputIteratorIb7NonZeroIfEPflEENS0_5tupleIJPlS6_EEENSJ_IJSD_SD_EEES6_SK_JS6_EEE10hipError_tPvRmT3_T4_T5_T6_T7_T9_mT8_P12ihipStream_tbDpT10_ENKUlT_T0_E_clISt17integral_constantIbLb1EES15_IbLb0EEEEDaS11_S12_EUlS11_E_NS1_11comp_targetILNS1_3genE4ELNS1_11target_archE910ELNS1_3gpuE8ELNS1_3repE0EEENS1_30default_config_static_selectorELNS0_4arch9wavefront6targetE0EEEvT1_
    .private_segment_fixed_size: 0
    .sgpr_count:     0
    .sgpr_spill_count: 0
    .symbol:         _ZN7rocprim17ROCPRIM_400000_NS6detail17trampoline_kernelINS0_14default_configENS1_25partition_config_selectorILNS1_17partition_subalgoE5ElNS0_10empty_typeEbEEZZNS1_14partition_implILS5_5ELb0ES3_mN6hipcub16HIPCUB_304000_NS21CountingInputIteratorIllEEPS6_NSA_22TransformInputIteratorIb7NonZeroIfEPflEENS0_5tupleIJPlS6_EEENSJ_IJSD_SD_EEES6_SK_JS6_EEE10hipError_tPvRmT3_T4_T5_T6_T7_T9_mT8_P12ihipStream_tbDpT10_ENKUlT_T0_E_clISt17integral_constantIbLb1EES15_IbLb0EEEEDaS11_S12_EUlS11_E_NS1_11comp_targetILNS1_3genE4ELNS1_11target_archE910ELNS1_3gpuE8ELNS1_3repE0EEENS1_30default_config_static_selectorELNS0_4arch9wavefront6targetE0EEEvT1_.kd
    .uniform_work_group_size: 1
    .uses_dynamic_stack: false
    .vgpr_count:     0
    .vgpr_spill_count: 0
    .wavefront_size: 32
    .workgroup_processor_mode: 1
  - .args:
      - .offset:         0
        .size:           120
        .value_kind:     by_value
    .group_segment_fixed_size: 0
    .kernarg_segment_align: 8
    .kernarg_segment_size: 120
    .language:       OpenCL C
    .language_version:
      - 2
      - 0
    .max_flat_workgroup_size: 128
    .name:           _ZN7rocprim17ROCPRIM_400000_NS6detail17trampoline_kernelINS0_14default_configENS1_25partition_config_selectorILNS1_17partition_subalgoE5ElNS0_10empty_typeEbEEZZNS1_14partition_implILS5_5ELb0ES3_mN6hipcub16HIPCUB_304000_NS21CountingInputIteratorIllEEPS6_NSA_22TransformInputIteratorIb7NonZeroIfEPflEENS0_5tupleIJPlS6_EEENSJ_IJSD_SD_EEES6_SK_JS6_EEE10hipError_tPvRmT3_T4_T5_T6_T7_T9_mT8_P12ihipStream_tbDpT10_ENKUlT_T0_E_clISt17integral_constantIbLb1EES15_IbLb0EEEEDaS11_S12_EUlS11_E_NS1_11comp_targetILNS1_3genE3ELNS1_11target_archE908ELNS1_3gpuE7ELNS1_3repE0EEENS1_30default_config_static_selectorELNS0_4arch9wavefront6targetE0EEEvT1_
    .private_segment_fixed_size: 0
    .sgpr_count:     0
    .sgpr_spill_count: 0
    .symbol:         _ZN7rocprim17ROCPRIM_400000_NS6detail17trampoline_kernelINS0_14default_configENS1_25partition_config_selectorILNS1_17partition_subalgoE5ElNS0_10empty_typeEbEEZZNS1_14partition_implILS5_5ELb0ES3_mN6hipcub16HIPCUB_304000_NS21CountingInputIteratorIllEEPS6_NSA_22TransformInputIteratorIb7NonZeroIfEPflEENS0_5tupleIJPlS6_EEENSJ_IJSD_SD_EEES6_SK_JS6_EEE10hipError_tPvRmT3_T4_T5_T6_T7_T9_mT8_P12ihipStream_tbDpT10_ENKUlT_T0_E_clISt17integral_constantIbLb1EES15_IbLb0EEEEDaS11_S12_EUlS11_E_NS1_11comp_targetILNS1_3genE3ELNS1_11target_archE908ELNS1_3gpuE7ELNS1_3repE0EEENS1_30default_config_static_selectorELNS0_4arch9wavefront6targetE0EEEvT1_.kd
    .uniform_work_group_size: 1
    .uses_dynamic_stack: false
    .vgpr_count:     0
    .vgpr_spill_count: 0
    .wavefront_size: 32
    .workgroup_processor_mode: 1
  - .args:
      - .offset:         0
        .size:           120
        .value_kind:     by_value
    .group_segment_fixed_size: 0
    .kernarg_segment_align: 8
    .kernarg_segment_size: 120
    .language:       OpenCL C
    .language_version:
      - 2
      - 0
    .max_flat_workgroup_size: 256
    .name:           _ZN7rocprim17ROCPRIM_400000_NS6detail17trampoline_kernelINS0_14default_configENS1_25partition_config_selectorILNS1_17partition_subalgoE5ElNS0_10empty_typeEbEEZZNS1_14partition_implILS5_5ELb0ES3_mN6hipcub16HIPCUB_304000_NS21CountingInputIteratorIllEEPS6_NSA_22TransformInputIteratorIb7NonZeroIfEPflEENS0_5tupleIJPlS6_EEENSJ_IJSD_SD_EEES6_SK_JS6_EEE10hipError_tPvRmT3_T4_T5_T6_T7_T9_mT8_P12ihipStream_tbDpT10_ENKUlT_T0_E_clISt17integral_constantIbLb1EES15_IbLb0EEEEDaS11_S12_EUlS11_E_NS1_11comp_targetILNS1_3genE2ELNS1_11target_archE906ELNS1_3gpuE6ELNS1_3repE0EEENS1_30default_config_static_selectorELNS0_4arch9wavefront6targetE0EEEvT1_
    .private_segment_fixed_size: 0
    .sgpr_count:     0
    .sgpr_spill_count: 0
    .symbol:         _ZN7rocprim17ROCPRIM_400000_NS6detail17trampoline_kernelINS0_14default_configENS1_25partition_config_selectorILNS1_17partition_subalgoE5ElNS0_10empty_typeEbEEZZNS1_14partition_implILS5_5ELb0ES3_mN6hipcub16HIPCUB_304000_NS21CountingInputIteratorIllEEPS6_NSA_22TransformInputIteratorIb7NonZeroIfEPflEENS0_5tupleIJPlS6_EEENSJ_IJSD_SD_EEES6_SK_JS6_EEE10hipError_tPvRmT3_T4_T5_T6_T7_T9_mT8_P12ihipStream_tbDpT10_ENKUlT_T0_E_clISt17integral_constantIbLb1EES15_IbLb0EEEEDaS11_S12_EUlS11_E_NS1_11comp_targetILNS1_3genE2ELNS1_11target_archE906ELNS1_3gpuE6ELNS1_3repE0EEENS1_30default_config_static_selectorELNS0_4arch9wavefront6targetE0EEEvT1_.kd
    .uniform_work_group_size: 1
    .uses_dynamic_stack: false
    .vgpr_count:     0
    .vgpr_spill_count: 0
    .wavefront_size: 32
    .workgroup_processor_mode: 1
  - .args:
      - .offset:         0
        .size:           120
        .value_kind:     by_value
    .group_segment_fixed_size: 0
    .kernarg_segment_align: 8
    .kernarg_segment_size: 120
    .language:       OpenCL C
    .language_version:
      - 2
      - 0
    .max_flat_workgroup_size: 256
    .name:           _ZN7rocprim17ROCPRIM_400000_NS6detail17trampoline_kernelINS0_14default_configENS1_25partition_config_selectorILNS1_17partition_subalgoE5ElNS0_10empty_typeEbEEZZNS1_14partition_implILS5_5ELb0ES3_mN6hipcub16HIPCUB_304000_NS21CountingInputIteratorIllEEPS6_NSA_22TransformInputIteratorIb7NonZeroIfEPflEENS0_5tupleIJPlS6_EEENSJ_IJSD_SD_EEES6_SK_JS6_EEE10hipError_tPvRmT3_T4_T5_T6_T7_T9_mT8_P12ihipStream_tbDpT10_ENKUlT_T0_E_clISt17integral_constantIbLb1EES15_IbLb0EEEEDaS11_S12_EUlS11_E_NS1_11comp_targetILNS1_3genE10ELNS1_11target_archE1200ELNS1_3gpuE4ELNS1_3repE0EEENS1_30default_config_static_selectorELNS0_4arch9wavefront6targetE0EEEvT1_
    .private_segment_fixed_size: 0
    .sgpr_count:     0
    .sgpr_spill_count: 0
    .symbol:         _ZN7rocprim17ROCPRIM_400000_NS6detail17trampoline_kernelINS0_14default_configENS1_25partition_config_selectorILNS1_17partition_subalgoE5ElNS0_10empty_typeEbEEZZNS1_14partition_implILS5_5ELb0ES3_mN6hipcub16HIPCUB_304000_NS21CountingInputIteratorIllEEPS6_NSA_22TransformInputIteratorIb7NonZeroIfEPflEENS0_5tupleIJPlS6_EEENSJ_IJSD_SD_EEES6_SK_JS6_EEE10hipError_tPvRmT3_T4_T5_T6_T7_T9_mT8_P12ihipStream_tbDpT10_ENKUlT_T0_E_clISt17integral_constantIbLb1EES15_IbLb0EEEEDaS11_S12_EUlS11_E_NS1_11comp_targetILNS1_3genE10ELNS1_11target_archE1200ELNS1_3gpuE4ELNS1_3repE0EEENS1_30default_config_static_selectorELNS0_4arch9wavefront6targetE0EEEvT1_.kd
    .uniform_work_group_size: 1
    .uses_dynamic_stack: false
    .vgpr_count:     0
    .vgpr_spill_count: 0
    .wavefront_size: 32
    .workgroup_processor_mode: 1
  - .args:
      - .offset:         0
        .size:           120
        .value_kind:     by_value
    .group_segment_fixed_size: 6160
    .kernarg_segment_align: 8
    .kernarg_segment_size: 120
    .language:       OpenCL C
    .language_version:
      - 2
      - 0
    .max_flat_workgroup_size: 128
    .name:           _ZN7rocprim17ROCPRIM_400000_NS6detail17trampoline_kernelINS0_14default_configENS1_25partition_config_selectorILNS1_17partition_subalgoE5ElNS0_10empty_typeEbEEZZNS1_14partition_implILS5_5ELb0ES3_mN6hipcub16HIPCUB_304000_NS21CountingInputIteratorIllEEPS6_NSA_22TransformInputIteratorIb7NonZeroIfEPflEENS0_5tupleIJPlS6_EEENSJ_IJSD_SD_EEES6_SK_JS6_EEE10hipError_tPvRmT3_T4_T5_T6_T7_T9_mT8_P12ihipStream_tbDpT10_ENKUlT_T0_E_clISt17integral_constantIbLb1EES15_IbLb0EEEEDaS11_S12_EUlS11_E_NS1_11comp_targetILNS1_3genE9ELNS1_11target_archE1100ELNS1_3gpuE3ELNS1_3repE0EEENS1_30default_config_static_selectorELNS0_4arch9wavefront6targetE0EEEvT1_
    .private_segment_fixed_size: 0
    .sgpr_count:     23
    .sgpr_spill_count: 0
    .symbol:         _ZN7rocprim17ROCPRIM_400000_NS6detail17trampoline_kernelINS0_14default_configENS1_25partition_config_selectorILNS1_17partition_subalgoE5ElNS0_10empty_typeEbEEZZNS1_14partition_implILS5_5ELb0ES3_mN6hipcub16HIPCUB_304000_NS21CountingInputIteratorIllEEPS6_NSA_22TransformInputIteratorIb7NonZeroIfEPflEENS0_5tupleIJPlS6_EEENSJ_IJSD_SD_EEES6_SK_JS6_EEE10hipError_tPvRmT3_T4_T5_T6_T7_T9_mT8_P12ihipStream_tbDpT10_ENKUlT_T0_E_clISt17integral_constantIbLb1EES15_IbLb0EEEEDaS11_S12_EUlS11_E_NS1_11comp_targetILNS1_3genE9ELNS1_11target_archE1100ELNS1_3gpuE3ELNS1_3repE0EEENS1_30default_config_static_selectorELNS0_4arch9wavefront6targetE0EEEvT1_.kd
    .uniform_work_group_size: 1
    .uses_dynamic_stack: false
    .vgpr_count:     57
    .vgpr_spill_count: 0
    .wavefront_size: 32
    .workgroup_processor_mode: 1
  - .args:
      - .offset:         0
        .size:           120
        .value_kind:     by_value
    .group_segment_fixed_size: 0
    .kernarg_segment_align: 8
    .kernarg_segment_size: 120
    .language:       OpenCL C
    .language_version:
      - 2
      - 0
    .max_flat_workgroup_size: 512
    .name:           _ZN7rocprim17ROCPRIM_400000_NS6detail17trampoline_kernelINS0_14default_configENS1_25partition_config_selectorILNS1_17partition_subalgoE5ElNS0_10empty_typeEbEEZZNS1_14partition_implILS5_5ELb0ES3_mN6hipcub16HIPCUB_304000_NS21CountingInputIteratorIllEEPS6_NSA_22TransformInputIteratorIb7NonZeroIfEPflEENS0_5tupleIJPlS6_EEENSJ_IJSD_SD_EEES6_SK_JS6_EEE10hipError_tPvRmT3_T4_T5_T6_T7_T9_mT8_P12ihipStream_tbDpT10_ENKUlT_T0_E_clISt17integral_constantIbLb1EES15_IbLb0EEEEDaS11_S12_EUlS11_E_NS1_11comp_targetILNS1_3genE8ELNS1_11target_archE1030ELNS1_3gpuE2ELNS1_3repE0EEENS1_30default_config_static_selectorELNS0_4arch9wavefront6targetE0EEEvT1_
    .private_segment_fixed_size: 0
    .sgpr_count:     0
    .sgpr_spill_count: 0
    .symbol:         _ZN7rocprim17ROCPRIM_400000_NS6detail17trampoline_kernelINS0_14default_configENS1_25partition_config_selectorILNS1_17partition_subalgoE5ElNS0_10empty_typeEbEEZZNS1_14partition_implILS5_5ELb0ES3_mN6hipcub16HIPCUB_304000_NS21CountingInputIteratorIllEEPS6_NSA_22TransformInputIteratorIb7NonZeroIfEPflEENS0_5tupleIJPlS6_EEENSJ_IJSD_SD_EEES6_SK_JS6_EEE10hipError_tPvRmT3_T4_T5_T6_T7_T9_mT8_P12ihipStream_tbDpT10_ENKUlT_T0_E_clISt17integral_constantIbLb1EES15_IbLb0EEEEDaS11_S12_EUlS11_E_NS1_11comp_targetILNS1_3genE8ELNS1_11target_archE1030ELNS1_3gpuE2ELNS1_3repE0EEENS1_30default_config_static_selectorELNS0_4arch9wavefront6targetE0EEEvT1_.kd
    .uniform_work_group_size: 1
    .uses_dynamic_stack: false
    .vgpr_count:     0
    .vgpr_spill_count: 0
    .wavefront_size: 32
    .workgroup_processor_mode: 1
  - .args:
      - .offset:         0
        .size:           136
        .value_kind:     by_value
    .group_segment_fixed_size: 0
    .kernarg_segment_align: 8
    .kernarg_segment_size: 136
    .language:       OpenCL C
    .language_version:
      - 2
      - 0
    .max_flat_workgroup_size: 128
    .name:           _ZN7rocprim17ROCPRIM_400000_NS6detail17trampoline_kernelINS0_14default_configENS1_25partition_config_selectorILNS1_17partition_subalgoE5ElNS0_10empty_typeEbEEZZNS1_14partition_implILS5_5ELb0ES3_mN6hipcub16HIPCUB_304000_NS21CountingInputIteratorIllEEPS6_NSA_22TransformInputIteratorIb7NonZeroIfEPflEENS0_5tupleIJPlS6_EEENSJ_IJSD_SD_EEES6_SK_JS6_EEE10hipError_tPvRmT3_T4_T5_T6_T7_T9_mT8_P12ihipStream_tbDpT10_ENKUlT_T0_E_clISt17integral_constantIbLb0EES15_IbLb1EEEEDaS11_S12_EUlS11_E_NS1_11comp_targetILNS1_3genE0ELNS1_11target_archE4294967295ELNS1_3gpuE0ELNS1_3repE0EEENS1_30default_config_static_selectorELNS0_4arch9wavefront6targetE0EEEvT1_
    .private_segment_fixed_size: 0
    .sgpr_count:     0
    .sgpr_spill_count: 0
    .symbol:         _ZN7rocprim17ROCPRIM_400000_NS6detail17trampoline_kernelINS0_14default_configENS1_25partition_config_selectorILNS1_17partition_subalgoE5ElNS0_10empty_typeEbEEZZNS1_14partition_implILS5_5ELb0ES3_mN6hipcub16HIPCUB_304000_NS21CountingInputIteratorIllEEPS6_NSA_22TransformInputIteratorIb7NonZeroIfEPflEENS0_5tupleIJPlS6_EEENSJ_IJSD_SD_EEES6_SK_JS6_EEE10hipError_tPvRmT3_T4_T5_T6_T7_T9_mT8_P12ihipStream_tbDpT10_ENKUlT_T0_E_clISt17integral_constantIbLb0EES15_IbLb1EEEEDaS11_S12_EUlS11_E_NS1_11comp_targetILNS1_3genE0ELNS1_11target_archE4294967295ELNS1_3gpuE0ELNS1_3repE0EEENS1_30default_config_static_selectorELNS0_4arch9wavefront6targetE0EEEvT1_.kd
    .uniform_work_group_size: 1
    .uses_dynamic_stack: false
    .vgpr_count:     0
    .vgpr_spill_count: 0
    .wavefront_size: 32
    .workgroup_processor_mode: 1
  - .args:
      - .offset:         0
        .size:           136
        .value_kind:     by_value
    .group_segment_fixed_size: 0
    .kernarg_segment_align: 8
    .kernarg_segment_size: 136
    .language:       OpenCL C
    .language_version:
      - 2
      - 0
    .max_flat_workgroup_size: 512
    .name:           _ZN7rocprim17ROCPRIM_400000_NS6detail17trampoline_kernelINS0_14default_configENS1_25partition_config_selectorILNS1_17partition_subalgoE5ElNS0_10empty_typeEbEEZZNS1_14partition_implILS5_5ELb0ES3_mN6hipcub16HIPCUB_304000_NS21CountingInputIteratorIllEEPS6_NSA_22TransformInputIteratorIb7NonZeroIfEPflEENS0_5tupleIJPlS6_EEENSJ_IJSD_SD_EEES6_SK_JS6_EEE10hipError_tPvRmT3_T4_T5_T6_T7_T9_mT8_P12ihipStream_tbDpT10_ENKUlT_T0_E_clISt17integral_constantIbLb0EES15_IbLb1EEEEDaS11_S12_EUlS11_E_NS1_11comp_targetILNS1_3genE5ELNS1_11target_archE942ELNS1_3gpuE9ELNS1_3repE0EEENS1_30default_config_static_selectorELNS0_4arch9wavefront6targetE0EEEvT1_
    .private_segment_fixed_size: 0
    .sgpr_count:     0
    .sgpr_spill_count: 0
    .symbol:         _ZN7rocprim17ROCPRIM_400000_NS6detail17trampoline_kernelINS0_14default_configENS1_25partition_config_selectorILNS1_17partition_subalgoE5ElNS0_10empty_typeEbEEZZNS1_14partition_implILS5_5ELb0ES3_mN6hipcub16HIPCUB_304000_NS21CountingInputIteratorIllEEPS6_NSA_22TransformInputIteratorIb7NonZeroIfEPflEENS0_5tupleIJPlS6_EEENSJ_IJSD_SD_EEES6_SK_JS6_EEE10hipError_tPvRmT3_T4_T5_T6_T7_T9_mT8_P12ihipStream_tbDpT10_ENKUlT_T0_E_clISt17integral_constantIbLb0EES15_IbLb1EEEEDaS11_S12_EUlS11_E_NS1_11comp_targetILNS1_3genE5ELNS1_11target_archE942ELNS1_3gpuE9ELNS1_3repE0EEENS1_30default_config_static_selectorELNS0_4arch9wavefront6targetE0EEEvT1_.kd
    .uniform_work_group_size: 1
    .uses_dynamic_stack: false
    .vgpr_count:     0
    .vgpr_spill_count: 0
    .wavefront_size: 32
    .workgroup_processor_mode: 1
  - .args:
      - .offset:         0
        .size:           136
        .value_kind:     by_value
    .group_segment_fixed_size: 0
    .kernarg_segment_align: 8
    .kernarg_segment_size: 136
    .language:       OpenCL C
    .language_version:
      - 2
      - 0
    .max_flat_workgroup_size: 192
    .name:           _ZN7rocprim17ROCPRIM_400000_NS6detail17trampoline_kernelINS0_14default_configENS1_25partition_config_selectorILNS1_17partition_subalgoE5ElNS0_10empty_typeEbEEZZNS1_14partition_implILS5_5ELb0ES3_mN6hipcub16HIPCUB_304000_NS21CountingInputIteratorIllEEPS6_NSA_22TransformInputIteratorIb7NonZeroIfEPflEENS0_5tupleIJPlS6_EEENSJ_IJSD_SD_EEES6_SK_JS6_EEE10hipError_tPvRmT3_T4_T5_T6_T7_T9_mT8_P12ihipStream_tbDpT10_ENKUlT_T0_E_clISt17integral_constantIbLb0EES15_IbLb1EEEEDaS11_S12_EUlS11_E_NS1_11comp_targetILNS1_3genE4ELNS1_11target_archE910ELNS1_3gpuE8ELNS1_3repE0EEENS1_30default_config_static_selectorELNS0_4arch9wavefront6targetE0EEEvT1_
    .private_segment_fixed_size: 0
    .sgpr_count:     0
    .sgpr_spill_count: 0
    .symbol:         _ZN7rocprim17ROCPRIM_400000_NS6detail17trampoline_kernelINS0_14default_configENS1_25partition_config_selectorILNS1_17partition_subalgoE5ElNS0_10empty_typeEbEEZZNS1_14partition_implILS5_5ELb0ES3_mN6hipcub16HIPCUB_304000_NS21CountingInputIteratorIllEEPS6_NSA_22TransformInputIteratorIb7NonZeroIfEPflEENS0_5tupleIJPlS6_EEENSJ_IJSD_SD_EEES6_SK_JS6_EEE10hipError_tPvRmT3_T4_T5_T6_T7_T9_mT8_P12ihipStream_tbDpT10_ENKUlT_T0_E_clISt17integral_constantIbLb0EES15_IbLb1EEEEDaS11_S12_EUlS11_E_NS1_11comp_targetILNS1_3genE4ELNS1_11target_archE910ELNS1_3gpuE8ELNS1_3repE0EEENS1_30default_config_static_selectorELNS0_4arch9wavefront6targetE0EEEvT1_.kd
    .uniform_work_group_size: 1
    .uses_dynamic_stack: false
    .vgpr_count:     0
    .vgpr_spill_count: 0
    .wavefront_size: 32
    .workgroup_processor_mode: 1
  - .args:
      - .offset:         0
        .size:           136
        .value_kind:     by_value
    .group_segment_fixed_size: 0
    .kernarg_segment_align: 8
    .kernarg_segment_size: 136
    .language:       OpenCL C
    .language_version:
      - 2
      - 0
    .max_flat_workgroup_size: 128
    .name:           _ZN7rocprim17ROCPRIM_400000_NS6detail17trampoline_kernelINS0_14default_configENS1_25partition_config_selectorILNS1_17partition_subalgoE5ElNS0_10empty_typeEbEEZZNS1_14partition_implILS5_5ELb0ES3_mN6hipcub16HIPCUB_304000_NS21CountingInputIteratorIllEEPS6_NSA_22TransformInputIteratorIb7NonZeroIfEPflEENS0_5tupleIJPlS6_EEENSJ_IJSD_SD_EEES6_SK_JS6_EEE10hipError_tPvRmT3_T4_T5_T6_T7_T9_mT8_P12ihipStream_tbDpT10_ENKUlT_T0_E_clISt17integral_constantIbLb0EES15_IbLb1EEEEDaS11_S12_EUlS11_E_NS1_11comp_targetILNS1_3genE3ELNS1_11target_archE908ELNS1_3gpuE7ELNS1_3repE0EEENS1_30default_config_static_selectorELNS0_4arch9wavefront6targetE0EEEvT1_
    .private_segment_fixed_size: 0
    .sgpr_count:     0
    .sgpr_spill_count: 0
    .symbol:         _ZN7rocprim17ROCPRIM_400000_NS6detail17trampoline_kernelINS0_14default_configENS1_25partition_config_selectorILNS1_17partition_subalgoE5ElNS0_10empty_typeEbEEZZNS1_14partition_implILS5_5ELb0ES3_mN6hipcub16HIPCUB_304000_NS21CountingInputIteratorIllEEPS6_NSA_22TransformInputIteratorIb7NonZeroIfEPflEENS0_5tupleIJPlS6_EEENSJ_IJSD_SD_EEES6_SK_JS6_EEE10hipError_tPvRmT3_T4_T5_T6_T7_T9_mT8_P12ihipStream_tbDpT10_ENKUlT_T0_E_clISt17integral_constantIbLb0EES15_IbLb1EEEEDaS11_S12_EUlS11_E_NS1_11comp_targetILNS1_3genE3ELNS1_11target_archE908ELNS1_3gpuE7ELNS1_3repE0EEENS1_30default_config_static_selectorELNS0_4arch9wavefront6targetE0EEEvT1_.kd
    .uniform_work_group_size: 1
    .uses_dynamic_stack: false
    .vgpr_count:     0
    .vgpr_spill_count: 0
    .wavefront_size: 32
    .workgroup_processor_mode: 1
  - .args:
      - .offset:         0
        .size:           136
        .value_kind:     by_value
    .group_segment_fixed_size: 0
    .kernarg_segment_align: 8
    .kernarg_segment_size: 136
    .language:       OpenCL C
    .language_version:
      - 2
      - 0
    .max_flat_workgroup_size: 256
    .name:           _ZN7rocprim17ROCPRIM_400000_NS6detail17trampoline_kernelINS0_14default_configENS1_25partition_config_selectorILNS1_17partition_subalgoE5ElNS0_10empty_typeEbEEZZNS1_14partition_implILS5_5ELb0ES3_mN6hipcub16HIPCUB_304000_NS21CountingInputIteratorIllEEPS6_NSA_22TransformInputIteratorIb7NonZeroIfEPflEENS0_5tupleIJPlS6_EEENSJ_IJSD_SD_EEES6_SK_JS6_EEE10hipError_tPvRmT3_T4_T5_T6_T7_T9_mT8_P12ihipStream_tbDpT10_ENKUlT_T0_E_clISt17integral_constantIbLb0EES15_IbLb1EEEEDaS11_S12_EUlS11_E_NS1_11comp_targetILNS1_3genE2ELNS1_11target_archE906ELNS1_3gpuE6ELNS1_3repE0EEENS1_30default_config_static_selectorELNS0_4arch9wavefront6targetE0EEEvT1_
    .private_segment_fixed_size: 0
    .sgpr_count:     0
    .sgpr_spill_count: 0
    .symbol:         _ZN7rocprim17ROCPRIM_400000_NS6detail17trampoline_kernelINS0_14default_configENS1_25partition_config_selectorILNS1_17partition_subalgoE5ElNS0_10empty_typeEbEEZZNS1_14partition_implILS5_5ELb0ES3_mN6hipcub16HIPCUB_304000_NS21CountingInputIteratorIllEEPS6_NSA_22TransformInputIteratorIb7NonZeroIfEPflEENS0_5tupleIJPlS6_EEENSJ_IJSD_SD_EEES6_SK_JS6_EEE10hipError_tPvRmT3_T4_T5_T6_T7_T9_mT8_P12ihipStream_tbDpT10_ENKUlT_T0_E_clISt17integral_constantIbLb0EES15_IbLb1EEEEDaS11_S12_EUlS11_E_NS1_11comp_targetILNS1_3genE2ELNS1_11target_archE906ELNS1_3gpuE6ELNS1_3repE0EEENS1_30default_config_static_selectorELNS0_4arch9wavefront6targetE0EEEvT1_.kd
    .uniform_work_group_size: 1
    .uses_dynamic_stack: false
    .vgpr_count:     0
    .vgpr_spill_count: 0
    .wavefront_size: 32
    .workgroup_processor_mode: 1
  - .args:
      - .offset:         0
        .size:           136
        .value_kind:     by_value
    .group_segment_fixed_size: 0
    .kernarg_segment_align: 8
    .kernarg_segment_size: 136
    .language:       OpenCL C
    .language_version:
      - 2
      - 0
    .max_flat_workgroup_size: 256
    .name:           _ZN7rocprim17ROCPRIM_400000_NS6detail17trampoline_kernelINS0_14default_configENS1_25partition_config_selectorILNS1_17partition_subalgoE5ElNS0_10empty_typeEbEEZZNS1_14partition_implILS5_5ELb0ES3_mN6hipcub16HIPCUB_304000_NS21CountingInputIteratorIllEEPS6_NSA_22TransformInputIteratorIb7NonZeroIfEPflEENS0_5tupleIJPlS6_EEENSJ_IJSD_SD_EEES6_SK_JS6_EEE10hipError_tPvRmT3_T4_T5_T6_T7_T9_mT8_P12ihipStream_tbDpT10_ENKUlT_T0_E_clISt17integral_constantIbLb0EES15_IbLb1EEEEDaS11_S12_EUlS11_E_NS1_11comp_targetILNS1_3genE10ELNS1_11target_archE1200ELNS1_3gpuE4ELNS1_3repE0EEENS1_30default_config_static_selectorELNS0_4arch9wavefront6targetE0EEEvT1_
    .private_segment_fixed_size: 0
    .sgpr_count:     0
    .sgpr_spill_count: 0
    .symbol:         _ZN7rocprim17ROCPRIM_400000_NS6detail17trampoline_kernelINS0_14default_configENS1_25partition_config_selectorILNS1_17partition_subalgoE5ElNS0_10empty_typeEbEEZZNS1_14partition_implILS5_5ELb0ES3_mN6hipcub16HIPCUB_304000_NS21CountingInputIteratorIllEEPS6_NSA_22TransformInputIteratorIb7NonZeroIfEPflEENS0_5tupleIJPlS6_EEENSJ_IJSD_SD_EEES6_SK_JS6_EEE10hipError_tPvRmT3_T4_T5_T6_T7_T9_mT8_P12ihipStream_tbDpT10_ENKUlT_T0_E_clISt17integral_constantIbLb0EES15_IbLb1EEEEDaS11_S12_EUlS11_E_NS1_11comp_targetILNS1_3genE10ELNS1_11target_archE1200ELNS1_3gpuE4ELNS1_3repE0EEENS1_30default_config_static_selectorELNS0_4arch9wavefront6targetE0EEEvT1_.kd
    .uniform_work_group_size: 1
    .uses_dynamic_stack: false
    .vgpr_count:     0
    .vgpr_spill_count: 0
    .wavefront_size: 32
    .workgroup_processor_mode: 1
  - .args:
      - .offset:         0
        .size:           136
        .value_kind:     by_value
    .group_segment_fixed_size: 6160
    .kernarg_segment_align: 8
    .kernarg_segment_size: 136
    .language:       OpenCL C
    .language_version:
      - 2
      - 0
    .max_flat_workgroup_size: 128
    .name:           _ZN7rocprim17ROCPRIM_400000_NS6detail17trampoline_kernelINS0_14default_configENS1_25partition_config_selectorILNS1_17partition_subalgoE5ElNS0_10empty_typeEbEEZZNS1_14partition_implILS5_5ELb0ES3_mN6hipcub16HIPCUB_304000_NS21CountingInputIteratorIllEEPS6_NSA_22TransformInputIteratorIb7NonZeroIfEPflEENS0_5tupleIJPlS6_EEENSJ_IJSD_SD_EEES6_SK_JS6_EEE10hipError_tPvRmT3_T4_T5_T6_T7_T9_mT8_P12ihipStream_tbDpT10_ENKUlT_T0_E_clISt17integral_constantIbLb0EES15_IbLb1EEEEDaS11_S12_EUlS11_E_NS1_11comp_targetILNS1_3genE9ELNS1_11target_archE1100ELNS1_3gpuE3ELNS1_3repE0EEENS1_30default_config_static_selectorELNS0_4arch9wavefront6targetE0EEEvT1_
    .private_segment_fixed_size: 0
    .sgpr_count:     26
    .sgpr_spill_count: 0
    .symbol:         _ZN7rocprim17ROCPRIM_400000_NS6detail17trampoline_kernelINS0_14default_configENS1_25partition_config_selectorILNS1_17partition_subalgoE5ElNS0_10empty_typeEbEEZZNS1_14partition_implILS5_5ELb0ES3_mN6hipcub16HIPCUB_304000_NS21CountingInputIteratorIllEEPS6_NSA_22TransformInputIteratorIb7NonZeroIfEPflEENS0_5tupleIJPlS6_EEENSJ_IJSD_SD_EEES6_SK_JS6_EEE10hipError_tPvRmT3_T4_T5_T6_T7_T9_mT8_P12ihipStream_tbDpT10_ENKUlT_T0_E_clISt17integral_constantIbLb0EES15_IbLb1EEEEDaS11_S12_EUlS11_E_NS1_11comp_targetILNS1_3genE9ELNS1_11target_archE1100ELNS1_3gpuE3ELNS1_3repE0EEENS1_30default_config_static_selectorELNS0_4arch9wavefront6targetE0EEEvT1_.kd
    .uniform_work_group_size: 1
    .uses_dynamic_stack: false
    .vgpr_count:     57
    .vgpr_spill_count: 0
    .wavefront_size: 32
    .workgroup_processor_mode: 1
  - .args:
      - .offset:         0
        .size:           136
        .value_kind:     by_value
    .group_segment_fixed_size: 0
    .kernarg_segment_align: 8
    .kernarg_segment_size: 136
    .language:       OpenCL C
    .language_version:
      - 2
      - 0
    .max_flat_workgroup_size: 512
    .name:           _ZN7rocprim17ROCPRIM_400000_NS6detail17trampoline_kernelINS0_14default_configENS1_25partition_config_selectorILNS1_17partition_subalgoE5ElNS0_10empty_typeEbEEZZNS1_14partition_implILS5_5ELb0ES3_mN6hipcub16HIPCUB_304000_NS21CountingInputIteratorIllEEPS6_NSA_22TransformInputIteratorIb7NonZeroIfEPflEENS0_5tupleIJPlS6_EEENSJ_IJSD_SD_EEES6_SK_JS6_EEE10hipError_tPvRmT3_T4_T5_T6_T7_T9_mT8_P12ihipStream_tbDpT10_ENKUlT_T0_E_clISt17integral_constantIbLb0EES15_IbLb1EEEEDaS11_S12_EUlS11_E_NS1_11comp_targetILNS1_3genE8ELNS1_11target_archE1030ELNS1_3gpuE2ELNS1_3repE0EEENS1_30default_config_static_selectorELNS0_4arch9wavefront6targetE0EEEvT1_
    .private_segment_fixed_size: 0
    .sgpr_count:     0
    .sgpr_spill_count: 0
    .symbol:         _ZN7rocprim17ROCPRIM_400000_NS6detail17trampoline_kernelINS0_14default_configENS1_25partition_config_selectorILNS1_17partition_subalgoE5ElNS0_10empty_typeEbEEZZNS1_14partition_implILS5_5ELb0ES3_mN6hipcub16HIPCUB_304000_NS21CountingInputIteratorIllEEPS6_NSA_22TransformInputIteratorIb7NonZeroIfEPflEENS0_5tupleIJPlS6_EEENSJ_IJSD_SD_EEES6_SK_JS6_EEE10hipError_tPvRmT3_T4_T5_T6_T7_T9_mT8_P12ihipStream_tbDpT10_ENKUlT_T0_E_clISt17integral_constantIbLb0EES15_IbLb1EEEEDaS11_S12_EUlS11_E_NS1_11comp_targetILNS1_3genE8ELNS1_11target_archE1030ELNS1_3gpuE2ELNS1_3repE0EEENS1_30default_config_static_selectorELNS0_4arch9wavefront6targetE0EEEvT1_.kd
    .uniform_work_group_size: 1
    .uses_dynamic_stack: false
    .vgpr_count:     0
    .vgpr_spill_count: 0
    .wavefront_size: 32
    .workgroup_processor_mode: 1
  - .args:
      - .offset:         0
        .size:           64
        .value_kind:     by_value
    .group_segment_fixed_size: 0
    .kernarg_segment_align: 8
    .kernarg_segment_size: 64
    .language:       OpenCL C
    .language_version:
      - 2
      - 0
    .max_flat_workgroup_size: 256
    .name:           _ZN7rocprim17ROCPRIM_400000_NS6detail17trampoline_kernelINS0_14default_configENS1_22reduce_config_selectorIlEEZNS1_11reduce_implILb1ES3_PlS7_lN6hipcub16HIPCUB_304000_NS6detail34convert_binary_result_type_wrapperINS9_3SumENS9_22TransformInputIteratorIb7NonZeroIdEPdlEElEEEE10hipError_tPvRmT1_T2_T3_mT4_P12ihipStream_tbEUlT_E0_NS1_11comp_targetILNS1_3genE0ELNS1_11target_archE4294967295ELNS1_3gpuE0ELNS1_3repE0EEENS1_30default_config_static_selectorELNS0_4arch9wavefront6targetE0EEEvSM_
    .private_segment_fixed_size: 0
    .sgpr_count:     0
    .sgpr_spill_count: 0
    .symbol:         _ZN7rocprim17ROCPRIM_400000_NS6detail17trampoline_kernelINS0_14default_configENS1_22reduce_config_selectorIlEEZNS1_11reduce_implILb1ES3_PlS7_lN6hipcub16HIPCUB_304000_NS6detail34convert_binary_result_type_wrapperINS9_3SumENS9_22TransformInputIteratorIb7NonZeroIdEPdlEElEEEE10hipError_tPvRmT1_T2_T3_mT4_P12ihipStream_tbEUlT_E0_NS1_11comp_targetILNS1_3genE0ELNS1_11target_archE4294967295ELNS1_3gpuE0ELNS1_3repE0EEENS1_30default_config_static_selectorELNS0_4arch9wavefront6targetE0EEEvSM_.kd
    .uniform_work_group_size: 1
    .uses_dynamic_stack: false
    .vgpr_count:     0
    .vgpr_spill_count: 0
    .wavefront_size: 32
    .workgroup_processor_mode: 1
  - .args:
      - .offset:         0
        .size:           64
        .value_kind:     by_value
    .group_segment_fixed_size: 0
    .kernarg_segment_align: 8
    .kernarg_segment_size: 64
    .language:       OpenCL C
    .language_version:
      - 2
      - 0
    .max_flat_workgroup_size: 256
    .name:           _ZN7rocprim17ROCPRIM_400000_NS6detail17trampoline_kernelINS0_14default_configENS1_22reduce_config_selectorIlEEZNS1_11reduce_implILb1ES3_PlS7_lN6hipcub16HIPCUB_304000_NS6detail34convert_binary_result_type_wrapperINS9_3SumENS9_22TransformInputIteratorIb7NonZeroIdEPdlEElEEEE10hipError_tPvRmT1_T2_T3_mT4_P12ihipStream_tbEUlT_E0_NS1_11comp_targetILNS1_3genE5ELNS1_11target_archE942ELNS1_3gpuE9ELNS1_3repE0EEENS1_30default_config_static_selectorELNS0_4arch9wavefront6targetE0EEEvSM_
    .private_segment_fixed_size: 0
    .sgpr_count:     0
    .sgpr_spill_count: 0
    .symbol:         _ZN7rocprim17ROCPRIM_400000_NS6detail17trampoline_kernelINS0_14default_configENS1_22reduce_config_selectorIlEEZNS1_11reduce_implILb1ES3_PlS7_lN6hipcub16HIPCUB_304000_NS6detail34convert_binary_result_type_wrapperINS9_3SumENS9_22TransformInputIteratorIb7NonZeroIdEPdlEElEEEE10hipError_tPvRmT1_T2_T3_mT4_P12ihipStream_tbEUlT_E0_NS1_11comp_targetILNS1_3genE5ELNS1_11target_archE942ELNS1_3gpuE9ELNS1_3repE0EEENS1_30default_config_static_selectorELNS0_4arch9wavefront6targetE0EEEvSM_.kd
    .uniform_work_group_size: 1
    .uses_dynamic_stack: false
    .vgpr_count:     0
    .vgpr_spill_count: 0
    .wavefront_size: 32
    .workgroup_processor_mode: 1
  - .args:
      - .offset:         0
        .size:           64
        .value_kind:     by_value
    .group_segment_fixed_size: 0
    .kernarg_segment_align: 8
    .kernarg_segment_size: 64
    .language:       OpenCL C
    .language_version:
      - 2
      - 0
    .max_flat_workgroup_size: 256
    .name:           _ZN7rocprim17ROCPRIM_400000_NS6detail17trampoline_kernelINS0_14default_configENS1_22reduce_config_selectorIlEEZNS1_11reduce_implILb1ES3_PlS7_lN6hipcub16HIPCUB_304000_NS6detail34convert_binary_result_type_wrapperINS9_3SumENS9_22TransformInputIteratorIb7NonZeroIdEPdlEElEEEE10hipError_tPvRmT1_T2_T3_mT4_P12ihipStream_tbEUlT_E0_NS1_11comp_targetILNS1_3genE4ELNS1_11target_archE910ELNS1_3gpuE8ELNS1_3repE0EEENS1_30default_config_static_selectorELNS0_4arch9wavefront6targetE0EEEvSM_
    .private_segment_fixed_size: 0
    .sgpr_count:     0
    .sgpr_spill_count: 0
    .symbol:         _ZN7rocprim17ROCPRIM_400000_NS6detail17trampoline_kernelINS0_14default_configENS1_22reduce_config_selectorIlEEZNS1_11reduce_implILb1ES3_PlS7_lN6hipcub16HIPCUB_304000_NS6detail34convert_binary_result_type_wrapperINS9_3SumENS9_22TransformInputIteratorIb7NonZeroIdEPdlEElEEEE10hipError_tPvRmT1_T2_T3_mT4_P12ihipStream_tbEUlT_E0_NS1_11comp_targetILNS1_3genE4ELNS1_11target_archE910ELNS1_3gpuE8ELNS1_3repE0EEENS1_30default_config_static_selectorELNS0_4arch9wavefront6targetE0EEEvSM_.kd
    .uniform_work_group_size: 1
    .uses_dynamic_stack: false
    .vgpr_count:     0
    .vgpr_spill_count: 0
    .wavefront_size: 32
    .workgroup_processor_mode: 1
  - .args:
      - .offset:         0
        .size:           64
        .value_kind:     by_value
    .group_segment_fixed_size: 0
    .kernarg_segment_align: 8
    .kernarg_segment_size: 64
    .language:       OpenCL C
    .language_version:
      - 2
      - 0
    .max_flat_workgroup_size: 256
    .name:           _ZN7rocprim17ROCPRIM_400000_NS6detail17trampoline_kernelINS0_14default_configENS1_22reduce_config_selectorIlEEZNS1_11reduce_implILb1ES3_PlS7_lN6hipcub16HIPCUB_304000_NS6detail34convert_binary_result_type_wrapperINS9_3SumENS9_22TransformInputIteratorIb7NonZeroIdEPdlEElEEEE10hipError_tPvRmT1_T2_T3_mT4_P12ihipStream_tbEUlT_E0_NS1_11comp_targetILNS1_3genE3ELNS1_11target_archE908ELNS1_3gpuE7ELNS1_3repE0EEENS1_30default_config_static_selectorELNS0_4arch9wavefront6targetE0EEEvSM_
    .private_segment_fixed_size: 0
    .sgpr_count:     0
    .sgpr_spill_count: 0
    .symbol:         _ZN7rocprim17ROCPRIM_400000_NS6detail17trampoline_kernelINS0_14default_configENS1_22reduce_config_selectorIlEEZNS1_11reduce_implILb1ES3_PlS7_lN6hipcub16HIPCUB_304000_NS6detail34convert_binary_result_type_wrapperINS9_3SumENS9_22TransformInputIteratorIb7NonZeroIdEPdlEElEEEE10hipError_tPvRmT1_T2_T3_mT4_P12ihipStream_tbEUlT_E0_NS1_11comp_targetILNS1_3genE3ELNS1_11target_archE908ELNS1_3gpuE7ELNS1_3repE0EEENS1_30default_config_static_selectorELNS0_4arch9wavefront6targetE0EEEvSM_.kd
    .uniform_work_group_size: 1
    .uses_dynamic_stack: false
    .vgpr_count:     0
    .vgpr_spill_count: 0
    .wavefront_size: 32
    .workgroup_processor_mode: 1
  - .args:
      - .offset:         0
        .size:           64
        .value_kind:     by_value
    .group_segment_fixed_size: 0
    .kernarg_segment_align: 8
    .kernarg_segment_size: 64
    .language:       OpenCL C
    .language_version:
      - 2
      - 0
    .max_flat_workgroup_size: 256
    .name:           _ZN7rocprim17ROCPRIM_400000_NS6detail17trampoline_kernelINS0_14default_configENS1_22reduce_config_selectorIlEEZNS1_11reduce_implILb1ES3_PlS7_lN6hipcub16HIPCUB_304000_NS6detail34convert_binary_result_type_wrapperINS9_3SumENS9_22TransformInputIteratorIb7NonZeroIdEPdlEElEEEE10hipError_tPvRmT1_T2_T3_mT4_P12ihipStream_tbEUlT_E0_NS1_11comp_targetILNS1_3genE2ELNS1_11target_archE906ELNS1_3gpuE6ELNS1_3repE0EEENS1_30default_config_static_selectorELNS0_4arch9wavefront6targetE0EEEvSM_
    .private_segment_fixed_size: 0
    .sgpr_count:     0
    .sgpr_spill_count: 0
    .symbol:         _ZN7rocprim17ROCPRIM_400000_NS6detail17trampoline_kernelINS0_14default_configENS1_22reduce_config_selectorIlEEZNS1_11reduce_implILb1ES3_PlS7_lN6hipcub16HIPCUB_304000_NS6detail34convert_binary_result_type_wrapperINS9_3SumENS9_22TransformInputIteratorIb7NonZeroIdEPdlEElEEEE10hipError_tPvRmT1_T2_T3_mT4_P12ihipStream_tbEUlT_E0_NS1_11comp_targetILNS1_3genE2ELNS1_11target_archE906ELNS1_3gpuE6ELNS1_3repE0EEENS1_30default_config_static_selectorELNS0_4arch9wavefront6targetE0EEEvSM_.kd
    .uniform_work_group_size: 1
    .uses_dynamic_stack: false
    .vgpr_count:     0
    .vgpr_spill_count: 0
    .wavefront_size: 32
    .workgroup_processor_mode: 1
  - .args:
      - .offset:         0
        .size:           64
        .value_kind:     by_value
    .group_segment_fixed_size: 0
    .kernarg_segment_align: 8
    .kernarg_segment_size: 64
    .language:       OpenCL C
    .language_version:
      - 2
      - 0
    .max_flat_workgroup_size: 256
    .name:           _ZN7rocprim17ROCPRIM_400000_NS6detail17trampoline_kernelINS0_14default_configENS1_22reduce_config_selectorIlEEZNS1_11reduce_implILb1ES3_PlS7_lN6hipcub16HIPCUB_304000_NS6detail34convert_binary_result_type_wrapperINS9_3SumENS9_22TransformInputIteratorIb7NonZeroIdEPdlEElEEEE10hipError_tPvRmT1_T2_T3_mT4_P12ihipStream_tbEUlT_E0_NS1_11comp_targetILNS1_3genE10ELNS1_11target_archE1201ELNS1_3gpuE5ELNS1_3repE0EEENS1_30default_config_static_selectorELNS0_4arch9wavefront6targetE0EEEvSM_
    .private_segment_fixed_size: 0
    .sgpr_count:     0
    .sgpr_spill_count: 0
    .symbol:         _ZN7rocprim17ROCPRIM_400000_NS6detail17trampoline_kernelINS0_14default_configENS1_22reduce_config_selectorIlEEZNS1_11reduce_implILb1ES3_PlS7_lN6hipcub16HIPCUB_304000_NS6detail34convert_binary_result_type_wrapperINS9_3SumENS9_22TransformInputIteratorIb7NonZeroIdEPdlEElEEEE10hipError_tPvRmT1_T2_T3_mT4_P12ihipStream_tbEUlT_E0_NS1_11comp_targetILNS1_3genE10ELNS1_11target_archE1201ELNS1_3gpuE5ELNS1_3repE0EEENS1_30default_config_static_selectorELNS0_4arch9wavefront6targetE0EEEvSM_.kd
    .uniform_work_group_size: 1
    .uses_dynamic_stack: false
    .vgpr_count:     0
    .vgpr_spill_count: 0
    .wavefront_size: 32
    .workgroup_processor_mode: 1
  - .args:
      - .offset:         0
        .size:           64
        .value_kind:     by_value
    .group_segment_fixed_size: 0
    .kernarg_segment_align: 8
    .kernarg_segment_size: 64
    .language:       OpenCL C
    .language_version:
      - 2
      - 0
    .max_flat_workgroup_size: 256
    .name:           _ZN7rocprim17ROCPRIM_400000_NS6detail17trampoline_kernelINS0_14default_configENS1_22reduce_config_selectorIlEEZNS1_11reduce_implILb1ES3_PlS7_lN6hipcub16HIPCUB_304000_NS6detail34convert_binary_result_type_wrapperINS9_3SumENS9_22TransformInputIteratorIb7NonZeroIdEPdlEElEEEE10hipError_tPvRmT1_T2_T3_mT4_P12ihipStream_tbEUlT_E0_NS1_11comp_targetILNS1_3genE10ELNS1_11target_archE1200ELNS1_3gpuE4ELNS1_3repE0EEENS1_30default_config_static_selectorELNS0_4arch9wavefront6targetE0EEEvSM_
    .private_segment_fixed_size: 0
    .sgpr_count:     0
    .sgpr_spill_count: 0
    .symbol:         _ZN7rocprim17ROCPRIM_400000_NS6detail17trampoline_kernelINS0_14default_configENS1_22reduce_config_selectorIlEEZNS1_11reduce_implILb1ES3_PlS7_lN6hipcub16HIPCUB_304000_NS6detail34convert_binary_result_type_wrapperINS9_3SumENS9_22TransformInputIteratorIb7NonZeroIdEPdlEElEEEE10hipError_tPvRmT1_T2_T3_mT4_P12ihipStream_tbEUlT_E0_NS1_11comp_targetILNS1_3genE10ELNS1_11target_archE1200ELNS1_3gpuE4ELNS1_3repE0EEENS1_30default_config_static_selectorELNS0_4arch9wavefront6targetE0EEEvSM_.kd
    .uniform_work_group_size: 1
    .uses_dynamic_stack: false
    .vgpr_count:     0
    .vgpr_spill_count: 0
    .wavefront_size: 32
    .workgroup_processor_mode: 1
  - .args:
      - .offset:         0
        .size:           64
        .value_kind:     by_value
    .group_segment_fixed_size: 128
    .kernarg_segment_align: 8
    .kernarg_segment_size: 64
    .language:       OpenCL C
    .language_version:
      - 2
      - 0
    .max_flat_workgroup_size: 256
    .name:           _ZN7rocprim17ROCPRIM_400000_NS6detail17trampoline_kernelINS0_14default_configENS1_22reduce_config_selectorIlEEZNS1_11reduce_implILb1ES3_PlS7_lN6hipcub16HIPCUB_304000_NS6detail34convert_binary_result_type_wrapperINS9_3SumENS9_22TransformInputIteratorIb7NonZeroIdEPdlEElEEEE10hipError_tPvRmT1_T2_T3_mT4_P12ihipStream_tbEUlT_E0_NS1_11comp_targetILNS1_3genE9ELNS1_11target_archE1100ELNS1_3gpuE3ELNS1_3repE0EEENS1_30default_config_static_selectorELNS0_4arch9wavefront6targetE0EEEvSM_
    .private_segment_fixed_size: 0
    .sgpr_count:     22
    .sgpr_spill_count: 0
    .symbol:         _ZN7rocprim17ROCPRIM_400000_NS6detail17trampoline_kernelINS0_14default_configENS1_22reduce_config_selectorIlEEZNS1_11reduce_implILb1ES3_PlS7_lN6hipcub16HIPCUB_304000_NS6detail34convert_binary_result_type_wrapperINS9_3SumENS9_22TransformInputIteratorIb7NonZeroIdEPdlEElEEEE10hipError_tPvRmT1_T2_T3_mT4_P12ihipStream_tbEUlT_E0_NS1_11comp_targetILNS1_3genE9ELNS1_11target_archE1100ELNS1_3gpuE3ELNS1_3repE0EEENS1_30default_config_static_selectorELNS0_4arch9wavefront6targetE0EEEvSM_.kd
    .uniform_work_group_size: 1
    .uses_dynamic_stack: false
    .vgpr_count:     12
    .vgpr_spill_count: 0
    .wavefront_size: 32
    .workgroup_processor_mode: 1
  - .args:
      - .offset:         0
        .size:           64
        .value_kind:     by_value
    .group_segment_fixed_size: 0
    .kernarg_segment_align: 8
    .kernarg_segment_size: 64
    .language:       OpenCL C
    .language_version:
      - 2
      - 0
    .max_flat_workgroup_size: 256
    .name:           _ZN7rocprim17ROCPRIM_400000_NS6detail17trampoline_kernelINS0_14default_configENS1_22reduce_config_selectorIlEEZNS1_11reduce_implILb1ES3_PlS7_lN6hipcub16HIPCUB_304000_NS6detail34convert_binary_result_type_wrapperINS9_3SumENS9_22TransformInputIteratorIb7NonZeroIdEPdlEElEEEE10hipError_tPvRmT1_T2_T3_mT4_P12ihipStream_tbEUlT_E0_NS1_11comp_targetILNS1_3genE8ELNS1_11target_archE1030ELNS1_3gpuE2ELNS1_3repE0EEENS1_30default_config_static_selectorELNS0_4arch9wavefront6targetE0EEEvSM_
    .private_segment_fixed_size: 0
    .sgpr_count:     0
    .sgpr_spill_count: 0
    .symbol:         _ZN7rocprim17ROCPRIM_400000_NS6detail17trampoline_kernelINS0_14default_configENS1_22reduce_config_selectorIlEEZNS1_11reduce_implILb1ES3_PlS7_lN6hipcub16HIPCUB_304000_NS6detail34convert_binary_result_type_wrapperINS9_3SumENS9_22TransformInputIteratorIb7NonZeroIdEPdlEElEEEE10hipError_tPvRmT1_T2_T3_mT4_P12ihipStream_tbEUlT_E0_NS1_11comp_targetILNS1_3genE8ELNS1_11target_archE1030ELNS1_3gpuE2ELNS1_3repE0EEENS1_30default_config_static_selectorELNS0_4arch9wavefront6targetE0EEEvSM_.kd
    .uniform_work_group_size: 1
    .uses_dynamic_stack: false
    .vgpr_count:     0
    .vgpr_spill_count: 0
    .wavefront_size: 32
    .workgroup_processor_mode: 1
  - .args:
      - .offset:         0
        .size:           48
        .value_kind:     by_value
    .group_segment_fixed_size: 0
    .kernarg_segment_align: 8
    .kernarg_segment_size: 48
    .language:       OpenCL C
    .language_version:
      - 2
      - 0
    .max_flat_workgroup_size: 256
    .name:           _ZN7rocprim17ROCPRIM_400000_NS6detail17trampoline_kernelINS0_14default_configENS1_22reduce_config_selectorIlEEZNS1_11reduce_implILb1ES3_PlS7_lN6hipcub16HIPCUB_304000_NS6detail34convert_binary_result_type_wrapperINS9_3SumENS9_22TransformInputIteratorIb7NonZeroIdEPdlEElEEEE10hipError_tPvRmT1_T2_T3_mT4_P12ihipStream_tbEUlT_E1_NS1_11comp_targetILNS1_3genE0ELNS1_11target_archE4294967295ELNS1_3gpuE0ELNS1_3repE0EEENS1_30default_config_static_selectorELNS0_4arch9wavefront6targetE0EEEvSM_
    .private_segment_fixed_size: 0
    .sgpr_count:     0
    .sgpr_spill_count: 0
    .symbol:         _ZN7rocprim17ROCPRIM_400000_NS6detail17trampoline_kernelINS0_14default_configENS1_22reduce_config_selectorIlEEZNS1_11reduce_implILb1ES3_PlS7_lN6hipcub16HIPCUB_304000_NS6detail34convert_binary_result_type_wrapperINS9_3SumENS9_22TransformInputIteratorIb7NonZeroIdEPdlEElEEEE10hipError_tPvRmT1_T2_T3_mT4_P12ihipStream_tbEUlT_E1_NS1_11comp_targetILNS1_3genE0ELNS1_11target_archE4294967295ELNS1_3gpuE0ELNS1_3repE0EEENS1_30default_config_static_selectorELNS0_4arch9wavefront6targetE0EEEvSM_.kd
    .uniform_work_group_size: 1
    .uses_dynamic_stack: false
    .vgpr_count:     0
    .vgpr_spill_count: 0
    .wavefront_size: 32
    .workgroup_processor_mode: 1
  - .args:
      - .offset:         0
        .size:           48
        .value_kind:     by_value
    .group_segment_fixed_size: 0
    .kernarg_segment_align: 8
    .kernarg_segment_size: 48
    .language:       OpenCL C
    .language_version:
      - 2
      - 0
    .max_flat_workgroup_size: 256
    .name:           _ZN7rocprim17ROCPRIM_400000_NS6detail17trampoline_kernelINS0_14default_configENS1_22reduce_config_selectorIlEEZNS1_11reduce_implILb1ES3_PlS7_lN6hipcub16HIPCUB_304000_NS6detail34convert_binary_result_type_wrapperINS9_3SumENS9_22TransformInputIteratorIb7NonZeroIdEPdlEElEEEE10hipError_tPvRmT1_T2_T3_mT4_P12ihipStream_tbEUlT_E1_NS1_11comp_targetILNS1_3genE5ELNS1_11target_archE942ELNS1_3gpuE9ELNS1_3repE0EEENS1_30default_config_static_selectorELNS0_4arch9wavefront6targetE0EEEvSM_
    .private_segment_fixed_size: 0
    .sgpr_count:     0
    .sgpr_spill_count: 0
    .symbol:         _ZN7rocprim17ROCPRIM_400000_NS6detail17trampoline_kernelINS0_14default_configENS1_22reduce_config_selectorIlEEZNS1_11reduce_implILb1ES3_PlS7_lN6hipcub16HIPCUB_304000_NS6detail34convert_binary_result_type_wrapperINS9_3SumENS9_22TransformInputIteratorIb7NonZeroIdEPdlEElEEEE10hipError_tPvRmT1_T2_T3_mT4_P12ihipStream_tbEUlT_E1_NS1_11comp_targetILNS1_3genE5ELNS1_11target_archE942ELNS1_3gpuE9ELNS1_3repE0EEENS1_30default_config_static_selectorELNS0_4arch9wavefront6targetE0EEEvSM_.kd
    .uniform_work_group_size: 1
    .uses_dynamic_stack: false
    .vgpr_count:     0
    .vgpr_spill_count: 0
    .wavefront_size: 32
    .workgroup_processor_mode: 1
  - .args:
      - .offset:         0
        .size:           48
        .value_kind:     by_value
    .group_segment_fixed_size: 0
    .kernarg_segment_align: 8
    .kernarg_segment_size: 48
    .language:       OpenCL C
    .language_version:
      - 2
      - 0
    .max_flat_workgroup_size: 256
    .name:           _ZN7rocprim17ROCPRIM_400000_NS6detail17trampoline_kernelINS0_14default_configENS1_22reduce_config_selectorIlEEZNS1_11reduce_implILb1ES3_PlS7_lN6hipcub16HIPCUB_304000_NS6detail34convert_binary_result_type_wrapperINS9_3SumENS9_22TransformInputIteratorIb7NonZeroIdEPdlEElEEEE10hipError_tPvRmT1_T2_T3_mT4_P12ihipStream_tbEUlT_E1_NS1_11comp_targetILNS1_3genE4ELNS1_11target_archE910ELNS1_3gpuE8ELNS1_3repE0EEENS1_30default_config_static_selectorELNS0_4arch9wavefront6targetE0EEEvSM_
    .private_segment_fixed_size: 0
    .sgpr_count:     0
    .sgpr_spill_count: 0
    .symbol:         _ZN7rocprim17ROCPRIM_400000_NS6detail17trampoline_kernelINS0_14default_configENS1_22reduce_config_selectorIlEEZNS1_11reduce_implILb1ES3_PlS7_lN6hipcub16HIPCUB_304000_NS6detail34convert_binary_result_type_wrapperINS9_3SumENS9_22TransformInputIteratorIb7NonZeroIdEPdlEElEEEE10hipError_tPvRmT1_T2_T3_mT4_P12ihipStream_tbEUlT_E1_NS1_11comp_targetILNS1_3genE4ELNS1_11target_archE910ELNS1_3gpuE8ELNS1_3repE0EEENS1_30default_config_static_selectorELNS0_4arch9wavefront6targetE0EEEvSM_.kd
    .uniform_work_group_size: 1
    .uses_dynamic_stack: false
    .vgpr_count:     0
    .vgpr_spill_count: 0
    .wavefront_size: 32
    .workgroup_processor_mode: 1
  - .args:
      - .offset:         0
        .size:           48
        .value_kind:     by_value
    .group_segment_fixed_size: 0
    .kernarg_segment_align: 8
    .kernarg_segment_size: 48
    .language:       OpenCL C
    .language_version:
      - 2
      - 0
    .max_flat_workgroup_size: 256
    .name:           _ZN7rocprim17ROCPRIM_400000_NS6detail17trampoline_kernelINS0_14default_configENS1_22reduce_config_selectorIlEEZNS1_11reduce_implILb1ES3_PlS7_lN6hipcub16HIPCUB_304000_NS6detail34convert_binary_result_type_wrapperINS9_3SumENS9_22TransformInputIteratorIb7NonZeroIdEPdlEElEEEE10hipError_tPvRmT1_T2_T3_mT4_P12ihipStream_tbEUlT_E1_NS1_11comp_targetILNS1_3genE3ELNS1_11target_archE908ELNS1_3gpuE7ELNS1_3repE0EEENS1_30default_config_static_selectorELNS0_4arch9wavefront6targetE0EEEvSM_
    .private_segment_fixed_size: 0
    .sgpr_count:     0
    .sgpr_spill_count: 0
    .symbol:         _ZN7rocprim17ROCPRIM_400000_NS6detail17trampoline_kernelINS0_14default_configENS1_22reduce_config_selectorIlEEZNS1_11reduce_implILb1ES3_PlS7_lN6hipcub16HIPCUB_304000_NS6detail34convert_binary_result_type_wrapperINS9_3SumENS9_22TransformInputIteratorIb7NonZeroIdEPdlEElEEEE10hipError_tPvRmT1_T2_T3_mT4_P12ihipStream_tbEUlT_E1_NS1_11comp_targetILNS1_3genE3ELNS1_11target_archE908ELNS1_3gpuE7ELNS1_3repE0EEENS1_30default_config_static_selectorELNS0_4arch9wavefront6targetE0EEEvSM_.kd
    .uniform_work_group_size: 1
    .uses_dynamic_stack: false
    .vgpr_count:     0
    .vgpr_spill_count: 0
    .wavefront_size: 32
    .workgroup_processor_mode: 1
  - .args:
      - .offset:         0
        .size:           48
        .value_kind:     by_value
    .group_segment_fixed_size: 0
    .kernarg_segment_align: 8
    .kernarg_segment_size: 48
    .language:       OpenCL C
    .language_version:
      - 2
      - 0
    .max_flat_workgroup_size: 256
    .name:           _ZN7rocprim17ROCPRIM_400000_NS6detail17trampoline_kernelINS0_14default_configENS1_22reduce_config_selectorIlEEZNS1_11reduce_implILb1ES3_PlS7_lN6hipcub16HIPCUB_304000_NS6detail34convert_binary_result_type_wrapperINS9_3SumENS9_22TransformInputIteratorIb7NonZeroIdEPdlEElEEEE10hipError_tPvRmT1_T2_T3_mT4_P12ihipStream_tbEUlT_E1_NS1_11comp_targetILNS1_3genE2ELNS1_11target_archE906ELNS1_3gpuE6ELNS1_3repE0EEENS1_30default_config_static_selectorELNS0_4arch9wavefront6targetE0EEEvSM_
    .private_segment_fixed_size: 0
    .sgpr_count:     0
    .sgpr_spill_count: 0
    .symbol:         _ZN7rocprim17ROCPRIM_400000_NS6detail17trampoline_kernelINS0_14default_configENS1_22reduce_config_selectorIlEEZNS1_11reduce_implILb1ES3_PlS7_lN6hipcub16HIPCUB_304000_NS6detail34convert_binary_result_type_wrapperINS9_3SumENS9_22TransformInputIteratorIb7NonZeroIdEPdlEElEEEE10hipError_tPvRmT1_T2_T3_mT4_P12ihipStream_tbEUlT_E1_NS1_11comp_targetILNS1_3genE2ELNS1_11target_archE906ELNS1_3gpuE6ELNS1_3repE0EEENS1_30default_config_static_selectorELNS0_4arch9wavefront6targetE0EEEvSM_.kd
    .uniform_work_group_size: 1
    .uses_dynamic_stack: false
    .vgpr_count:     0
    .vgpr_spill_count: 0
    .wavefront_size: 32
    .workgroup_processor_mode: 1
  - .args:
      - .offset:         0
        .size:           48
        .value_kind:     by_value
    .group_segment_fixed_size: 0
    .kernarg_segment_align: 8
    .kernarg_segment_size: 48
    .language:       OpenCL C
    .language_version:
      - 2
      - 0
    .max_flat_workgroup_size: 256
    .name:           _ZN7rocprim17ROCPRIM_400000_NS6detail17trampoline_kernelINS0_14default_configENS1_22reduce_config_selectorIlEEZNS1_11reduce_implILb1ES3_PlS7_lN6hipcub16HIPCUB_304000_NS6detail34convert_binary_result_type_wrapperINS9_3SumENS9_22TransformInputIteratorIb7NonZeroIdEPdlEElEEEE10hipError_tPvRmT1_T2_T3_mT4_P12ihipStream_tbEUlT_E1_NS1_11comp_targetILNS1_3genE10ELNS1_11target_archE1201ELNS1_3gpuE5ELNS1_3repE0EEENS1_30default_config_static_selectorELNS0_4arch9wavefront6targetE0EEEvSM_
    .private_segment_fixed_size: 0
    .sgpr_count:     0
    .sgpr_spill_count: 0
    .symbol:         _ZN7rocprim17ROCPRIM_400000_NS6detail17trampoline_kernelINS0_14default_configENS1_22reduce_config_selectorIlEEZNS1_11reduce_implILb1ES3_PlS7_lN6hipcub16HIPCUB_304000_NS6detail34convert_binary_result_type_wrapperINS9_3SumENS9_22TransformInputIteratorIb7NonZeroIdEPdlEElEEEE10hipError_tPvRmT1_T2_T3_mT4_P12ihipStream_tbEUlT_E1_NS1_11comp_targetILNS1_3genE10ELNS1_11target_archE1201ELNS1_3gpuE5ELNS1_3repE0EEENS1_30default_config_static_selectorELNS0_4arch9wavefront6targetE0EEEvSM_.kd
    .uniform_work_group_size: 1
    .uses_dynamic_stack: false
    .vgpr_count:     0
    .vgpr_spill_count: 0
    .wavefront_size: 32
    .workgroup_processor_mode: 1
  - .args:
      - .offset:         0
        .size:           48
        .value_kind:     by_value
    .group_segment_fixed_size: 0
    .kernarg_segment_align: 8
    .kernarg_segment_size: 48
    .language:       OpenCL C
    .language_version:
      - 2
      - 0
    .max_flat_workgroup_size: 256
    .name:           _ZN7rocprim17ROCPRIM_400000_NS6detail17trampoline_kernelINS0_14default_configENS1_22reduce_config_selectorIlEEZNS1_11reduce_implILb1ES3_PlS7_lN6hipcub16HIPCUB_304000_NS6detail34convert_binary_result_type_wrapperINS9_3SumENS9_22TransformInputIteratorIb7NonZeroIdEPdlEElEEEE10hipError_tPvRmT1_T2_T3_mT4_P12ihipStream_tbEUlT_E1_NS1_11comp_targetILNS1_3genE10ELNS1_11target_archE1200ELNS1_3gpuE4ELNS1_3repE0EEENS1_30default_config_static_selectorELNS0_4arch9wavefront6targetE0EEEvSM_
    .private_segment_fixed_size: 0
    .sgpr_count:     0
    .sgpr_spill_count: 0
    .symbol:         _ZN7rocprim17ROCPRIM_400000_NS6detail17trampoline_kernelINS0_14default_configENS1_22reduce_config_selectorIlEEZNS1_11reduce_implILb1ES3_PlS7_lN6hipcub16HIPCUB_304000_NS6detail34convert_binary_result_type_wrapperINS9_3SumENS9_22TransformInputIteratorIb7NonZeroIdEPdlEElEEEE10hipError_tPvRmT1_T2_T3_mT4_P12ihipStream_tbEUlT_E1_NS1_11comp_targetILNS1_3genE10ELNS1_11target_archE1200ELNS1_3gpuE4ELNS1_3repE0EEENS1_30default_config_static_selectorELNS0_4arch9wavefront6targetE0EEEvSM_.kd
    .uniform_work_group_size: 1
    .uses_dynamic_stack: false
    .vgpr_count:     0
    .vgpr_spill_count: 0
    .wavefront_size: 32
    .workgroup_processor_mode: 1
  - .args:
      - .offset:         0
        .size:           48
        .value_kind:     by_value
    .group_segment_fixed_size: 384
    .kernarg_segment_align: 8
    .kernarg_segment_size: 48
    .language:       OpenCL C
    .language_version:
      - 2
      - 0
    .max_flat_workgroup_size: 256
    .name:           _ZN7rocprim17ROCPRIM_400000_NS6detail17trampoline_kernelINS0_14default_configENS1_22reduce_config_selectorIlEEZNS1_11reduce_implILb1ES3_PlS7_lN6hipcub16HIPCUB_304000_NS6detail34convert_binary_result_type_wrapperINS9_3SumENS9_22TransformInputIteratorIb7NonZeroIdEPdlEElEEEE10hipError_tPvRmT1_T2_T3_mT4_P12ihipStream_tbEUlT_E1_NS1_11comp_targetILNS1_3genE9ELNS1_11target_archE1100ELNS1_3gpuE3ELNS1_3repE0EEENS1_30default_config_static_selectorELNS0_4arch9wavefront6targetE0EEEvSM_
    .private_segment_fixed_size: 0
    .sgpr_count:     32
    .sgpr_spill_count: 0
    .symbol:         _ZN7rocprim17ROCPRIM_400000_NS6detail17trampoline_kernelINS0_14default_configENS1_22reduce_config_selectorIlEEZNS1_11reduce_implILb1ES3_PlS7_lN6hipcub16HIPCUB_304000_NS6detail34convert_binary_result_type_wrapperINS9_3SumENS9_22TransformInputIteratorIb7NonZeroIdEPdlEElEEEE10hipError_tPvRmT1_T2_T3_mT4_P12ihipStream_tbEUlT_E1_NS1_11comp_targetILNS1_3genE9ELNS1_11target_archE1100ELNS1_3gpuE3ELNS1_3repE0EEENS1_30default_config_static_selectorELNS0_4arch9wavefront6targetE0EEEvSM_.kd
    .uniform_work_group_size: 1
    .uses_dynamic_stack: false
    .vgpr_count:     34
    .vgpr_spill_count: 0
    .wavefront_size: 32
    .workgroup_processor_mode: 1
  - .args:
      - .offset:         0
        .size:           48
        .value_kind:     by_value
    .group_segment_fixed_size: 0
    .kernarg_segment_align: 8
    .kernarg_segment_size: 48
    .language:       OpenCL C
    .language_version:
      - 2
      - 0
    .max_flat_workgroup_size: 256
    .name:           _ZN7rocprim17ROCPRIM_400000_NS6detail17trampoline_kernelINS0_14default_configENS1_22reduce_config_selectorIlEEZNS1_11reduce_implILb1ES3_PlS7_lN6hipcub16HIPCUB_304000_NS6detail34convert_binary_result_type_wrapperINS9_3SumENS9_22TransformInputIteratorIb7NonZeroIdEPdlEElEEEE10hipError_tPvRmT1_T2_T3_mT4_P12ihipStream_tbEUlT_E1_NS1_11comp_targetILNS1_3genE8ELNS1_11target_archE1030ELNS1_3gpuE2ELNS1_3repE0EEENS1_30default_config_static_selectorELNS0_4arch9wavefront6targetE0EEEvSM_
    .private_segment_fixed_size: 0
    .sgpr_count:     0
    .sgpr_spill_count: 0
    .symbol:         _ZN7rocprim17ROCPRIM_400000_NS6detail17trampoline_kernelINS0_14default_configENS1_22reduce_config_selectorIlEEZNS1_11reduce_implILb1ES3_PlS7_lN6hipcub16HIPCUB_304000_NS6detail34convert_binary_result_type_wrapperINS9_3SumENS9_22TransformInputIteratorIb7NonZeroIdEPdlEElEEEE10hipError_tPvRmT1_T2_T3_mT4_P12ihipStream_tbEUlT_E1_NS1_11comp_targetILNS1_3genE8ELNS1_11target_archE1030ELNS1_3gpuE2ELNS1_3repE0EEENS1_30default_config_static_selectorELNS0_4arch9wavefront6targetE0EEEvSM_.kd
    .uniform_work_group_size: 1
    .uses_dynamic_stack: false
    .vgpr_count:     0
    .vgpr_spill_count: 0
    .wavefront_size: 32
    .workgroup_processor_mode: 1
  - .args:
      - .offset:         0
        .size:           72
        .value_kind:     by_value
    .group_segment_fixed_size: 0
    .kernarg_segment_align: 8
    .kernarg_segment_size: 72
    .language:       OpenCL C
    .language_version:
      - 2
      - 0
    .max_flat_workgroup_size: 256
    .name:           _ZN7rocprim17ROCPRIM_400000_NS6detail17trampoline_kernelINS0_14default_configENS1_22reduce_config_selectorIbEEZNS1_11reduce_implILb1ES3_N6hipcub16HIPCUB_304000_NS22TransformInputIteratorIb7NonZeroIdEPdlEEPllNS8_6detail34convert_binary_result_type_wrapperINS8_3SumESD_lEEEE10hipError_tPvRmT1_T2_T3_mT4_P12ihipStream_tbEUlT_E0_NS1_11comp_targetILNS1_3genE0ELNS1_11target_archE4294967295ELNS1_3gpuE0ELNS1_3repE0EEENS1_30default_config_static_selectorELNS0_4arch9wavefront6targetE0EEEvSM_
    .private_segment_fixed_size: 0
    .sgpr_count:     0
    .sgpr_spill_count: 0
    .symbol:         _ZN7rocprim17ROCPRIM_400000_NS6detail17trampoline_kernelINS0_14default_configENS1_22reduce_config_selectorIbEEZNS1_11reduce_implILb1ES3_N6hipcub16HIPCUB_304000_NS22TransformInputIteratorIb7NonZeroIdEPdlEEPllNS8_6detail34convert_binary_result_type_wrapperINS8_3SumESD_lEEEE10hipError_tPvRmT1_T2_T3_mT4_P12ihipStream_tbEUlT_E0_NS1_11comp_targetILNS1_3genE0ELNS1_11target_archE4294967295ELNS1_3gpuE0ELNS1_3repE0EEENS1_30default_config_static_selectorELNS0_4arch9wavefront6targetE0EEEvSM_.kd
    .uniform_work_group_size: 1
    .uses_dynamic_stack: false
    .vgpr_count:     0
    .vgpr_spill_count: 0
    .wavefront_size: 32
    .workgroup_processor_mode: 1
  - .args:
      - .offset:         0
        .size:           72
        .value_kind:     by_value
    .group_segment_fixed_size: 0
    .kernarg_segment_align: 8
    .kernarg_segment_size: 72
    .language:       OpenCL C
    .language_version:
      - 2
      - 0
    .max_flat_workgroup_size: 256
    .name:           _ZN7rocprim17ROCPRIM_400000_NS6detail17trampoline_kernelINS0_14default_configENS1_22reduce_config_selectorIbEEZNS1_11reduce_implILb1ES3_N6hipcub16HIPCUB_304000_NS22TransformInputIteratorIb7NonZeroIdEPdlEEPllNS8_6detail34convert_binary_result_type_wrapperINS8_3SumESD_lEEEE10hipError_tPvRmT1_T2_T3_mT4_P12ihipStream_tbEUlT_E0_NS1_11comp_targetILNS1_3genE5ELNS1_11target_archE942ELNS1_3gpuE9ELNS1_3repE0EEENS1_30default_config_static_selectorELNS0_4arch9wavefront6targetE0EEEvSM_
    .private_segment_fixed_size: 0
    .sgpr_count:     0
    .sgpr_spill_count: 0
    .symbol:         _ZN7rocprim17ROCPRIM_400000_NS6detail17trampoline_kernelINS0_14default_configENS1_22reduce_config_selectorIbEEZNS1_11reduce_implILb1ES3_N6hipcub16HIPCUB_304000_NS22TransformInputIteratorIb7NonZeroIdEPdlEEPllNS8_6detail34convert_binary_result_type_wrapperINS8_3SumESD_lEEEE10hipError_tPvRmT1_T2_T3_mT4_P12ihipStream_tbEUlT_E0_NS1_11comp_targetILNS1_3genE5ELNS1_11target_archE942ELNS1_3gpuE9ELNS1_3repE0EEENS1_30default_config_static_selectorELNS0_4arch9wavefront6targetE0EEEvSM_.kd
    .uniform_work_group_size: 1
    .uses_dynamic_stack: false
    .vgpr_count:     0
    .vgpr_spill_count: 0
    .wavefront_size: 32
    .workgroup_processor_mode: 1
  - .args:
      - .offset:         0
        .size:           72
        .value_kind:     by_value
    .group_segment_fixed_size: 0
    .kernarg_segment_align: 8
    .kernarg_segment_size: 72
    .language:       OpenCL C
    .language_version:
      - 2
      - 0
    .max_flat_workgroup_size: 128
    .name:           _ZN7rocprim17ROCPRIM_400000_NS6detail17trampoline_kernelINS0_14default_configENS1_22reduce_config_selectorIbEEZNS1_11reduce_implILb1ES3_N6hipcub16HIPCUB_304000_NS22TransformInputIteratorIb7NonZeroIdEPdlEEPllNS8_6detail34convert_binary_result_type_wrapperINS8_3SumESD_lEEEE10hipError_tPvRmT1_T2_T3_mT4_P12ihipStream_tbEUlT_E0_NS1_11comp_targetILNS1_3genE4ELNS1_11target_archE910ELNS1_3gpuE8ELNS1_3repE0EEENS1_30default_config_static_selectorELNS0_4arch9wavefront6targetE0EEEvSM_
    .private_segment_fixed_size: 0
    .sgpr_count:     0
    .sgpr_spill_count: 0
    .symbol:         _ZN7rocprim17ROCPRIM_400000_NS6detail17trampoline_kernelINS0_14default_configENS1_22reduce_config_selectorIbEEZNS1_11reduce_implILb1ES3_N6hipcub16HIPCUB_304000_NS22TransformInputIteratorIb7NonZeroIdEPdlEEPllNS8_6detail34convert_binary_result_type_wrapperINS8_3SumESD_lEEEE10hipError_tPvRmT1_T2_T3_mT4_P12ihipStream_tbEUlT_E0_NS1_11comp_targetILNS1_3genE4ELNS1_11target_archE910ELNS1_3gpuE8ELNS1_3repE0EEENS1_30default_config_static_selectorELNS0_4arch9wavefront6targetE0EEEvSM_.kd
    .uniform_work_group_size: 1
    .uses_dynamic_stack: false
    .vgpr_count:     0
    .vgpr_spill_count: 0
    .wavefront_size: 32
    .workgroup_processor_mode: 1
  - .args:
      - .offset:         0
        .size:           72
        .value_kind:     by_value
    .group_segment_fixed_size: 0
    .kernarg_segment_align: 8
    .kernarg_segment_size: 72
    .language:       OpenCL C
    .language_version:
      - 2
      - 0
    .max_flat_workgroup_size: 256
    .name:           _ZN7rocprim17ROCPRIM_400000_NS6detail17trampoline_kernelINS0_14default_configENS1_22reduce_config_selectorIbEEZNS1_11reduce_implILb1ES3_N6hipcub16HIPCUB_304000_NS22TransformInputIteratorIb7NonZeroIdEPdlEEPllNS8_6detail34convert_binary_result_type_wrapperINS8_3SumESD_lEEEE10hipError_tPvRmT1_T2_T3_mT4_P12ihipStream_tbEUlT_E0_NS1_11comp_targetILNS1_3genE3ELNS1_11target_archE908ELNS1_3gpuE7ELNS1_3repE0EEENS1_30default_config_static_selectorELNS0_4arch9wavefront6targetE0EEEvSM_
    .private_segment_fixed_size: 0
    .sgpr_count:     0
    .sgpr_spill_count: 0
    .symbol:         _ZN7rocprim17ROCPRIM_400000_NS6detail17trampoline_kernelINS0_14default_configENS1_22reduce_config_selectorIbEEZNS1_11reduce_implILb1ES3_N6hipcub16HIPCUB_304000_NS22TransformInputIteratorIb7NonZeroIdEPdlEEPllNS8_6detail34convert_binary_result_type_wrapperINS8_3SumESD_lEEEE10hipError_tPvRmT1_T2_T3_mT4_P12ihipStream_tbEUlT_E0_NS1_11comp_targetILNS1_3genE3ELNS1_11target_archE908ELNS1_3gpuE7ELNS1_3repE0EEENS1_30default_config_static_selectorELNS0_4arch9wavefront6targetE0EEEvSM_.kd
    .uniform_work_group_size: 1
    .uses_dynamic_stack: false
    .vgpr_count:     0
    .vgpr_spill_count: 0
    .wavefront_size: 32
    .workgroup_processor_mode: 1
  - .args:
      - .offset:         0
        .size:           72
        .value_kind:     by_value
    .group_segment_fixed_size: 0
    .kernarg_segment_align: 8
    .kernarg_segment_size: 72
    .language:       OpenCL C
    .language_version:
      - 2
      - 0
    .max_flat_workgroup_size: 128
    .name:           _ZN7rocprim17ROCPRIM_400000_NS6detail17trampoline_kernelINS0_14default_configENS1_22reduce_config_selectorIbEEZNS1_11reduce_implILb1ES3_N6hipcub16HIPCUB_304000_NS22TransformInputIteratorIb7NonZeroIdEPdlEEPllNS8_6detail34convert_binary_result_type_wrapperINS8_3SumESD_lEEEE10hipError_tPvRmT1_T2_T3_mT4_P12ihipStream_tbEUlT_E0_NS1_11comp_targetILNS1_3genE2ELNS1_11target_archE906ELNS1_3gpuE6ELNS1_3repE0EEENS1_30default_config_static_selectorELNS0_4arch9wavefront6targetE0EEEvSM_
    .private_segment_fixed_size: 0
    .sgpr_count:     0
    .sgpr_spill_count: 0
    .symbol:         _ZN7rocprim17ROCPRIM_400000_NS6detail17trampoline_kernelINS0_14default_configENS1_22reduce_config_selectorIbEEZNS1_11reduce_implILb1ES3_N6hipcub16HIPCUB_304000_NS22TransformInputIteratorIb7NonZeroIdEPdlEEPllNS8_6detail34convert_binary_result_type_wrapperINS8_3SumESD_lEEEE10hipError_tPvRmT1_T2_T3_mT4_P12ihipStream_tbEUlT_E0_NS1_11comp_targetILNS1_3genE2ELNS1_11target_archE906ELNS1_3gpuE6ELNS1_3repE0EEENS1_30default_config_static_selectorELNS0_4arch9wavefront6targetE0EEEvSM_.kd
    .uniform_work_group_size: 1
    .uses_dynamic_stack: false
    .vgpr_count:     0
    .vgpr_spill_count: 0
    .wavefront_size: 32
    .workgroup_processor_mode: 1
  - .args:
      - .offset:         0
        .size:           72
        .value_kind:     by_value
    .group_segment_fixed_size: 0
    .kernarg_segment_align: 8
    .kernarg_segment_size: 72
    .language:       OpenCL C
    .language_version:
      - 2
      - 0
    .max_flat_workgroup_size: 256
    .name:           _ZN7rocprim17ROCPRIM_400000_NS6detail17trampoline_kernelINS0_14default_configENS1_22reduce_config_selectorIbEEZNS1_11reduce_implILb1ES3_N6hipcub16HIPCUB_304000_NS22TransformInputIteratorIb7NonZeroIdEPdlEEPllNS8_6detail34convert_binary_result_type_wrapperINS8_3SumESD_lEEEE10hipError_tPvRmT1_T2_T3_mT4_P12ihipStream_tbEUlT_E0_NS1_11comp_targetILNS1_3genE10ELNS1_11target_archE1201ELNS1_3gpuE5ELNS1_3repE0EEENS1_30default_config_static_selectorELNS0_4arch9wavefront6targetE0EEEvSM_
    .private_segment_fixed_size: 0
    .sgpr_count:     0
    .sgpr_spill_count: 0
    .symbol:         _ZN7rocprim17ROCPRIM_400000_NS6detail17trampoline_kernelINS0_14default_configENS1_22reduce_config_selectorIbEEZNS1_11reduce_implILb1ES3_N6hipcub16HIPCUB_304000_NS22TransformInputIteratorIb7NonZeroIdEPdlEEPllNS8_6detail34convert_binary_result_type_wrapperINS8_3SumESD_lEEEE10hipError_tPvRmT1_T2_T3_mT4_P12ihipStream_tbEUlT_E0_NS1_11comp_targetILNS1_3genE10ELNS1_11target_archE1201ELNS1_3gpuE5ELNS1_3repE0EEENS1_30default_config_static_selectorELNS0_4arch9wavefront6targetE0EEEvSM_.kd
    .uniform_work_group_size: 1
    .uses_dynamic_stack: false
    .vgpr_count:     0
    .vgpr_spill_count: 0
    .wavefront_size: 32
    .workgroup_processor_mode: 1
  - .args:
      - .offset:         0
        .size:           72
        .value_kind:     by_value
    .group_segment_fixed_size: 0
    .kernarg_segment_align: 8
    .kernarg_segment_size: 72
    .language:       OpenCL C
    .language_version:
      - 2
      - 0
    .max_flat_workgroup_size: 256
    .name:           _ZN7rocprim17ROCPRIM_400000_NS6detail17trampoline_kernelINS0_14default_configENS1_22reduce_config_selectorIbEEZNS1_11reduce_implILb1ES3_N6hipcub16HIPCUB_304000_NS22TransformInputIteratorIb7NonZeroIdEPdlEEPllNS8_6detail34convert_binary_result_type_wrapperINS8_3SumESD_lEEEE10hipError_tPvRmT1_T2_T3_mT4_P12ihipStream_tbEUlT_E0_NS1_11comp_targetILNS1_3genE10ELNS1_11target_archE1200ELNS1_3gpuE4ELNS1_3repE0EEENS1_30default_config_static_selectorELNS0_4arch9wavefront6targetE0EEEvSM_
    .private_segment_fixed_size: 0
    .sgpr_count:     0
    .sgpr_spill_count: 0
    .symbol:         _ZN7rocprim17ROCPRIM_400000_NS6detail17trampoline_kernelINS0_14default_configENS1_22reduce_config_selectorIbEEZNS1_11reduce_implILb1ES3_N6hipcub16HIPCUB_304000_NS22TransformInputIteratorIb7NonZeroIdEPdlEEPllNS8_6detail34convert_binary_result_type_wrapperINS8_3SumESD_lEEEE10hipError_tPvRmT1_T2_T3_mT4_P12ihipStream_tbEUlT_E0_NS1_11comp_targetILNS1_3genE10ELNS1_11target_archE1200ELNS1_3gpuE4ELNS1_3repE0EEENS1_30default_config_static_selectorELNS0_4arch9wavefront6targetE0EEEvSM_.kd
    .uniform_work_group_size: 1
    .uses_dynamic_stack: false
    .vgpr_count:     0
    .vgpr_spill_count: 0
    .wavefront_size: 32
    .workgroup_processor_mode: 1
  - .args:
      - .offset:         0
        .size:           72
        .value_kind:     by_value
    .group_segment_fixed_size: 64
    .kernarg_segment_align: 8
    .kernarg_segment_size: 72
    .language:       OpenCL C
    .language_version:
      - 2
      - 0
    .max_flat_workgroup_size: 128
    .name:           _ZN7rocprim17ROCPRIM_400000_NS6detail17trampoline_kernelINS0_14default_configENS1_22reduce_config_selectorIbEEZNS1_11reduce_implILb1ES3_N6hipcub16HIPCUB_304000_NS22TransformInputIteratorIb7NonZeroIdEPdlEEPllNS8_6detail34convert_binary_result_type_wrapperINS8_3SumESD_lEEEE10hipError_tPvRmT1_T2_T3_mT4_P12ihipStream_tbEUlT_E0_NS1_11comp_targetILNS1_3genE9ELNS1_11target_archE1100ELNS1_3gpuE3ELNS1_3repE0EEENS1_30default_config_static_selectorELNS0_4arch9wavefront6targetE0EEEvSM_
    .private_segment_fixed_size: 0
    .sgpr_count:     32
    .sgpr_spill_count: 0
    .symbol:         _ZN7rocprim17ROCPRIM_400000_NS6detail17trampoline_kernelINS0_14default_configENS1_22reduce_config_selectorIbEEZNS1_11reduce_implILb1ES3_N6hipcub16HIPCUB_304000_NS22TransformInputIteratorIb7NonZeroIdEPdlEEPllNS8_6detail34convert_binary_result_type_wrapperINS8_3SumESD_lEEEE10hipError_tPvRmT1_T2_T3_mT4_P12ihipStream_tbEUlT_E0_NS1_11comp_targetILNS1_3genE9ELNS1_11target_archE1100ELNS1_3gpuE3ELNS1_3repE0EEENS1_30default_config_static_selectorELNS0_4arch9wavefront6targetE0EEEvSM_.kd
    .uniform_work_group_size: 1
    .uses_dynamic_stack: false
    .vgpr_count:     36
    .vgpr_spill_count: 0
    .wavefront_size: 32
    .workgroup_processor_mode: 1
  - .args:
      - .offset:         0
        .size:           72
        .value_kind:     by_value
    .group_segment_fixed_size: 0
    .kernarg_segment_align: 8
    .kernarg_segment_size: 72
    .language:       OpenCL C
    .language_version:
      - 2
      - 0
    .max_flat_workgroup_size: 256
    .name:           _ZN7rocprim17ROCPRIM_400000_NS6detail17trampoline_kernelINS0_14default_configENS1_22reduce_config_selectorIbEEZNS1_11reduce_implILb1ES3_N6hipcub16HIPCUB_304000_NS22TransformInputIteratorIb7NonZeroIdEPdlEEPllNS8_6detail34convert_binary_result_type_wrapperINS8_3SumESD_lEEEE10hipError_tPvRmT1_T2_T3_mT4_P12ihipStream_tbEUlT_E0_NS1_11comp_targetILNS1_3genE8ELNS1_11target_archE1030ELNS1_3gpuE2ELNS1_3repE0EEENS1_30default_config_static_selectorELNS0_4arch9wavefront6targetE0EEEvSM_
    .private_segment_fixed_size: 0
    .sgpr_count:     0
    .sgpr_spill_count: 0
    .symbol:         _ZN7rocprim17ROCPRIM_400000_NS6detail17trampoline_kernelINS0_14default_configENS1_22reduce_config_selectorIbEEZNS1_11reduce_implILb1ES3_N6hipcub16HIPCUB_304000_NS22TransformInputIteratorIb7NonZeroIdEPdlEEPllNS8_6detail34convert_binary_result_type_wrapperINS8_3SumESD_lEEEE10hipError_tPvRmT1_T2_T3_mT4_P12ihipStream_tbEUlT_E0_NS1_11comp_targetILNS1_3genE8ELNS1_11target_archE1030ELNS1_3gpuE2ELNS1_3repE0EEENS1_30default_config_static_selectorELNS0_4arch9wavefront6targetE0EEEvSM_.kd
    .uniform_work_group_size: 1
    .uses_dynamic_stack: false
    .vgpr_count:     0
    .vgpr_spill_count: 0
    .wavefront_size: 32
    .workgroup_processor_mode: 1
  - .args:
      - .offset:         0
        .size:           56
        .value_kind:     by_value
    .group_segment_fixed_size: 0
    .kernarg_segment_align: 8
    .kernarg_segment_size: 56
    .language:       OpenCL C
    .language_version:
      - 2
      - 0
    .max_flat_workgroup_size: 256
    .name:           _ZN7rocprim17ROCPRIM_400000_NS6detail17trampoline_kernelINS0_14default_configENS1_22reduce_config_selectorIbEEZNS1_11reduce_implILb1ES3_N6hipcub16HIPCUB_304000_NS22TransformInputIteratorIb7NonZeroIdEPdlEEPllNS8_6detail34convert_binary_result_type_wrapperINS8_3SumESD_lEEEE10hipError_tPvRmT1_T2_T3_mT4_P12ihipStream_tbEUlT_E1_NS1_11comp_targetILNS1_3genE0ELNS1_11target_archE4294967295ELNS1_3gpuE0ELNS1_3repE0EEENS1_30default_config_static_selectorELNS0_4arch9wavefront6targetE0EEEvSM_
    .private_segment_fixed_size: 0
    .sgpr_count:     0
    .sgpr_spill_count: 0
    .symbol:         _ZN7rocprim17ROCPRIM_400000_NS6detail17trampoline_kernelINS0_14default_configENS1_22reduce_config_selectorIbEEZNS1_11reduce_implILb1ES3_N6hipcub16HIPCUB_304000_NS22TransformInputIteratorIb7NonZeroIdEPdlEEPllNS8_6detail34convert_binary_result_type_wrapperINS8_3SumESD_lEEEE10hipError_tPvRmT1_T2_T3_mT4_P12ihipStream_tbEUlT_E1_NS1_11comp_targetILNS1_3genE0ELNS1_11target_archE4294967295ELNS1_3gpuE0ELNS1_3repE0EEENS1_30default_config_static_selectorELNS0_4arch9wavefront6targetE0EEEvSM_.kd
    .uniform_work_group_size: 1
    .uses_dynamic_stack: false
    .vgpr_count:     0
    .vgpr_spill_count: 0
    .wavefront_size: 32
    .workgroup_processor_mode: 1
  - .args:
      - .offset:         0
        .size:           56
        .value_kind:     by_value
    .group_segment_fixed_size: 0
    .kernarg_segment_align: 8
    .kernarg_segment_size: 56
    .language:       OpenCL C
    .language_version:
      - 2
      - 0
    .max_flat_workgroup_size: 256
    .name:           _ZN7rocprim17ROCPRIM_400000_NS6detail17trampoline_kernelINS0_14default_configENS1_22reduce_config_selectorIbEEZNS1_11reduce_implILb1ES3_N6hipcub16HIPCUB_304000_NS22TransformInputIteratorIb7NonZeroIdEPdlEEPllNS8_6detail34convert_binary_result_type_wrapperINS8_3SumESD_lEEEE10hipError_tPvRmT1_T2_T3_mT4_P12ihipStream_tbEUlT_E1_NS1_11comp_targetILNS1_3genE5ELNS1_11target_archE942ELNS1_3gpuE9ELNS1_3repE0EEENS1_30default_config_static_selectorELNS0_4arch9wavefront6targetE0EEEvSM_
    .private_segment_fixed_size: 0
    .sgpr_count:     0
    .sgpr_spill_count: 0
    .symbol:         _ZN7rocprim17ROCPRIM_400000_NS6detail17trampoline_kernelINS0_14default_configENS1_22reduce_config_selectorIbEEZNS1_11reduce_implILb1ES3_N6hipcub16HIPCUB_304000_NS22TransformInputIteratorIb7NonZeroIdEPdlEEPllNS8_6detail34convert_binary_result_type_wrapperINS8_3SumESD_lEEEE10hipError_tPvRmT1_T2_T3_mT4_P12ihipStream_tbEUlT_E1_NS1_11comp_targetILNS1_3genE5ELNS1_11target_archE942ELNS1_3gpuE9ELNS1_3repE0EEENS1_30default_config_static_selectorELNS0_4arch9wavefront6targetE0EEEvSM_.kd
    .uniform_work_group_size: 1
    .uses_dynamic_stack: false
    .vgpr_count:     0
    .vgpr_spill_count: 0
    .wavefront_size: 32
    .workgroup_processor_mode: 1
  - .args:
      - .offset:         0
        .size:           56
        .value_kind:     by_value
    .group_segment_fixed_size: 0
    .kernarg_segment_align: 8
    .kernarg_segment_size: 56
    .language:       OpenCL C
    .language_version:
      - 2
      - 0
    .max_flat_workgroup_size: 128
    .name:           _ZN7rocprim17ROCPRIM_400000_NS6detail17trampoline_kernelINS0_14default_configENS1_22reduce_config_selectorIbEEZNS1_11reduce_implILb1ES3_N6hipcub16HIPCUB_304000_NS22TransformInputIteratorIb7NonZeroIdEPdlEEPllNS8_6detail34convert_binary_result_type_wrapperINS8_3SumESD_lEEEE10hipError_tPvRmT1_T2_T3_mT4_P12ihipStream_tbEUlT_E1_NS1_11comp_targetILNS1_3genE4ELNS1_11target_archE910ELNS1_3gpuE8ELNS1_3repE0EEENS1_30default_config_static_selectorELNS0_4arch9wavefront6targetE0EEEvSM_
    .private_segment_fixed_size: 0
    .sgpr_count:     0
    .sgpr_spill_count: 0
    .symbol:         _ZN7rocprim17ROCPRIM_400000_NS6detail17trampoline_kernelINS0_14default_configENS1_22reduce_config_selectorIbEEZNS1_11reduce_implILb1ES3_N6hipcub16HIPCUB_304000_NS22TransformInputIteratorIb7NonZeroIdEPdlEEPllNS8_6detail34convert_binary_result_type_wrapperINS8_3SumESD_lEEEE10hipError_tPvRmT1_T2_T3_mT4_P12ihipStream_tbEUlT_E1_NS1_11comp_targetILNS1_3genE4ELNS1_11target_archE910ELNS1_3gpuE8ELNS1_3repE0EEENS1_30default_config_static_selectorELNS0_4arch9wavefront6targetE0EEEvSM_.kd
    .uniform_work_group_size: 1
    .uses_dynamic_stack: false
    .vgpr_count:     0
    .vgpr_spill_count: 0
    .wavefront_size: 32
    .workgroup_processor_mode: 1
  - .args:
      - .offset:         0
        .size:           56
        .value_kind:     by_value
    .group_segment_fixed_size: 0
    .kernarg_segment_align: 8
    .kernarg_segment_size: 56
    .language:       OpenCL C
    .language_version:
      - 2
      - 0
    .max_flat_workgroup_size: 256
    .name:           _ZN7rocprim17ROCPRIM_400000_NS6detail17trampoline_kernelINS0_14default_configENS1_22reduce_config_selectorIbEEZNS1_11reduce_implILb1ES3_N6hipcub16HIPCUB_304000_NS22TransformInputIteratorIb7NonZeroIdEPdlEEPllNS8_6detail34convert_binary_result_type_wrapperINS8_3SumESD_lEEEE10hipError_tPvRmT1_T2_T3_mT4_P12ihipStream_tbEUlT_E1_NS1_11comp_targetILNS1_3genE3ELNS1_11target_archE908ELNS1_3gpuE7ELNS1_3repE0EEENS1_30default_config_static_selectorELNS0_4arch9wavefront6targetE0EEEvSM_
    .private_segment_fixed_size: 0
    .sgpr_count:     0
    .sgpr_spill_count: 0
    .symbol:         _ZN7rocprim17ROCPRIM_400000_NS6detail17trampoline_kernelINS0_14default_configENS1_22reduce_config_selectorIbEEZNS1_11reduce_implILb1ES3_N6hipcub16HIPCUB_304000_NS22TransformInputIteratorIb7NonZeroIdEPdlEEPllNS8_6detail34convert_binary_result_type_wrapperINS8_3SumESD_lEEEE10hipError_tPvRmT1_T2_T3_mT4_P12ihipStream_tbEUlT_E1_NS1_11comp_targetILNS1_3genE3ELNS1_11target_archE908ELNS1_3gpuE7ELNS1_3repE0EEENS1_30default_config_static_selectorELNS0_4arch9wavefront6targetE0EEEvSM_.kd
    .uniform_work_group_size: 1
    .uses_dynamic_stack: false
    .vgpr_count:     0
    .vgpr_spill_count: 0
    .wavefront_size: 32
    .workgroup_processor_mode: 1
  - .args:
      - .offset:         0
        .size:           56
        .value_kind:     by_value
    .group_segment_fixed_size: 0
    .kernarg_segment_align: 8
    .kernarg_segment_size: 56
    .language:       OpenCL C
    .language_version:
      - 2
      - 0
    .max_flat_workgroup_size: 128
    .name:           _ZN7rocprim17ROCPRIM_400000_NS6detail17trampoline_kernelINS0_14default_configENS1_22reduce_config_selectorIbEEZNS1_11reduce_implILb1ES3_N6hipcub16HIPCUB_304000_NS22TransformInputIteratorIb7NonZeroIdEPdlEEPllNS8_6detail34convert_binary_result_type_wrapperINS8_3SumESD_lEEEE10hipError_tPvRmT1_T2_T3_mT4_P12ihipStream_tbEUlT_E1_NS1_11comp_targetILNS1_3genE2ELNS1_11target_archE906ELNS1_3gpuE6ELNS1_3repE0EEENS1_30default_config_static_selectorELNS0_4arch9wavefront6targetE0EEEvSM_
    .private_segment_fixed_size: 0
    .sgpr_count:     0
    .sgpr_spill_count: 0
    .symbol:         _ZN7rocprim17ROCPRIM_400000_NS6detail17trampoline_kernelINS0_14default_configENS1_22reduce_config_selectorIbEEZNS1_11reduce_implILb1ES3_N6hipcub16HIPCUB_304000_NS22TransformInputIteratorIb7NonZeroIdEPdlEEPllNS8_6detail34convert_binary_result_type_wrapperINS8_3SumESD_lEEEE10hipError_tPvRmT1_T2_T3_mT4_P12ihipStream_tbEUlT_E1_NS1_11comp_targetILNS1_3genE2ELNS1_11target_archE906ELNS1_3gpuE6ELNS1_3repE0EEENS1_30default_config_static_selectorELNS0_4arch9wavefront6targetE0EEEvSM_.kd
    .uniform_work_group_size: 1
    .uses_dynamic_stack: false
    .vgpr_count:     0
    .vgpr_spill_count: 0
    .wavefront_size: 32
    .workgroup_processor_mode: 1
  - .args:
      - .offset:         0
        .size:           56
        .value_kind:     by_value
    .group_segment_fixed_size: 0
    .kernarg_segment_align: 8
    .kernarg_segment_size: 56
    .language:       OpenCL C
    .language_version:
      - 2
      - 0
    .max_flat_workgroup_size: 256
    .name:           _ZN7rocprim17ROCPRIM_400000_NS6detail17trampoline_kernelINS0_14default_configENS1_22reduce_config_selectorIbEEZNS1_11reduce_implILb1ES3_N6hipcub16HIPCUB_304000_NS22TransformInputIteratorIb7NonZeroIdEPdlEEPllNS8_6detail34convert_binary_result_type_wrapperINS8_3SumESD_lEEEE10hipError_tPvRmT1_T2_T3_mT4_P12ihipStream_tbEUlT_E1_NS1_11comp_targetILNS1_3genE10ELNS1_11target_archE1201ELNS1_3gpuE5ELNS1_3repE0EEENS1_30default_config_static_selectorELNS0_4arch9wavefront6targetE0EEEvSM_
    .private_segment_fixed_size: 0
    .sgpr_count:     0
    .sgpr_spill_count: 0
    .symbol:         _ZN7rocprim17ROCPRIM_400000_NS6detail17trampoline_kernelINS0_14default_configENS1_22reduce_config_selectorIbEEZNS1_11reduce_implILb1ES3_N6hipcub16HIPCUB_304000_NS22TransformInputIteratorIb7NonZeroIdEPdlEEPllNS8_6detail34convert_binary_result_type_wrapperINS8_3SumESD_lEEEE10hipError_tPvRmT1_T2_T3_mT4_P12ihipStream_tbEUlT_E1_NS1_11comp_targetILNS1_3genE10ELNS1_11target_archE1201ELNS1_3gpuE5ELNS1_3repE0EEENS1_30default_config_static_selectorELNS0_4arch9wavefront6targetE0EEEvSM_.kd
    .uniform_work_group_size: 1
    .uses_dynamic_stack: false
    .vgpr_count:     0
    .vgpr_spill_count: 0
    .wavefront_size: 32
    .workgroup_processor_mode: 1
  - .args:
      - .offset:         0
        .size:           56
        .value_kind:     by_value
    .group_segment_fixed_size: 0
    .kernarg_segment_align: 8
    .kernarg_segment_size: 56
    .language:       OpenCL C
    .language_version:
      - 2
      - 0
    .max_flat_workgroup_size: 256
    .name:           _ZN7rocprim17ROCPRIM_400000_NS6detail17trampoline_kernelINS0_14default_configENS1_22reduce_config_selectorIbEEZNS1_11reduce_implILb1ES3_N6hipcub16HIPCUB_304000_NS22TransformInputIteratorIb7NonZeroIdEPdlEEPllNS8_6detail34convert_binary_result_type_wrapperINS8_3SumESD_lEEEE10hipError_tPvRmT1_T2_T3_mT4_P12ihipStream_tbEUlT_E1_NS1_11comp_targetILNS1_3genE10ELNS1_11target_archE1200ELNS1_3gpuE4ELNS1_3repE0EEENS1_30default_config_static_selectorELNS0_4arch9wavefront6targetE0EEEvSM_
    .private_segment_fixed_size: 0
    .sgpr_count:     0
    .sgpr_spill_count: 0
    .symbol:         _ZN7rocprim17ROCPRIM_400000_NS6detail17trampoline_kernelINS0_14default_configENS1_22reduce_config_selectorIbEEZNS1_11reduce_implILb1ES3_N6hipcub16HIPCUB_304000_NS22TransformInputIteratorIb7NonZeroIdEPdlEEPllNS8_6detail34convert_binary_result_type_wrapperINS8_3SumESD_lEEEE10hipError_tPvRmT1_T2_T3_mT4_P12ihipStream_tbEUlT_E1_NS1_11comp_targetILNS1_3genE10ELNS1_11target_archE1200ELNS1_3gpuE4ELNS1_3repE0EEENS1_30default_config_static_selectorELNS0_4arch9wavefront6targetE0EEEvSM_.kd
    .uniform_work_group_size: 1
    .uses_dynamic_stack: false
    .vgpr_count:     0
    .vgpr_spill_count: 0
    .wavefront_size: 32
    .workgroup_processor_mode: 1
  - .args:
      - .offset:         0
        .size:           56
        .value_kind:     by_value
    .group_segment_fixed_size: 288
    .kernarg_segment_align: 8
    .kernarg_segment_size: 56
    .language:       OpenCL C
    .language_version:
      - 2
      - 0
    .max_flat_workgroup_size: 128
    .name:           _ZN7rocprim17ROCPRIM_400000_NS6detail17trampoline_kernelINS0_14default_configENS1_22reduce_config_selectorIbEEZNS1_11reduce_implILb1ES3_N6hipcub16HIPCUB_304000_NS22TransformInputIteratorIb7NonZeroIdEPdlEEPllNS8_6detail34convert_binary_result_type_wrapperINS8_3SumESD_lEEEE10hipError_tPvRmT1_T2_T3_mT4_P12ihipStream_tbEUlT_E1_NS1_11comp_targetILNS1_3genE9ELNS1_11target_archE1100ELNS1_3gpuE3ELNS1_3repE0EEENS1_30default_config_static_selectorELNS0_4arch9wavefront6targetE0EEEvSM_
    .private_segment_fixed_size: 20
    .sgpr_count:     31
    .sgpr_spill_count: 0
    .symbol:         _ZN7rocprim17ROCPRIM_400000_NS6detail17trampoline_kernelINS0_14default_configENS1_22reduce_config_selectorIbEEZNS1_11reduce_implILb1ES3_N6hipcub16HIPCUB_304000_NS22TransformInputIteratorIb7NonZeroIdEPdlEEPllNS8_6detail34convert_binary_result_type_wrapperINS8_3SumESD_lEEEE10hipError_tPvRmT1_T2_T3_mT4_P12ihipStream_tbEUlT_E1_NS1_11comp_targetILNS1_3genE9ELNS1_11target_archE1100ELNS1_3gpuE3ELNS1_3repE0EEENS1_30default_config_static_selectorELNS0_4arch9wavefront6targetE0EEEvSM_.kd
    .uniform_work_group_size: 1
    .uses_dynamic_stack: false
    .vgpr_count:     256
    .vgpr_spill_count: 6
    .wavefront_size: 32
    .workgroup_processor_mode: 1
  - .args:
      - .offset:         0
        .size:           56
        .value_kind:     by_value
    .group_segment_fixed_size: 0
    .kernarg_segment_align: 8
    .kernarg_segment_size: 56
    .language:       OpenCL C
    .language_version:
      - 2
      - 0
    .max_flat_workgroup_size: 256
    .name:           _ZN7rocprim17ROCPRIM_400000_NS6detail17trampoline_kernelINS0_14default_configENS1_22reduce_config_selectorIbEEZNS1_11reduce_implILb1ES3_N6hipcub16HIPCUB_304000_NS22TransformInputIteratorIb7NonZeroIdEPdlEEPllNS8_6detail34convert_binary_result_type_wrapperINS8_3SumESD_lEEEE10hipError_tPvRmT1_T2_T3_mT4_P12ihipStream_tbEUlT_E1_NS1_11comp_targetILNS1_3genE8ELNS1_11target_archE1030ELNS1_3gpuE2ELNS1_3repE0EEENS1_30default_config_static_selectorELNS0_4arch9wavefront6targetE0EEEvSM_
    .private_segment_fixed_size: 0
    .sgpr_count:     0
    .sgpr_spill_count: 0
    .symbol:         _ZN7rocprim17ROCPRIM_400000_NS6detail17trampoline_kernelINS0_14default_configENS1_22reduce_config_selectorIbEEZNS1_11reduce_implILb1ES3_N6hipcub16HIPCUB_304000_NS22TransformInputIteratorIb7NonZeroIdEPdlEEPllNS8_6detail34convert_binary_result_type_wrapperINS8_3SumESD_lEEEE10hipError_tPvRmT1_T2_T3_mT4_P12ihipStream_tbEUlT_E1_NS1_11comp_targetILNS1_3genE8ELNS1_11target_archE1030ELNS1_3gpuE2ELNS1_3repE0EEENS1_30default_config_static_selectorELNS0_4arch9wavefront6targetE0EEEvSM_.kd
    .uniform_work_group_size: 1
    .uses_dynamic_stack: false
    .vgpr_count:     0
    .vgpr_spill_count: 0
    .wavefront_size: 32
    .workgroup_processor_mode: 1
  - .args:
      - .offset:         0
        .size:           120
        .value_kind:     by_value
    .group_segment_fixed_size: 0
    .kernarg_segment_align: 8
    .kernarg_segment_size: 120
    .language:       OpenCL C
    .language_version:
      - 2
      - 0
    .max_flat_workgroup_size: 128
    .name:           _ZN7rocprim17ROCPRIM_400000_NS6detail17trampoline_kernelINS0_14default_configENS1_25partition_config_selectorILNS1_17partition_subalgoE5ElNS0_10empty_typeEbEEZZNS1_14partition_implILS5_5ELb0ES3_mN6hipcub16HIPCUB_304000_NS21CountingInputIteratorIllEEPS6_NSA_22TransformInputIteratorIb7NonZeroIdEPdlEENS0_5tupleIJPlS6_EEENSJ_IJSD_SD_EEES6_SK_JS6_EEE10hipError_tPvRmT3_T4_T5_T6_T7_T9_mT8_P12ihipStream_tbDpT10_ENKUlT_T0_E_clISt17integral_constantIbLb0EES16_EEDaS11_S12_EUlS11_E_NS1_11comp_targetILNS1_3genE0ELNS1_11target_archE4294967295ELNS1_3gpuE0ELNS1_3repE0EEENS1_30default_config_static_selectorELNS0_4arch9wavefront6targetE0EEEvT1_
    .private_segment_fixed_size: 0
    .sgpr_count:     0
    .sgpr_spill_count: 0
    .symbol:         _ZN7rocprim17ROCPRIM_400000_NS6detail17trampoline_kernelINS0_14default_configENS1_25partition_config_selectorILNS1_17partition_subalgoE5ElNS0_10empty_typeEbEEZZNS1_14partition_implILS5_5ELb0ES3_mN6hipcub16HIPCUB_304000_NS21CountingInputIteratorIllEEPS6_NSA_22TransformInputIteratorIb7NonZeroIdEPdlEENS0_5tupleIJPlS6_EEENSJ_IJSD_SD_EEES6_SK_JS6_EEE10hipError_tPvRmT3_T4_T5_T6_T7_T9_mT8_P12ihipStream_tbDpT10_ENKUlT_T0_E_clISt17integral_constantIbLb0EES16_EEDaS11_S12_EUlS11_E_NS1_11comp_targetILNS1_3genE0ELNS1_11target_archE4294967295ELNS1_3gpuE0ELNS1_3repE0EEENS1_30default_config_static_selectorELNS0_4arch9wavefront6targetE0EEEvT1_.kd
    .uniform_work_group_size: 1
    .uses_dynamic_stack: false
    .vgpr_count:     0
    .vgpr_spill_count: 0
    .wavefront_size: 32
    .workgroup_processor_mode: 1
  - .args:
      - .offset:         0
        .size:           120
        .value_kind:     by_value
    .group_segment_fixed_size: 0
    .kernarg_segment_align: 8
    .kernarg_segment_size: 120
    .language:       OpenCL C
    .language_version:
      - 2
      - 0
    .max_flat_workgroup_size: 512
    .name:           _ZN7rocprim17ROCPRIM_400000_NS6detail17trampoline_kernelINS0_14default_configENS1_25partition_config_selectorILNS1_17partition_subalgoE5ElNS0_10empty_typeEbEEZZNS1_14partition_implILS5_5ELb0ES3_mN6hipcub16HIPCUB_304000_NS21CountingInputIteratorIllEEPS6_NSA_22TransformInputIteratorIb7NonZeroIdEPdlEENS0_5tupleIJPlS6_EEENSJ_IJSD_SD_EEES6_SK_JS6_EEE10hipError_tPvRmT3_T4_T5_T6_T7_T9_mT8_P12ihipStream_tbDpT10_ENKUlT_T0_E_clISt17integral_constantIbLb0EES16_EEDaS11_S12_EUlS11_E_NS1_11comp_targetILNS1_3genE5ELNS1_11target_archE942ELNS1_3gpuE9ELNS1_3repE0EEENS1_30default_config_static_selectorELNS0_4arch9wavefront6targetE0EEEvT1_
    .private_segment_fixed_size: 0
    .sgpr_count:     0
    .sgpr_spill_count: 0
    .symbol:         _ZN7rocprim17ROCPRIM_400000_NS6detail17trampoline_kernelINS0_14default_configENS1_25partition_config_selectorILNS1_17partition_subalgoE5ElNS0_10empty_typeEbEEZZNS1_14partition_implILS5_5ELb0ES3_mN6hipcub16HIPCUB_304000_NS21CountingInputIteratorIllEEPS6_NSA_22TransformInputIteratorIb7NonZeroIdEPdlEENS0_5tupleIJPlS6_EEENSJ_IJSD_SD_EEES6_SK_JS6_EEE10hipError_tPvRmT3_T4_T5_T6_T7_T9_mT8_P12ihipStream_tbDpT10_ENKUlT_T0_E_clISt17integral_constantIbLb0EES16_EEDaS11_S12_EUlS11_E_NS1_11comp_targetILNS1_3genE5ELNS1_11target_archE942ELNS1_3gpuE9ELNS1_3repE0EEENS1_30default_config_static_selectorELNS0_4arch9wavefront6targetE0EEEvT1_.kd
    .uniform_work_group_size: 1
    .uses_dynamic_stack: false
    .vgpr_count:     0
    .vgpr_spill_count: 0
    .wavefront_size: 32
    .workgroup_processor_mode: 1
  - .args:
      - .offset:         0
        .size:           120
        .value_kind:     by_value
    .group_segment_fixed_size: 0
    .kernarg_segment_align: 8
    .kernarg_segment_size: 120
    .language:       OpenCL C
    .language_version:
      - 2
      - 0
    .max_flat_workgroup_size: 192
    .name:           _ZN7rocprim17ROCPRIM_400000_NS6detail17trampoline_kernelINS0_14default_configENS1_25partition_config_selectorILNS1_17partition_subalgoE5ElNS0_10empty_typeEbEEZZNS1_14partition_implILS5_5ELb0ES3_mN6hipcub16HIPCUB_304000_NS21CountingInputIteratorIllEEPS6_NSA_22TransformInputIteratorIb7NonZeroIdEPdlEENS0_5tupleIJPlS6_EEENSJ_IJSD_SD_EEES6_SK_JS6_EEE10hipError_tPvRmT3_T4_T5_T6_T7_T9_mT8_P12ihipStream_tbDpT10_ENKUlT_T0_E_clISt17integral_constantIbLb0EES16_EEDaS11_S12_EUlS11_E_NS1_11comp_targetILNS1_3genE4ELNS1_11target_archE910ELNS1_3gpuE8ELNS1_3repE0EEENS1_30default_config_static_selectorELNS0_4arch9wavefront6targetE0EEEvT1_
    .private_segment_fixed_size: 0
    .sgpr_count:     0
    .sgpr_spill_count: 0
    .symbol:         _ZN7rocprim17ROCPRIM_400000_NS6detail17trampoline_kernelINS0_14default_configENS1_25partition_config_selectorILNS1_17partition_subalgoE5ElNS0_10empty_typeEbEEZZNS1_14partition_implILS5_5ELb0ES3_mN6hipcub16HIPCUB_304000_NS21CountingInputIteratorIllEEPS6_NSA_22TransformInputIteratorIb7NonZeroIdEPdlEENS0_5tupleIJPlS6_EEENSJ_IJSD_SD_EEES6_SK_JS6_EEE10hipError_tPvRmT3_T4_T5_T6_T7_T9_mT8_P12ihipStream_tbDpT10_ENKUlT_T0_E_clISt17integral_constantIbLb0EES16_EEDaS11_S12_EUlS11_E_NS1_11comp_targetILNS1_3genE4ELNS1_11target_archE910ELNS1_3gpuE8ELNS1_3repE0EEENS1_30default_config_static_selectorELNS0_4arch9wavefront6targetE0EEEvT1_.kd
    .uniform_work_group_size: 1
    .uses_dynamic_stack: false
    .vgpr_count:     0
    .vgpr_spill_count: 0
    .wavefront_size: 32
    .workgroup_processor_mode: 1
  - .args:
      - .offset:         0
        .size:           120
        .value_kind:     by_value
    .group_segment_fixed_size: 0
    .kernarg_segment_align: 8
    .kernarg_segment_size: 120
    .language:       OpenCL C
    .language_version:
      - 2
      - 0
    .max_flat_workgroup_size: 128
    .name:           _ZN7rocprim17ROCPRIM_400000_NS6detail17trampoline_kernelINS0_14default_configENS1_25partition_config_selectorILNS1_17partition_subalgoE5ElNS0_10empty_typeEbEEZZNS1_14partition_implILS5_5ELb0ES3_mN6hipcub16HIPCUB_304000_NS21CountingInputIteratorIllEEPS6_NSA_22TransformInputIteratorIb7NonZeroIdEPdlEENS0_5tupleIJPlS6_EEENSJ_IJSD_SD_EEES6_SK_JS6_EEE10hipError_tPvRmT3_T4_T5_T6_T7_T9_mT8_P12ihipStream_tbDpT10_ENKUlT_T0_E_clISt17integral_constantIbLb0EES16_EEDaS11_S12_EUlS11_E_NS1_11comp_targetILNS1_3genE3ELNS1_11target_archE908ELNS1_3gpuE7ELNS1_3repE0EEENS1_30default_config_static_selectorELNS0_4arch9wavefront6targetE0EEEvT1_
    .private_segment_fixed_size: 0
    .sgpr_count:     0
    .sgpr_spill_count: 0
    .symbol:         _ZN7rocprim17ROCPRIM_400000_NS6detail17trampoline_kernelINS0_14default_configENS1_25partition_config_selectorILNS1_17partition_subalgoE5ElNS0_10empty_typeEbEEZZNS1_14partition_implILS5_5ELb0ES3_mN6hipcub16HIPCUB_304000_NS21CountingInputIteratorIllEEPS6_NSA_22TransformInputIteratorIb7NonZeroIdEPdlEENS0_5tupleIJPlS6_EEENSJ_IJSD_SD_EEES6_SK_JS6_EEE10hipError_tPvRmT3_T4_T5_T6_T7_T9_mT8_P12ihipStream_tbDpT10_ENKUlT_T0_E_clISt17integral_constantIbLb0EES16_EEDaS11_S12_EUlS11_E_NS1_11comp_targetILNS1_3genE3ELNS1_11target_archE908ELNS1_3gpuE7ELNS1_3repE0EEENS1_30default_config_static_selectorELNS0_4arch9wavefront6targetE0EEEvT1_.kd
    .uniform_work_group_size: 1
    .uses_dynamic_stack: false
    .vgpr_count:     0
    .vgpr_spill_count: 0
    .wavefront_size: 32
    .workgroup_processor_mode: 1
  - .args:
      - .offset:         0
        .size:           120
        .value_kind:     by_value
    .group_segment_fixed_size: 0
    .kernarg_segment_align: 8
    .kernarg_segment_size: 120
    .language:       OpenCL C
    .language_version:
      - 2
      - 0
    .max_flat_workgroup_size: 256
    .name:           _ZN7rocprim17ROCPRIM_400000_NS6detail17trampoline_kernelINS0_14default_configENS1_25partition_config_selectorILNS1_17partition_subalgoE5ElNS0_10empty_typeEbEEZZNS1_14partition_implILS5_5ELb0ES3_mN6hipcub16HIPCUB_304000_NS21CountingInputIteratorIllEEPS6_NSA_22TransformInputIteratorIb7NonZeroIdEPdlEENS0_5tupleIJPlS6_EEENSJ_IJSD_SD_EEES6_SK_JS6_EEE10hipError_tPvRmT3_T4_T5_T6_T7_T9_mT8_P12ihipStream_tbDpT10_ENKUlT_T0_E_clISt17integral_constantIbLb0EES16_EEDaS11_S12_EUlS11_E_NS1_11comp_targetILNS1_3genE2ELNS1_11target_archE906ELNS1_3gpuE6ELNS1_3repE0EEENS1_30default_config_static_selectorELNS0_4arch9wavefront6targetE0EEEvT1_
    .private_segment_fixed_size: 0
    .sgpr_count:     0
    .sgpr_spill_count: 0
    .symbol:         _ZN7rocprim17ROCPRIM_400000_NS6detail17trampoline_kernelINS0_14default_configENS1_25partition_config_selectorILNS1_17partition_subalgoE5ElNS0_10empty_typeEbEEZZNS1_14partition_implILS5_5ELb0ES3_mN6hipcub16HIPCUB_304000_NS21CountingInputIteratorIllEEPS6_NSA_22TransformInputIteratorIb7NonZeroIdEPdlEENS0_5tupleIJPlS6_EEENSJ_IJSD_SD_EEES6_SK_JS6_EEE10hipError_tPvRmT3_T4_T5_T6_T7_T9_mT8_P12ihipStream_tbDpT10_ENKUlT_T0_E_clISt17integral_constantIbLb0EES16_EEDaS11_S12_EUlS11_E_NS1_11comp_targetILNS1_3genE2ELNS1_11target_archE906ELNS1_3gpuE6ELNS1_3repE0EEENS1_30default_config_static_selectorELNS0_4arch9wavefront6targetE0EEEvT1_.kd
    .uniform_work_group_size: 1
    .uses_dynamic_stack: false
    .vgpr_count:     0
    .vgpr_spill_count: 0
    .wavefront_size: 32
    .workgroup_processor_mode: 1
  - .args:
      - .offset:         0
        .size:           120
        .value_kind:     by_value
    .group_segment_fixed_size: 0
    .kernarg_segment_align: 8
    .kernarg_segment_size: 120
    .language:       OpenCL C
    .language_version:
      - 2
      - 0
    .max_flat_workgroup_size: 256
    .name:           _ZN7rocprim17ROCPRIM_400000_NS6detail17trampoline_kernelINS0_14default_configENS1_25partition_config_selectorILNS1_17partition_subalgoE5ElNS0_10empty_typeEbEEZZNS1_14partition_implILS5_5ELb0ES3_mN6hipcub16HIPCUB_304000_NS21CountingInputIteratorIllEEPS6_NSA_22TransformInputIteratorIb7NonZeroIdEPdlEENS0_5tupleIJPlS6_EEENSJ_IJSD_SD_EEES6_SK_JS6_EEE10hipError_tPvRmT3_T4_T5_T6_T7_T9_mT8_P12ihipStream_tbDpT10_ENKUlT_T0_E_clISt17integral_constantIbLb0EES16_EEDaS11_S12_EUlS11_E_NS1_11comp_targetILNS1_3genE10ELNS1_11target_archE1200ELNS1_3gpuE4ELNS1_3repE0EEENS1_30default_config_static_selectorELNS0_4arch9wavefront6targetE0EEEvT1_
    .private_segment_fixed_size: 0
    .sgpr_count:     0
    .sgpr_spill_count: 0
    .symbol:         _ZN7rocprim17ROCPRIM_400000_NS6detail17trampoline_kernelINS0_14default_configENS1_25partition_config_selectorILNS1_17partition_subalgoE5ElNS0_10empty_typeEbEEZZNS1_14partition_implILS5_5ELb0ES3_mN6hipcub16HIPCUB_304000_NS21CountingInputIteratorIllEEPS6_NSA_22TransformInputIteratorIb7NonZeroIdEPdlEENS0_5tupleIJPlS6_EEENSJ_IJSD_SD_EEES6_SK_JS6_EEE10hipError_tPvRmT3_T4_T5_T6_T7_T9_mT8_P12ihipStream_tbDpT10_ENKUlT_T0_E_clISt17integral_constantIbLb0EES16_EEDaS11_S12_EUlS11_E_NS1_11comp_targetILNS1_3genE10ELNS1_11target_archE1200ELNS1_3gpuE4ELNS1_3repE0EEENS1_30default_config_static_selectorELNS0_4arch9wavefront6targetE0EEEvT1_.kd
    .uniform_work_group_size: 1
    .uses_dynamic_stack: false
    .vgpr_count:     0
    .vgpr_spill_count: 0
    .wavefront_size: 32
    .workgroup_processor_mode: 1
  - .args:
      - .offset:         0
        .size:           120
        .value_kind:     by_value
    .group_segment_fixed_size: 6160
    .kernarg_segment_align: 8
    .kernarg_segment_size: 120
    .language:       OpenCL C
    .language_version:
      - 2
      - 0
    .max_flat_workgroup_size: 128
    .name:           _ZN7rocprim17ROCPRIM_400000_NS6detail17trampoline_kernelINS0_14default_configENS1_25partition_config_selectorILNS1_17partition_subalgoE5ElNS0_10empty_typeEbEEZZNS1_14partition_implILS5_5ELb0ES3_mN6hipcub16HIPCUB_304000_NS21CountingInputIteratorIllEEPS6_NSA_22TransformInputIteratorIb7NonZeroIdEPdlEENS0_5tupleIJPlS6_EEENSJ_IJSD_SD_EEES6_SK_JS6_EEE10hipError_tPvRmT3_T4_T5_T6_T7_T9_mT8_P12ihipStream_tbDpT10_ENKUlT_T0_E_clISt17integral_constantIbLb0EES16_EEDaS11_S12_EUlS11_E_NS1_11comp_targetILNS1_3genE9ELNS1_11target_archE1100ELNS1_3gpuE3ELNS1_3repE0EEENS1_30default_config_static_selectorELNS0_4arch9wavefront6targetE0EEEvT1_
    .private_segment_fixed_size: 0
    .sgpr_count:     23
    .sgpr_spill_count: 0
    .symbol:         _ZN7rocprim17ROCPRIM_400000_NS6detail17trampoline_kernelINS0_14default_configENS1_25partition_config_selectorILNS1_17partition_subalgoE5ElNS0_10empty_typeEbEEZZNS1_14partition_implILS5_5ELb0ES3_mN6hipcub16HIPCUB_304000_NS21CountingInputIteratorIllEEPS6_NSA_22TransformInputIteratorIb7NonZeroIdEPdlEENS0_5tupleIJPlS6_EEENSJ_IJSD_SD_EEES6_SK_JS6_EEE10hipError_tPvRmT3_T4_T5_T6_T7_T9_mT8_P12ihipStream_tbDpT10_ENKUlT_T0_E_clISt17integral_constantIbLb0EES16_EEDaS11_S12_EUlS11_E_NS1_11comp_targetILNS1_3genE9ELNS1_11target_archE1100ELNS1_3gpuE3ELNS1_3repE0EEENS1_30default_config_static_selectorELNS0_4arch9wavefront6targetE0EEEvT1_.kd
    .uniform_work_group_size: 1
    .uses_dynamic_stack: false
    .vgpr_count:     57
    .vgpr_spill_count: 0
    .wavefront_size: 32
    .workgroup_processor_mode: 1
  - .args:
      - .offset:         0
        .size:           120
        .value_kind:     by_value
    .group_segment_fixed_size: 0
    .kernarg_segment_align: 8
    .kernarg_segment_size: 120
    .language:       OpenCL C
    .language_version:
      - 2
      - 0
    .max_flat_workgroup_size: 512
    .name:           _ZN7rocprim17ROCPRIM_400000_NS6detail17trampoline_kernelINS0_14default_configENS1_25partition_config_selectorILNS1_17partition_subalgoE5ElNS0_10empty_typeEbEEZZNS1_14partition_implILS5_5ELb0ES3_mN6hipcub16HIPCUB_304000_NS21CountingInputIteratorIllEEPS6_NSA_22TransformInputIteratorIb7NonZeroIdEPdlEENS0_5tupleIJPlS6_EEENSJ_IJSD_SD_EEES6_SK_JS6_EEE10hipError_tPvRmT3_T4_T5_T6_T7_T9_mT8_P12ihipStream_tbDpT10_ENKUlT_T0_E_clISt17integral_constantIbLb0EES16_EEDaS11_S12_EUlS11_E_NS1_11comp_targetILNS1_3genE8ELNS1_11target_archE1030ELNS1_3gpuE2ELNS1_3repE0EEENS1_30default_config_static_selectorELNS0_4arch9wavefront6targetE0EEEvT1_
    .private_segment_fixed_size: 0
    .sgpr_count:     0
    .sgpr_spill_count: 0
    .symbol:         _ZN7rocprim17ROCPRIM_400000_NS6detail17trampoline_kernelINS0_14default_configENS1_25partition_config_selectorILNS1_17partition_subalgoE5ElNS0_10empty_typeEbEEZZNS1_14partition_implILS5_5ELb0ES3_mN6hipcub16HIPCUB_304000_NS21CountingInputIteratorIllEEPS6_NSA_22TransformInputIteratorIb7NonZeroIdEPdlEENS0_5tupleIJPlS6_EEENSJ_IJSD_SD_EEES6_SK_JS6_EEE10hipError_tPvRmT3_T4_T5_T6_T7_T9_mT8_P12ihipStream_tbDpT10_ENKUlT_T0_E_clISt17integral_constantIbLb0EES16_EEDaS11_S12_EUlS11_E_NS1_11comp_targetILNS1_3genE8ELNS1_11target_archE1030ELNS1_3gpuE2ELNS1_3repE0EEENS1_30default_config_static_selectorELNS0_4arch9wavefront6targetE0EEEvT1_.kd
    .uniform_work_group_size: 1
    .uses_dynamic_stack: false
    .vgpr_count:     0
    .vgpr_spill_count: 0
    .wavefront_size: 32
    .workgroup_processor_mode: 1
  - .args:
      - .offset:         0
        .size:           136
        .value_kind:     by_value
    .group_segment_fixed_size: 0
    .kernarg_segment_align: 8
    .kernarg_segment_size: 136
    .language:       OpenCL C
    .language_version:
      - 2
      - 0
    .max_flat_workgroup_size: 128
    .name:           _ZN7rocprim17ROCPRIM_400000_NS6detail17trampoline_kernelINS0_14default_configENS1_25partition_config_selectorILNS1_17partition_subalgoE5ElNS0_10empty_typeEbEEZZNS1_14partition_implILS5_5ELb0ES3_mN6hipcub16HIPCUB_304000_NS21CountingInputIteratorIllEEPS6_NSA_22TransformInputIteratorIb7NonZeroIdEPdlEENS0_5tupleIJPlS6_EEENSJ_IJSD_SD_EEES6_SK_JS6_EEE10hipError_tPvRmT3_T4_T5_T6_T7_T9_mT8_P12ihipStream_tbDpT10_ENKUlT_T0_E_clISt17integral_constantIbLb1EES16_EEDaS11_S12_EUlS11_E_NS1_11comp_targetILNS1_3genE0ELNS1_11target_archE4294967295ELNS1_3gpuE0ELNS1_3repE0EEENS1_30default_config_static_selectorELNS0_4arch9wavefront6targetE0EEEvT1_
    .private_segment_fixed_size: 0
    .sgpr_count:     0
    .sgpr_spill_count: 0
    .symbol:         _ZN7rocprim17ROCPRIM_400000_NS6detail17trampoline_kernelINS0_14default_configENS1_25partition_config_selectorILNS1_17partition_subalgoE5ElNS0_10empty_typeEbEEZZNS1_14partition_implILS5_5ELb0ES3_mN6hipcub16HIPCUB_304000_NS21CountingInputIteratorIllEEPS6_NSA_22TransformInputIteratorIb7NonZeroIdEPdlEENS0_5tupleIJPlS6_EEENSJ_IJSD_SD_EEES6_SK_JS6_EEE10hipError_tPvRmT3_T4_T5_T6_T7_T9_mT8_P12ihipStream_tbDpT10_ENKUlT_T0_E_clISt17integral_constantIbLb1EES16_EEDaS11_S12_EUlS11_E_NS1_11comp_targetILNS1_3genE0ELNS1_11target_archE4294967295ELNS1_3gpuE0ELNS1_3repE0EEENS1_30default_config_static_selectorELNS0_4arch9wavefront6targetE0EEEvT1_.kd
    .uniform_work_group_size: 1
    .uses_dynamic_stack: false
    .vgpr_count:     0
    .vgpr_spill_count: 0
    .wavefront_size: 32
    .workgroup_processor_mode: 1
  - .args:
      - .offset:         0
        .size:           136
        .value_kind:     by_value
    .group_segment_fixed_size: 0
    .kernarg_segment_align: 8
    .kernarg_segment_size: 136
    .language:       OpenCL C
    .language_version:
      - 2
      - 0
    .max_flat_workgroup_size: 512
    .name:           _ZN7rocprim17ROCPRIM_400000_NS6detail17trampoline_kernelINS0_14default_configENS1_25partition_config_selectorILNS1_17partition_subalgoE5ElNS0_10empty_typeEbEEZZNS1_14partition_implILS5_5ELb0ES3_mN6hipcub16HIPCUB_304000_NS21CountingInputIteratorIllEEPS6_NSA_22TransformInputIteratorIb7NonZeroIdEPdlEENS0_5tupleIJPlS6_EEENSJ_IJSD_SD_EEES6_SK_JS6_EEE10hipError_tPvRmT3_T4_T5_T6_T7_T9_mT8_P12ihipStream_tbDpT10_ENKUlT_T0_E_clISt17integral_constantIbLb1EES16_EEDaS11_S12_EUlS11_E_NS1_11comp_targetILNS1_3genE5ELNS1_11target_archE942ELNS1_3gpuE9ELNS1_3repE0EEENS1_30default_config_static_selectorELNS0_4arch9wavefront6targetE0EEEvT1_
    .private_segment_fixed_size: 0
    .sgpr_count:     0
    .sgpr_spill_count: 0
    .symbol:         _ZN7rocprim17ROCPRIM_400000_NS6detail17trampoline_kernelINS0_14default_configENS1_25partition_config_selectorILNS1_17partition_subalgoE5ElNS0_10empty_typeEbEEZZNS1_14partition_implILS5_5ELb0ES3_mN6hipcub16HIPCUB_304000_NS21CountingInputIteratorIllEEPS6_NSA_22TransformInputIteratorIb7NonZeroIdEPdlEENS0_5tupleIJPlS6_EEENSJ_IJSD_SD_EEES6_SK_JS6_EEE10hipError_tPvRmT3_T4_T5_T6_T7_T9_mT8_P12ihipStream_tbDpT10_ENKUlT_T0_E_clISt17integral_constantIbLb1EES16_EEDaS11_S12_EUlS11_E_NS1_11comp_targetILNS1_3genE5ELNS1_11target_archE942ELNS1_3gpuE9ELNS1_3repE0EEENS1_30default_config_static_selectorELNS0_4arch9wavefront6targetE0EEEvT1_.kd
    .uniform_work_group_size: 1
    .uses_dynamic_stack: false
    .vgpr_count:     0
    .vgpr_spill_count: 0
    .wavefront_size: 32
    .workgroup_processor_mode: 1
  - .args:
      - .offset:         0
        .size:           136
        .value_kind:     by_value
    .group_segment_fixed_size: 0
    .kernarg_segment_align: 8
    .kernarg_segment_size: 136
    .language:       OpenCL C
    .language_version:
      - 2
      - 0
    .max_flat_workgroup_size: 192
    .name:           _ZN7rocprim17ROCPRIM_400000_NS6detail17trampoline_kernelINS0_14default_configENS1_25partition_config_selectorILNS1_17partition_subalgoE5ElNS0_10empty_typeEbEEZZNS1_14partition_implILS5_5ELb0ES3_mN6hipcub16HIPCUB_304000_NS21CountingInputIteratorIllEEPS6_NSA_22TransformInputIteratorIb7NonZeroIdEPdlEENS0_5tupleIJPlS6_EEENSJ_IJSD_SD_EEES6_SK_JS6_EEE10hipError_tPvRmT3_T4_T5_T6_T7_T9_mT8_P12ihipStream_tbDpT10_ENKUlT_T0_E_clISt17integral_constantIbLb1EES16_EEDaS11_S12_EUlS11_E_NS1_11comp_targetILNS1_3genE4ELNS1_11target_archE910ELNS1_3gpuE8ELNS1_3repE0EEENS1_30default_config_static_selectorELNS0_4arch9wavefront6targetE0EEEvT1_
    .private_segment_fixed_size: 0
    .sgpr_count:     0
    .sgpr_spill_count: 0
    .symbol:         _ZN7rocprim17ROCPRIM_400000_NS6detail17trampoline_kernelINS0_14default_configENS1_25partition_config_selectorILNS1_17partition_subalgoE5ElNS0_10empty_typeEbEEZZNS1_14partition_implILS5_5ELb0ES3_mN6hipcub16HIPCUB_304000_NS21CountingInputIteratorIllEEPS6_NSA_22TransformInputIteratorIb7NonZeroIdEPdlEENS0_5tupleIJPlS6_EEENSJ_IJSD_SD_EEES6_SK_JS6_EEE10hipError_tPvRmT3_T4_T5_T6_T7_T9_mT8_P12ihipStream_tbDpT10_ENKUlT_T0_E_clISt17integral_constantIbLb1EES16_EEDaS11_S12_EUlS11_E_NS1_11comp_targetILNS1_3genE4ELNS1_11target_archE910ELNS1_3gpuE8ELNS1_3repE0EEENS1_30default_config_static_selectorELNS0_4arch9wavefront6targetE0EEEvT1_.kd
    .uniform_work_group_size: 1
    .uses_dynamic_stack: false
    .vgpr_count:     0
    .vgpr_spill_count: 0
    .wavefront_size: 32
    .workgroup_processor_mode: 1
  - .args:
      - .offset:         0
        .size:           136
        .value_kind:     by_value
    .group_segment_fixed_size: 0
    .kernarg_segment_align: 8
    .kernarg_segment_size: 136
    .language:       OpenCL C
    .language_version:
      - 2
      - 0
    .max_flat_workgroup_size: 128
    .name:           _ZN7rocprim17ROCPRIM_400000_NS6detail17trampoline_kernelINS0_14default_configENS1_25partition_config_selectorILNS1_17partition_subalgoE5ElNS0_10empty_typeEbEEZZNS1_14partition_implILS5_5ELb0ES3_mN6hipcub16HIPCUB_304000_NS21CountingInputIteratorIllEEPS6_NSA_22TransformInputIteratorIb7NonZeroIdEPdlEENS0_5tupleIJPlS6_EEENSJ_IJSD_SD_EEES6_SK_JS6_EEE10hipError_tPvRmT3_T4_T5_T6_T7_T9_mT8_P12ihipStream_tbDpT10_ENKUlT_T0_E_clISt17integral_constantIbLb1EES16_EEDaS11_S12_EUlS11_E_NS1_11comp_targetILNS1_3genE3ELNS1_11target_archE908ELNS1_3gpuE7ELNS1_3repE0EEENS1_30default_config_static_selectorELNS0_4arch9wavefront6targetE0EEEvT1_
    .private_segment_fixed_size: 0
    .sgpr_count:     0
    .sgpr_spill_count: 0
    .symbol:         _ZN7rocprim17ROCPRIM_400000_NS6detail17trampoline_kernelINS0_14default_configENS1_25partition_config_selectorILNS1_17partition_subalgoE5ElNS0_10empty_typeEbEEZZNS1_14partition_implILS5_5ELb0ES3_mN6hipcub16HIPCUB_304000_NS21CountingInputIteratorIllEEPS6_NSA_22TransformInputIteratorIb7NonZeroIdEPdlEENS0_5tupleIJPlS6_EEENSJ_IJSD_SD_EEES6_SK_JS6_EEE10hipError_tPvRmT3_T4_T5_T6_T7_T9_mT8_P12ihipStream_tbDpT10_ENKUlT_T0_E_clISt17integral_constantIbLb1EES16_EEDaS11_S12_EUlS11_E_NS1_11comp_targetILNS1_3genE3ELNS1_11target_archE908ELNS1_3gpuE7ELNS1_3repE0EEENS1_30default_config_static_selectorELNS0_4arch9wavefront6targetE0EEEvT1_.kd
    .uniform_work_group_size: 1
    .uses_dynamic_stack: false
    .vgpr_count:     0
    .vgpr_spill_count: 0
    .wavefront_size: 32
    .workgroup_processor_mode: 1
  - .args:
      - .offset:         0
        .size:           136
        .value_kind:     by_value
    .group_segment_fixed_size: 0
    .kernarg_segment_align: 8
    .kernarg_segment_size: 136
    .language:       OpenCL C
    .language_version:
      - 2
      - 0
    .max_flat_workgroup_size: 256
    .name:           _ZN7rocprim17ROCPRIM_400000_NS6detail17trampoline_kernelINS0_14default_configENS1_25partition_config_selectorILNS1_17partition_subalgoE5ElNS0_10empty_typeEbEEZZNS1_14partition_implILS5_5ELb0ES3_mN6hipcub16HIPCUB_304000_NS21CountingInputIteratorIllEEPS6_NSA_22TransformInputIteratorIb7NonZeroIdEPdlEENS0_5tupleIJPlS6_EEENSJ_IJSD_SD_EEES6_SK_JS6_EEE10hipError_tPvRmT3_T4_T5_T6_T7_T9_mT8_P12ihipStream_tbDpT10_ENKUlT_T0_E_clISt17integral_constantIbLb1EES16_EEDaS11_S12_EUlS11_E_NS1_11comp_targetILNS1_3genE2ELNS1_11target_archE906ELNS1_3gpuE6ELNS1_3repE0EEENS1_30default_config_static_selectorELNS0_4arch9wavefront6targetE0EEEvT1_
    .private_segment_fixed_size: 0
    .sgpr_count:     0
    .sgpr_spill_count: 0
    .symbol:         _ZN7rocprim17ROCPRIM_400000_NS6detail17trampoline_kernelINS0_14default_configENS1_25partition_config_selectorILNS1_17partition_subalgoE5ElNS0_10empty_typeEbEEZZNS1_14partition_implILS5_5ELb0ES3_mN6hipcub16HIPCUB_304000_NS21CountingInputIteratorIllEEPS6_NSA_22TransformInputIteratorIb7NonZeroIdEPdlEENS0_5tupleIJPlS6_EEENSJ_IJSD_SD_EEES6_SK_JS6_EEE10hipError_tPvRmT3_T4_T5_T6_T7_T9_mT8_P12ihipStream_tbDpT10_ENKUlT_T0_E_clISt17integral_constantIbLb1EES16_EEDaS11_S12_EUlS11_E_NS1_11comp_targetILNS1_3genE2ELNS1_11target_archE906ELNS1_3gpuE6ELNS1_3repE0EEENS1_30default_config_static_selectorELNS0_4arch9wavefront6targetE0EEEvT1_.kd
    .uniform_work_group_size: 1
    .uses_dynamic_stack: false
    .vgpr_count:     0
    .vgpr_spill_count: 0
    .wavefront_size: 32
    .workgroup_processor_mode: 1
  - .args:
      - .offset:         0
        .size:           136
        .value_kind:     by_value
    .group_segment_fixed_size: 0
    .kernarg_segment_align: 8
    .kernarg_segment_size: 136
    .language:       OpenCL C
    .language_version:
      - 2
      - 0
    .max_flat_workgroup_size: 256
    .name:           _ZN7rocprim17ROCPRIM_400000_NS6detail17trampoline_kernelINS0_14default_configENS1_25partition_config_selectorILNS1_17partition_subalgoE5ElNS0_10empty_typeEbEEZZNS1_14partition_implILS5_5ELb0ES3_mN6hipcub16HIPCUB_304000_NS21CountingInputIteratorIllEEPS6_NSA_22TransformInputIteratorIb7NonZeroIdEPdlEENS0_5tupleIJPlS6_EEENSJ_IJSD_SD_EEES6_SK_JS6_EEE10hipError_tPvRmT3_T4_T5_T6_T7_T9_mT8_P12ihipStream_tbDpT10_ENKUlT_T0_E_clISt17integral_constantIbLb1EES16_EEDaS11_S12_EUlS11_E_NS1_11comp_targetILNS1_3genE10ELNS1_11target_archE1200ELNS1_3gpuE4ELNS1_3repE0EEENS1_30default_config_static_selectorELNS0_4arch9wavefront6targetE0EEEvT1_
    .private_segment_fixed_size: 0
    .sgpr_count:     0
    .sgpr_spill_count: 0
    .symbol:         _ZN7rocprim17ROCPRIM_400000_NS6detail17trampoline_kernelINS0_14default_configENS1_25partition_config_selectorILNS1_17partition_subalgoE5ElNS0_10empty_typeEbEEZZNS1_14partition_implILS5_5ELb0ES3_mN6hipcub16HIPCUB_304000_NS21CountingInputIteratorIllEEPS6_NSA_22TransformInputIteratorIb7NonZeroIdEPdlEENS0_5tupleIJPlS6_EEENSJ_IJSD_SD_EEES6_SK_JS6_EEE10hipError_tPvRmT3_T4_T5_T6_T7_T9_mT8_P12ihipStream_tbDpT10_ENKUlT_T0_E_clISt17integral_constantIbLb1EES16_EEDaS11_S12_EUlS11_E_NS1_11comp_targetILNS1_3genE10ELNS1_11target_archE1200ELNS1_3gpuE4ELNS1_3repE0EEENS1_30default_config_static_selectorELNS0_4arch9wavefront6targetE0EEEvT1_.kd
    .uniform_work_group_size: 1
    .uses_dynamic_stack: false
    .vgpr_count:     0
    .vgpr_spill_count: 0
    .wavefront_size: 32
    .workgroup_processor_mode: 1
  - .args:
      - .offset:         0
        .size:           136
        .value_kind:     by_value
    .group_segment_fixed_size: 6160
    .kernarg_segment_align: 8
    .kernarg_segment_size: 136
    .language:       OpenCL C
    .language_version:
      - 2
      - 0
    .max_flat_workgroup_size: 128
    .name:           _ZN7rocprim17ROCPRIM_400000_NS6detail17trampoline_kernelINS0_14default_configENS1_25partition_config_selectorILNS1_17partition_subalgoE5ElNS0_10empty_typeEbEEZZNS1_14partition_implILS5_5ELb0ES3_mN6hipcub16HIPCUB_304000_NS21CountingInputIteratorIllEEPS6_NSA_22TransformInputIteratorIb7NonZeroIdEPdlEENS0_5tupleIJPlS6_EEENSJ_IJSD_SD_EEES6_SK_JS6_EEE10hipError_tPvRmT3_T4_T5_T6_T7_T9_mT8_P12ihipStream_tbDpT10_ENKUlT_T0_E_clISt17integral_constantIbLb1EES16_EEDaS11_S12_EUlS11_E_NS1_11comp_targetILNS1_3genE9ELNS1_11target_archE1100ELNS1_3gpuE3ELNS1_3repE0EEENS1_30default_config_static_selectorELNS0_4arch9wavefront6targetE0EEEvT1_
    .private_segment_fixed_size: 0
    .sgpr_count:     26
    .sgpr_spill_count: 0
    .symbol:         _ZN7rocprim17ROCPRIM_400000_NS6detail17trampoline_kernelINS0_14default_configENS1_25partition_config_selectorILNS1_17partition_subalgoE5ElNS0_10empty_typeEbEEZZNS1_14partition_implILS5_5ELb0ES3_mN6hipcub16HIPCUB_304000_NS21CountingInputIteratorIllEEPS6_NSA_22TransformInputIteratorIb7NonZeroIdEPdlEENS0_5tupleIJPlS6_EEENSJ_IJSD_SD_EEES6_SK_JS6_EEE10hipError_tPvRmT3_T4_T5_T6_T7_T9_mT8_P12ihipStream_tbDpT10_ENKUlT_T0_E_clISt17integral_constantIbLb1EES16_EEDaS11_S12_EUlS11_E_NS1_11comp_targetILNS1_3genE9ELNS1_11target_archE1100ELNS1_3gpuE3ELNS1_3repE0EEENS1_30default_config_static_selectorELNS0_4arch9wavefront6targetE0EEEvT1_.kd
    .uniform_work_group_size: 1
    .uses_dynamic_stack: false
    .vgpr_count:     57
    .vgpr_spill_count: 0
    .wavefront_size: 32
    .workgroup_processor_mode: 1
  - .args:
      - .offset:         0
        .size:           136
        .value_kind:     by_value
    .group_segment_fixed_size: 0
    .kernarg_segment_align: 8
    .kernarg_segment_size: 136
    .language:       OpenCL C
    .language_version:
      - 2
      - 0
    .max_flat_workgroup_size: 512
    .name:           _ZN7rocprim17ROCPRIM_400000_NS6detail17trampoline_kernelINS0_14default_configENS1_25partition_config_selectorILNS1_17partition_subalgoE5ElNS0_10empty_typeEbEEZZNS1_14partition_implILS5_5ELb0ES3_mN6hipcub16HIPCUB_304000_NS21CountingInputIteratorIllEEPS6_NSA_22TransformInputIteratorIb7NonZeroIdEPdlEENS0_5tupleIJPlS6_EEENSJ_IJSD_SD_EEES6_SK_JS6_EEE10hipError_tPvRmT3_T4_T5_T6_T7_T9_mT8_P12ihipStream_tbDpT10_ENKUlT_T0_E_clISt17integral_constantIbLb1EES16_EEDaS11_S12_EUlS11_E_NS1_11comp_targetILNS1_3genE8ELNS1_11target_archE1030ELNS1_3gpuE2ELNS1_3repE0EEENS1_30default_config_static_selectorELNS0_4arch9wavefront6targetE0EEEvT1_
    .private_segment_fixed_size: 0
    .sgpr_count:     0
    .sgpr_spill_count: 0
    .symbol:         _ZN7rocprim17ROCPRIM_400000_NS6detail17trampoline_kernelINS0_14default_configENS1_25partition_config_selectorILNS1_17partition_subalgoE5ElNS0_10empty_typeEbEEZZNS1_14partition_implILS5_5ELb0ES3_mN6hipcub16HIPCUB_304000_NS21CountingInputIteratorIllEEPS6_NSA_22TransformInputIteratorIb7NonZeroIdEPdlEENS0_5tupleIJPlS6_EEENSJ_IJSD_SD_EEES6_SK_JS6_EEE10hipError_tPvRmT3_T4_T5_T6_T7_T9_mT8_P12ihipStream_tbDpT10_ENKUlT_T0_E_clISt17integral_constantIbLb1EES16_EEDaS11_S12_EUlS11_E_NS1_11comp_targetILNS1_3genE8ELNS1_11target_archE1030ELNS1_3gpuE2ELNS1_3repE0EEENS1_30default_config_static_selectorELNS0_4arch9wavefront6targetE0EEEvT1_.kd
    .uniform_work_group_size: 1
    .uses_dynamic_stack: false
    .vgpr_count:     0
    .vgpr_spill_count: 0
    .wavefront_size: 32
    .workgroup_processor_mode: 1
  - .args:
      - .offset:         0
        .size:           120
        .value_kind:     by_value
    .group_segment_fixed_size: 0
    .kernarg_segment_align: 8
    .kernarg_segment_size: 120
    .language:       OpenCL C
    .language_version:
      - 2
      - 0
    .max_flat_workgroup_size: 128
    .name:           _ZN7rocprim17ROCPRIM_400000_NS6detail17trampoline_kernelINS0_14default_configENS1_25partition_config_selectorILNS1_17partition_subalgoE5ElNS0_10empty_typeEbEEZZNS1_14partition_implILS5_5ELb0ES3_mN6hipcub16HIPCUB_304000_NS21CountingInputIteratorIllEEPS6_NSA_22TransformInputIteratorIb7NonZeroIdEPdlEENS0_5tupleIJPlS6_EEENSJ_IJSD_SD_EEES6_SK_JS6_EEE10hipError_tPvRmT3_T4_T5_T6_T7_T9_mT8_P12ihipStream_tbDpT10_ENKUlT_T0_E_clISt17integral_constantIbLb1EES15_IbLb0EEEEDaS11_S12_EUlS11_E_NS1_11comp_targetILNS1_3genE0ELNS1_11target_archE4294967295ELNS1_3gpuE0ELNS1_3repE0EEENS1_30default_config_static_selectorELNS0_4arch9wavefront6targetE0EEEvT1_
    .private_segment_fixed_size: 0
    .sgpr_count:     0
    .sgpr_spill_count: 0
    .symbol:         _ZN7rocprim17ROCPRIM_400000_NS6detail17trampoline_kernelINS0_14default_configENS1_25partition_config_selectorILNS1_17partition_subalgoE5ElNS0_10empty_typeEbEEZZNS1_14partition_implILS5_5ELb0ES3_mN6hipcub16HIPCUB_304000_NS21CountingInputIteratorIllEEPS6_NSA_22TransformInputIteratorIb7NonZeroIdEPdlEENS0_5tupleIJPlS6_EEENSJ_IJSD_SD_EEES6_SK_JS6_EEE10hipError_tPvRmT3_T4_T5_T6_T7_T9_mT8_P12ihipStream_tbDpT10_ENKUlT_T0_E_clISt17integral_constantIbLb1EES15_IbLb0EEEEDaS11_S12_EUlS11_E_NS1_11comp_targetILNS1_3genE0ELNS1_11target_archE4294967295ELNS1_3gpuE0ELNS1_3repE0EEENS1_30default_config_static_selectorELNS0_4arch9wavefront6targetE0EEEvT1_.kd
    .uniform_work_group_size: 1
    .uses_dynamic_stack: false
    .vgpr_count:     0
    .vgpr_spill_count: 0
    .wavefront_size: 32
    .workgroup_processor_mode: 1
  - .args:
      - .offset:         0
        .size:           120
        .value_kind:     by_value
    .group_segment_fixed_size: 0
    .kernarg_segment_align: 8
    .kernarg_segment_size: 120
    .language:       OpenCL C
    .language_version:
      - 2
      - 0
    .max_flat_workgroup_size: 512
    .name:           _ZN7rocprim17ROCPRIM_400000_NS6detail17trampoline_kernelINS0_14default_configENS1_25partition_config_selectorILNS1_17partition_subalgoE5ElNS0_10empty_typeEbEEZZNS1_14partition_implILS5_5ELb0ES3_mN6hipcub16HIPCUB_304000_NS21CountingInputIteratorIllEEPS6_NSA_22TransformInputIteratorIb7NonZeroIdEPdlEENS0_5tupleIJPlS6_EEENSJ_IJSD_SD_EEES6_SK_JS6_EEE10hipError_tPvRmT3_T4_T5_T6_T7_T9_mT8_P12ihipStream_tbDpT10_ENKUlT_T0_E_clISt17integral_constantIbLb1EES15_IbLb0EEEEDaS11_S12_EUlS11_E_NS1_11comp_targetILNS1_3genE5ELNS1_11target_archE942ELNS1_3gpuE9ELNS1_3repE0EEENS1_30default_config_static_selectorELNS0_4arch9wavefront6targetE0EEEvT1_
    .private_segment_fixed_size: 0
    .sgpr_count:     0
    .sgpr_spill_count: 0
    .symbol:         _ZN7rocprim17ROCPRIM_400000_NS6detail17trampoline_kernelINS0_14default_configENS1_25partition_config_selectorILNS1_17partition_subalgoE5ElNS0_10empty_typeEbEEZZNS1_14partition_implILS5_5ELb0ES3_mN6hipcub16HIPCUB_304000_NS21CountingInputIteratorIllEEPS6_NSA_22TransformInputIteratorIb7NonZeroIdEPdlEENS0_5tupleIJPlS6_EEENSJ_IJSD_SD_EEES6_SK_JS6_EEE10hipError_tPvRmT3_T4_T5_T6_T7_T9_mT8_P12ihipStream_tbDpT10_ENKUlT_T0_E_clISt17integral_constantIbLb1EES15_IbLb0EEEEDaS11_S12_EUlS11_E_NS1_11comp_targetILNS1_3genE5ELNS1_11target_archE942ELNS1_3gpuE9ELNS1_3repE0EEENS1_30default_config_static_selectorELNS0_4arch9wavefront6targetE0EEEvT1_.kd
    .uniform_work_group_size: 1
    .uses_dynamic_stack: false
    .vgpr_count:     0
    .vgpr_spill_count: 0
    .wavefront_size: 32
    .workgroup_processor_mode: 1
  - .args:
      - .offset:         0
        .size:           120
        .value_kind:     by_value
    .group_segment_fixed_size: 0
    .kernarg_segment_align: 8
    .kernarg_segment_size: 120
    .language:       OpenCL C
    .language_version:
      - 2
      - 0
    .max_flat_workgroup_size: 192
    .name:           _ZN7rocprim17ROCPRIM_400000_NS6detail17trampoline_kernelINS0_14default_configENS1_25partition_config_selectorILNS1_17partition_subalgoE5ElNS0_10empty_typeEbEEZZNS1_14partition_implILS5_5ELb0ES3_mN6hipcub16HIPCUB_304000_NS21CountingInputIteratorIllEEPS6_NSA_22TransformInputIteratorIb7NonZeroIdEPdlEENS0_5tupleIJPlS6_EEENSJ_IJSD_SD_EEES6_SK_JS6_EEE10hipError_tPvRmT3_T4_T5_T6_T7_T9_mT8_P12ihipStream_tbDpT10_ENKUlT_T0_E_clISt17integral_constantIbLb1EES15_IbLb0EEEEDaS11_S12_EUlS11_E_NS1_11comp_targetILNS1_3genE4ELNS1_11target_archE910ELNS1_3gpuE8ELNS1_3repE0EEENS1_30default_config_static_selectorELNS0_4arch9wavefront6targetE0EEEvT1_
    .private_segment_fixed_size: 0
    .sgpr_count:     0
    .sgpr_spill_count: 0
    .symbol:         _ZN7rocprim17ROCPRIM_400000_NS6detail17trampoline_kernelINS0_14default_configENS1_25partition_config_selectorILNS1_17partition_subalgoE5ElNS0_10empty_typeEbEEZZNS1_14partition_implILS5_5ELb0ES3_mN6hipcub16HIPCUB_304000_NS21CountingInputIteratorIllEEPS6_NSA_22TransformInputIteratorIb7NonZeroIdEPdlEENS0_5tupleIJPlS6_EEENSJ_IJSD_SD_EEES6_SK_JS6_EEE10hipError_tPvRmT3_T4_T5_T6_T7_T9_mT8_P12ihipStream_tbDpT10_ENKUlT_T0_E_clISt17integral_constantIbLb1EES15_IbLb0EEEEDaS11_S12_EUlS11_E_NS1_11comp_targetILNS1_3genE4ELNS1_11target_archE910ELNS1_3gpuE8ELNS1_3repE0EEENS1_30default_config_static_selectorELNS0_4arch9wavefront6targetE0EEEvT1_.kd
    .uniform_work_group_size: 1
    .uses_dynamic_stack: false
    .vgpr_count:     0
    .vgpr_spill_count: 0
    .wavefront_size: 32
    .workgroup_processor_mode: 1
  - .args:
      - .offset:         0
        .size:           120
        .value_kind:     by_value
    .group_segment_fixed_size: 0
    .kernarg_segment_align: 8
    .kernarg_segment_size: 120
    .language:       OpenCL C
    .language_version:
      - 2
      - 0
    .max_flat_workgroup_size: 128
    .name:           _ZN7rocprim17ROCPRIM_400000_NS6detail17trampoline_kernelINS0_14default_configENS1_25partition_config_selectorILNS1_17partition_subalgoE5ElNS0_10empty_typeEbEEZZNS1_14partition_implILS5_5ELb0ES3_mN6hipcub16HIPCUB_304000_NS21CountingInputIteratorIllEEPS6_NSA_22TransformInputIteratorIb7NonZeroIdEPdlEENS0_5tupleIJPlS6_EEENSJ_IJSD_SD_EEES6_SK_JS6_EEE10hipError_tPvRmT3_T4_T5_T6_T7_T9_mT8_P12ihipStream_tbDpT10_ENKUlT_T0_E_clISt17integral_constantIbLb1EES15_IbLb0EEEEDaS11_S12_EUlS11_E_NS1_11comp_targetILNS1_3genE3ELNS1_11target_archE908ELNS1_3gpuE7ELNS1_3repE0EEENS1_30default_config_static_selectorELNS0_4arch9wavefront6targetE0EEEvT1_
    .private_segment_fixed_size: 0
    .sgpr_count:     0
    .sgpr_spill_count: 0
    .symbol:         _ZN7rocprim17ROCPRIM_400000_NS6detail17trampoline_kernelINS0_14default_configENS1_25partition_config_selectorILNS1_17partition_subalgoE5ElNS0_10empty_typeEbEEZZNS1_14partition_implILS5_5ELb0ES3_mN6hipcub16HIPCUB_304000_NS21CountingInputIteratorIllEEPS6_NSA_22TransformInputIteratorIb7NonZeroIdEPdlEENS0_5tupleIJPlS6_EEENSJ_IJSD_SD_EEES6_SK_JS6_EEE10hipError_tPvRmT3_T4_T5_T6_T7_T9_mT8_P12ihipStream_tbDpT10_ENKUlT_T0_E_clISt17integral_constantIbLb1EES15_IbLb0EEEEDaS11_S12_EUlS11_E_NS1_11comp_targetILNS1_3genE3ELNS1_11target_archE908ELNS1_3gpuE7ELNS1_3repE0EEENS1_30default_config_static_selectorELNS0_4arch9wavefront6targetE0EEEvT1_.kd
    .uniform_work_group_size: 1
    .uses_dynamic_stack: false
    .vgpr_count:     0
    .vgpr_spill_count: 0
    .wavefront_size: 32
    .workgroup_processor_mode: 1
  - .args:
      - .offset:         0
        .size:           120
        .value_kind:     by_value
    .group_segment_fixed_size: 0
    .kernarg_segment_align: 8
    .kernarg_segment_size: 120
    .language:       OpenCL C
    .language_version:
      - 2
      - 0
    .max_flat_workgroup_size: 256
    .name:           _ZN7rocprim17ROCPRIM_400000_NS6detail17trampoline_kernelINS0_14default_configENS1_25partition_config_selectorILNS1_17partition_subalgoE5ElNS0_10empty_typeEbEEZZNS1_14partition_implILS5_5ELb0ES3_mN6hipcub16HIPCUB_304000_NS21CountingInputIteratorIllEEPS6_NSA_22TransformInputIteratorIb7NonZeroIdEPdlEENS0_5tupleIJPlS6_EEENSJ_IJSD_SD_EEES6_SK_JS6_EEE10hipError_tPvRmT3_T4_T5_T6_T7_T9_mT8_P12ihipStream_tbDpT10_ENKUlT_T0_E_clISt17integral_constantIbLb1EES15_IbLb0EEEEDaS11_S12_EUlS11_E_NS1_11comp_targetILNS1_3genE2ELNS1_11target_archE906ELNS1_3gpuE6ELNS1_3repE0EEENS1_30default_config_static_selectorELNS0_4arch9wavefront6targetE0EEEvT1_
    .private_segment_fixed_size: 0
    .sgpr_count:     0
    .sgpr_spill_count: 0
    .symbol:         _ZN7rocprim17ROCPRIM_400000_NS6detail17trampoline_kernelINS0_14default_configENS1_25partition_config_selectorILNS1_17partition_subalgoE5ElNS0_10empty_typeEbEEZZNS1_14partition_implILS5_5ELb0ES3_mN6hipcub16HIPCUB_304000_NS21CountingInputIteratorIllEEPS6_NSA_22TransformInputIteratorIb7NonZeroIdEPdlEENS0_5tupleIJPlS6_EEENSJ_IJSD_SD_EEES6_SK_JS6_EEE10hipError_tPvRmT3_T4_T5_T6_T7_T9_mT8_P12ihipStream_tbDpT10_ENKUlT_T0_E_clISt17integral_constantIbLb1EES15_IbLb0EEEEDaS11_S12_EUlS11_E_NS1_11comp_targetILNS1_3genE2ELNS1_11target_archE906ELNS1_3gpuE6ELNS1_3repE0EEENS1_30default_config_static_selectorELNS0_4arch9wavefront6targetE0EEEvT1_.kd
    .uniform_work_group_size: 1
    .uses_dynamic_stack: false
    .vgpr_count:     0
    .vgpr_spill_count: 0
    .wavefront_size: 32
    .workgroup_processor_mode: 1
  - .args:
      - .offset:         0
        .size:           120
        .value_kind:     by_value
    .group_segment_fixed_size: 0
    .kernarg_segment_align: 8
    .kernarg_segment_size: 120
    .language:       OpenCL C
    .language_version:
      - 2
      - 0
    .max_flat_workgroup_size: 256
    .name:           _ZN7rocprim17ROCPRIM_400000_NS6detail17trampoline_kernelINS0_14default_configENS1_25partition_config_selectorILNS1_17partition_subalgoE5ElNS0_10empty_typeEbEEZZNS1_14partition_implILS5_5ELb0ES3_mN6hipcub16HIPCUB_304000_NS21CountingInputIteratorIllEEPS6_NSA_22TransformInputIteratorIb7NonZeroIdEPdlEENS0_5tupleIJPlS6_EEENSJ_IJSD_SD_EEES6_SK_JS6_EEE10hipError_tPvRmT3_T4_T5_T6_T7_T9_mT8_P12ihipStream_tbDpT10_ENKUlT_T0_E_clISt17integral_constantIbLb1EES15_IbLb0EEEEDaS11_S12_EUlS11_E_NS1_11comp_targetILNS1_3genE10ELNS1_11target_archE1200ELNS1_3gpuE4ELNS1_3repE0EEENS1_30default_config_static_selectorELNS0_4arch9wavefront6targetE0EEEvT1_
    .private_segment_fixed_size: 0
    .sgpr_count:     0
    .sgpr_spill_count: 0
    .symbol:         _ZN7rocprim17ROCPRIM_400000_NS6detail17trampoline_kernelINS0_14default_configENS1_25partition_config_selectorILNS1_17partition_subalgoE5ElNS0_10empty_typeEbEEZZNS1_14partition_implILS5_5ELb0ES3_mN6hipcub16HIPCUB_304000_NS21CountingInputIteratorIllEEPS6_NSA_22TransformInputIteratorIb7NonZeroIdEPdlEENS0_5tupleIJPlS6_EEENSJ_IJSD_SD_EEES6_SK_JS6_EEE10hipError_tPvRmT3_T4_T5_T6_T7_T9_mT8_P12ihipStream_tbDpT10_ENKUlT_T0_E_clISt17integral_constantIbLb1EES15_IbLb0EEEEDaS11_S12_EUlS11_E_NS1_11comp_targetILNS1_3genE10ELNS1_11target_archE1200ELNS1_3gpuE4ELNS1_3repE0EEENS1_30default_config_static_selectorELNS0_4arch9wavefront6targetE0EEEvT1_.kd
    .uniform_work_group_size: 1
    .uses_dynamic_stack: false
    .vgpr_count:     0
    .vgpr_spill_count: 0
    .wavefront_size: 32
    .workgroup_processor_mode: 1
  - .args:
      - .offset:         0
        .size:           120
        .value_kind:     by_value
    .group_segment_fixed_size: 6160
    .kernarg_segment_align: 8
    .kernarg_segment_size: 120
    .language:       OpenCL C
    .language_version:
      - 2
      - 0
    .max_flat_workgroup_size: 128
    .name:           _ZN7rocprim17ROCPRIM_400000_NS6detail17trampoline_kernelINS0_14default_configENS1_25partition_config_selectorILNS1_17partition_subalgoE5ElNS0_10empty_typeEbEEZZNS1_14partition_implILS5_5ELb0ES3_mN6hipcub16HIPCUB_304000_NS21CountingInputIteratorIllEEPS6_NSA_22TransformInputIteratorIb7NonZeroIdEPdlEENS0_5tupleIJPlS6_EEENSJ_IJSD_SD_EEES6_SK_JS6_EEE10hipError_tPvRmT3_T4_T5_T6_T7_T9_mT8_P12ihipStream_tbDpT10_ENKUlT_T0_E_clISt17integral_constantIbLb1EES15_IbLb0EEEEDaS11_S12_EUlS11_E_NS1_11comp_targetILNS1_3genE9ELNS1_11target_archE1100ELNS1_3gpuE3ELNS1_3repE0EEENS1_30default_config_static_selectorELNS0_4arch9wavefront6targetE0EEEvT1_
    .private_segment_fixed_size: 0
    .sgpr_count:     23
    .sgpr_spill_count: 0
    .symbol:         _ZN7rocprim17ROCPRIM_400000_NS6detail17trampoline_kernelINS0_14default_configENS1_25partition_config_selectorILNS1_17partition_subalgoE5ElNS0_10empty_typeEbEEZZNS1_14partition_implILS5_5ELb0ES3_mN6hipcub16HIPCUB_304000_NS21CountingInputIteratorIllEEPS6_NSA_22TransformInputIteratorIb7NonZeroIdEPdlEENS0_5tupleIJPlS6_EEENSJ_IJSD_SD_EEES6_SK_JS6_EEE10hipError_tPvRmT3_T4_T5_T6_T7_T9_mT8_P12ihipStream_tbDpT10_ENKUlT_T0_E_clISt17integral_constantIbLb1EES15_IbLb0EEEEDaS11_S12_EUlS11_E_NS1_11comp_targetILNS1_3genE9ELNS1_11target_archE1100ELNS1_3gpuE3ELNS1_3repE0EEENS1_30default_config_static_selectorELNS0_4arch9wavefront6targetE0EEEvT1_.kd
    .uniform_work_group_size: 1
    .uses_dynamic_stack: false
    .vgpr_count:     57
    .vgpr_spill_count: 0
    .wavefront_size: 32
    .workgroup_processor_mode: 1
  - .args:
      - .offset:         0
        .size:           120
        .value_kind:     by_value
    .group_segment_fixed_size: 0
    .kernarg_segment_align: 8
    .kernarg_segment_size: 120
    .language:       OpenCL C
    .language_version:
      - 2
      - 0
    .max_flat_workgroup_size: 512
    .name:           _ZN7rocprim17ROCPRIM_400000_NS6detail17trampoline_kernelINS0_14default_configENS1_25partition_config_selectorILNS1_17partition_subalgoE5ElNS0_10empty_typeEbEEZZNS1_14partition_implILS5_5ELb0ES3_mN6hipcub16HIPCUB_304000_NS21CountingInputIteratorIllEEPS6_NSA_22TransformInputIteratorIb7NonZeroIdEPdlEENS0_5tupleIJPlS6_EEENSJ_IJSD_SD_EEES6_SK_JS6_EEE10hipError_tPvRmT3_T4_T5_T6_T7_T9_mT8_P12ihipStream_tbDpT10_ENKUlT_T0_E_clISt17integral_constantIbLb1EES15_IbLb0EEEEDaS11_S12_EUlS11_E_NS1_11comp_targetILNS1_3genE8ELNS1_11target_archE1030ELNS1_3gpuE2ELNS1_3repE0EEENS1_30default_config_static_selectorELNS0_4arch9wavefront6targetE0EEEvT1_
    .private_segment_fixed_size: 0
    .sgpr_count:     0
    .sgpr_spill_count: 0
    .symbol:         _ZN7rocprim17ROCPRIM_400000_NS6detail17trampoline_kernelINS0_14default_configENS1_25partition_config_selectorILNS1_17partition_subalgoE5ElNS0_10empty_typeEbEEZZNS1_14partition_implILS5_5ELb0ES3_mN6hipcub16HIPCUB_304000_NS21CountingInputIteratorIllEEPS6_NSA_22TransformInputIteratorIb7NonZeroIdEPdlEENS0_5tupleIJPlS6_EEENSJ_IJSD_SD_EEES6_SK_JS6_EEE10hipError_tPvRmT3_T4_T5_T6_T7_T9_mT8_P12ihipStream_tbDpT10_ENKUlT_T0_E_clISt17integral_constantIbLb1EES15_IbLb0EEEEDaS11_S12_EUlS11_E_NS1_11comp_targetILNS1_3genE8ELNS1_11target_archE1030ELNS1_3gpuE2ELNS1_3repE0EEENS1_30default_config_static_selectorELNS0_4arch9wavefront6targetE0EEEvT1_.kd
    .uniform_work_group_size: 1
    .uses_dynamic_stack: false
    .vgpr_count:     0
    .vgpr_spill_count: 0
    .wavefront_size: 32
    .workgroup_processor_mode: 1
  - .args:
      - .offset:         0
        .size:           136
        .value_kind:     by_value
    .group_segment_fixed_size: 0
    .kernarg_segment_align: 8
    .kernarg_segment_size: 136
    .language:       OpenCL C
    .language_version:
      - 2
      - 0
    .max_flat_workgroup_size: 128
    .name:           _ZN7rocprim17ROCPRIM_400000_NS6detail17trampoline_kernelINS0_14default_configENS1_25partition_config_selectorILNS1_17partition_subalgoE5ElNS0_10empty_typeEbEEZZNS1_14partition_implILS5_5ELb0ES3_mN6hipcub16HIPCUB_304000_NS21CountingInputIteratorIllEEPS6_NSA_22TransformInputIteratorIb7NonZeroIdEPdlEENS0_5tupleIJPlS6_EEENSJ_IJSD_SD_EEES6_SK_JS6_EEE10hipError_tPvRmT3_T4_T5_T6_T7_T9_mT8_P12ihipStream_tbDpT10_ENKUlT_T0_E_clISt17integral_constantIbLb0EES15_IbLb1EEEEDaS11_S12_EUlS11_E_NS1_11comp_targetILNS1_3genE0ELNS1_11target_archE4294967295ELNS1_3gpuE0ELNS1_3repE0EEENS1_30default_config_static_selectorELNS0_4arch9wavefront6targetE0EEEvT1_
    .private_segment_fixed_size: 0
    .sgpr_count:     0
    .sgpr_spill_count: 0
    .symbol:         _ZN7rocprim17ROCPRIM_400000_NS6detail17trampoline_kernelINS0_14default_configENS1_25partition_config_selectorILNS1_17partition_subalgoE5ElNS0_10empty_typeEbEEZZNS1_14partition_implILS5_5ELb0ES3_mN6hipcub16HIPCUB_304000_NS21CountingInputIteratorIllEEPS6_NSA_22TransformInputIteratorIb7NonZeroIdEPdlEENS0_5tupleIJPlS6_EEENSJ_IJSD_SD_EEES6_SK_JS6_EEE10hipError_tPvRmT3_T4_T5_T6_T7_T9_mT8_P12ihipStream_tbDpT10_ENKUlT_T0_E_clISt17integral_constantIbLb0EES15_IbLb1EEEEDaS11_S12_EUlS11_E_NS1_11comp_targetILNS1_3genE0ELNS1_11target_archE4294967295ELNS1_3gpuE0ELNS1_3repE0EEENS1_30default_config_static_selectorELNS0_4arch9wavefront6targetE0EEEvT1_.kd
    .uniform_work_group_size: 1
    .uses_dynamic_stack: false
    .vgpr_count:     0
    .vgpr_spill_count: 0
    .wavefront_size: 32
    .workgroup_processor_mode: 1
  - .args:
      - .offset:         0
        .size:           136
        .value_kind:     by_value
    .group_segment_fixed_size: 0
    .kernarg_segment_align: 8
    .kernarg_segment_size: 136
    .language:       OpenCL C
    .language_version:
      - 2
      - 0
    .max_flat_workgroup_size: 512
    .name:           _ZN7rocprim17ROCPRIM_400000_NS6detail17trampoline_kernelINS0_14default_configENS1_25partition_config_selectorILNS1_17partition_subalgoE5ElNS0_10empty_typeEbEEZZNS1_14partition_implILS5_5ELb0ES3_mN6hipcub16HIPCUB_304000_NS21CountingInputIteratorIllEEPS6_NSA_22TransformInputIteratorIb7NonZeroIdEPdlEENS0_5tupleIJPlS6_EEENSJ_IJSD_SD_EEES6_SK_JS6_EEE10hipError_tPvRmT3_T4_T5_T6_T7_T9_mT8_P12ihipStream_tbDpT10_ENKUlT_T0_E_clISt17integral_constantIbLb0EES15_IbLb1EEEEDaS11_S12_EUlS11_E_NS1_11comp_targetILNS1_3genE5ELNS1_11target_archE942ELNS1_3gpuE9ELNS1_3repE0EEENS1_30default_config_static_selectorELNS0_4arch9wavefront6targetE0EEEvT1_
    .private_segment_fixed_size: 0
    .sgpr_count:     0
    .sgpr_spill_count: 0
    .symbol:         _ZN7rocprim17ROCPRIM_400000_NS6detail17trampoline_kernelINS0_14default_configENS1_25partition_config_selectorILNS1_17partition_subalgoE5ElNS0_10empty_typeEbEEZZNS1_14partition_implILS5_5ELb0ES3_mN6hipcub16HIPCUB_304000_NS21CountingInputIteratorIllEEPS6_NSA_22TransformInputIteratorIb7NonZeroIdEPdlEENS0_5tupleIJPlS6_EEENSJ_IJSD_SD_EEES6_SK_JS6_EEE10hipError_tPvRmT3_T4_T5_T6_T7_T9_mT8_P12ihipStream_tbDpT10_ENKUlT_T0_E_clISt17integral_constantIbLb0EES15_IbLb1EEEEDaS11_S12_EUlS11_E_NS1_11comp_targetILNS1_3genE5ELNS1_11target_archE942ELNS1_3gpuE9ELNS1_3repE0EEENS1_30default_config_static_selectorELNS0_4arch9wavefront6targetE0EEEvT1_.kd
    .uniform_work_group_size: 1
    .uses_dynamic_stack: false
    .vgpr_count:     0
    .vgpr_spill_count: 0
    .wavefront_size: 32
    .workgroup_processor_mode: 1
  - .args:
      - .offset:         0
        .size:           136
        .value_kind:     by_value
    .group_segment_fixed_size: 0
    .kernarg_segment_align: 8
    .kernarg_segment_size: 136
    .language:       OpenCL C
    .language_version:
      - 2
      - 0
    .max_flat_workgroup_size: 192
    .name:           _ZN7rocprim17ROCPRIM_400000_NS6detail17trampoline_kernelINS0_14default_configENS1_25partition_config_selectorILNS1_17partition_subalgoE5ElNS0_10empty_typeEbEEZZNS1_14partition_implILS5_5ELb0ES3_mN6hipcub16HIPCUB_304000_NS21CountingInputIteratorIllEEPS6_NSA_22TransformInputIteratorIb7NonZeroIdEPdlEENS0_5tupleIJPlS6_EEENSJ_IJSD_SD_EEES6_SK_JS6_EEE10hipError_tPvRmT3_T4_T5_T6_T7_T9_mT8_P12ihipStream_tbDpT10_ENKUlT_T0_E_clISt17integral_constantIbLb0EES15_IbLb1EEEEDaS11_S12_EUlS11_E_NS1_11comp_targetILNS1_3genE4ELNS1_11target_archE910ELNS1_3gpuE8ELNS1_3repE0EEENS1_30default_config_static_selectorELNS0_4arch9wavefront6targetE0EEEvT1_
    .private_segment_fixed_size: 0
    .sgpr_count:     0
    .sgpr_spill_count: 0
    .symbol:         _ZN7rocprim17ROCPRIM_400000_NS6detail17trampoline_kernelINS0_14default_configENS1_25partition_config_selectorILNS1_17partition_subalgoE5ElNS0_10empty_typeEbEEZZNS1_14partition_implILS5_5ELb0ES3_mN6hipcub16HIPCUB_304000_NS21CountingInputIteratorIllEEPS6_NSA_22TransformInputIteratorIb7NonZeroIdEPdlEENS0_5tupleIJPlS6_EEENSJ_IJSD_SD_EEES6_SK_JS6_EEE10hipError_tPvRmT3_T4_T5_T6_T7_T9_mT8_P12ihipStream_tbDpT10_ENKUlT_T0_E_clISt17integral_constantIbLb0EES15_IbLb1EEEEDaS11_S12_EUlS11_E_NS1_11comp_targetILNS1_3genE4ELNS1_11target_archE910ELNS1_3gpuE8ELNS1_3repE0EEENS1_30default_config_static_selectorELNS0_4arch9wavefront6targetE0EEEvT1_.kd
    .uniform_work_group_size: 1
    .uses_dynamic_stack: false
    .vgpr_count:     0
    .vgpr_spill_count: 0
    .wavefront_size: 32
    .workgroup_processor_mode: 1
  - .args:
      - .offset:         0
        .size:           136
        .value_kind:     by_value
    .group_segment_fixed_size: 0
    .kernarg_segment_align: 8
    .kernarg_segment_size: 136
    .language:       OpenCL C
    .language_version:
      - 2
      - 0
    .max_flat_workgroup_size: 128
    .name:           _ZN7rocprim17ROCPRIM_400000_NS6detail17trampoline_kernelINS0_14default_configENS1_25partition_config_selectorILNS1_17partition_subalgoE5ElNS0_10empty_typeEbEEZZNS1_14partition_implILS5_5ELb0ES3_mN6hipcub16HIPCUB_304000_NS21CountingInputIteratorIllEEPS6_NSA_22TransformInputIteratorIb7NonZeroIdEPdlEENS0_5tupleIJPlS6_EEENSJ_IJSD_SD_EEES6_SK_JS6_EEE10hipError_tPvRmT3_T4_T5_T6_T7_T9_mT8_P12ihipStream_tbDpT10_ENKUlT_T0_E_clISt17integral_constantIbLb0EES15_IbLb1EEEEDaS11_S12_EUlS11_E_NS1_11comp_targetILNS1_3genE3ELNS1_11target_archE908ELNS1_3gpuE7ELNS1_3repE0EEENS1_30default_config_static_selectorELNS0_4arch9wavefront6targetE0EEEvT1_
    .private_segment_fixed_size: 0
    .sgpr_count:     0
    .sgpr_spill_count: 0
    .symbol:         _ZN7rocprim17ROCPRIM_400000_NS6detail17trampoline_kernelINS0_14default_configENS1_25partition_config_selectorILNS1_17partition_subalgoE5ElNS0_10empty_typeEbEEZZNS1_14partition_implILS5_5ELb0ES3_mN6hipcub16HIPCUB_304000_NS21CountingInputIteratorIllEEPS6_NSA_22TransformInputIteratorIb7NonZeroIdEPdlEENS0_5tupleIJPlS6_EEENSJ_IJSD_SD_EEES6_SK_JS6_EEE10hipError_tPvRmT3_T4_T5_T6_T7_T9_mT8_P12ihipStream_tbDpT10_ENKUlT_T0_E_clISt17integral_constantIbLb0EES15_IbLb1EEEEDaS11_S12_EUlS11_E_NS1_11comp_targetILNS1_3genE3ELNS1_11target_archE908ELNS1_3gpuE7ELNS1_3repE0EEENS1_30default_config_static_selectorELNS0_4arch9wavefront6targetE0EEEvT1_.kd
    .uniform_work_group_size: 1
    .uses_dynamic_stack: false
    .vgpr_count:     0
    .vgpr_spill_count: 0
    .wavefront_size: 32
    .workgroup_processor_mode: 1
  - .args:
      - .offset:         0
        .size:           136
        .value_kind:     by_value
    .group_segment_fixed_size: 0
    .kernarg_segment_align: 8
    .kernarg_segment_size: 136
    .language:       OpenCL C
    .language_version:
      - 2
      - 0
    .max_flat_workgroup_size: 256
    .name:           _ZN7rocprim17ROCPRIM_400000_NS6detail17trampoline_kernelINS0_14default_configENS1_25partition_config_selectorILNS1_17partition_subalgoE5ElNS0_10empty_typeEbEEZZNS1_14partition_implILS5_5ELb0ES3_mN6hipcub16HIPCUB_304000_NS21CountingInputIteratorIllEEPS6_NSA_22TransformInputIteratorIb7NonZeroIdEPdlEENS0_5tupleIJPlS6_EEENSJ_IJSD_SD_EEES6_SK_JS6_EEE10hipError_tPvRmT3_T4_T5_T6_T7_T9_mT8_P12ihipStream_tbDpT10_ENKUlT_T0_E_clISt17integral_constantIbLb0EES15_IbLb1EEEEDaS11_S12_EUlS11_E_NS1_11comp_targetILNS1_3genE2ELNS1_11target_archE906ELNS1_3gpuE6ELNS1_3repE0EEENS1_30default_config_static_selectorELNS0_4arch9wavefront6targetE0EEEvT1_
    .private_segment_fixed_size: 0
    .sgpr_count:     0
    .sgpr_spill_count: 0
    .symbol:         _ZN7rocprim17ROCPRIM_400000_NS6detail17trampoline_kernelINS0_14default_configENS1_25partition_config_selectorILNS1_17partition_subalgoE5ElNS0_10empty_typeEbEEZZNS1_14partition_implILS5_5ELb0ES3_mN6hipcub16HIPCUB_304000_NS21CountingInputIteratorIllEEPS6_NSA_22TransformInputIteratorIb7NonZeroIdEPdlEENS0_5tupleIJPlS6_EEENSJ_IJSD_SD_EEES6_SK_JS6_EEE10hipError_tPvRmT3_T4_T5_T6_T7_T9_mT8_P12ihipStream_tbDpT10_ENKUlT_T0_E_clISt17integral_constantIbLb0EES15_IbLb1EEEEDaS11_S12_EUlS11_E_NS1_11comp_targetILNS1_3genE2ELNS1_11target_archE906ELNS1_3gpuE6ELNS1_3repE0EEENS1_30default_config_static_selectorELNS0_4arch9wavefront6targetE0EEEvT1_.kd
    .uniform_work_group_size: 1
    .uses_dynamic_stack: false
    .vgpr_count:     0
    .vgpr_spill_count: 0
    .wavefront_size: 32
    .workgroup_processor_mode: 1
  - .args:
      - .offset:         0
        .size:           136
        .value_kind:     by_value
    .group_segment_fixed_size: 0
    .kernarg_segment_align: 8
    .kernarg_segment_size: 136
    .language:       OpenCL C
    .language_version:
      - 2
      - 0
    .max_flat_workgroup_size: 256
    .name:           _ZN7rocprim17ROCPRIM_400000_NS6detail17trampoline_kernelINS0_14default_configENS1_25partition_config_selectorILNS1_17partition_subalgoE5ElNS0_10empty_typeEbEEZZNS1_14partition_implILS5_5ELb0ES3_mN6hipcub16HIPCUB_304000_NS21CountingInputIteratorIllEEPS6_NSA_22TransformInputIteratorIb7NonZeroIdEPdlEENS0_5tupleIJPlS6_EEENSJ_IJSD_SD_EEES6_SK_JS6_EEE10hipError_tPvRmT3_T4_T5_T6_T7_T9_mT8_P12ihipStream_tbDpT10_ENKUlT_T0_E_clISt17integral_constantIbLb0EES15_IbLb1EEEEDaS11_S12_EUlS11_E_NS1_11comp_targetILNS1_3genE10ELNS1_11target_archE1200ELNS1_3gpuE4ELNS1_3repE0EEENS1_30default_config_static_selectorELNS0_4arch9wavefront6targetE0EEEvT1_
    .private_segment_fixed_size: 0
    .sgpr_count:     0
    .sgpr_spill_count: 0
    .symbol:         _ZN7rocprim17ROCPRIM_400000_NS6detail17trampoline_kernelINS0_14default_configENS1_25partition_config_selectorILNS1_17partition_subalgoE5ElNS0_10empty_typeEbEEZZNS1_14partition_implILS5_5ELb0ES3_mN6hipcub16HIPCUB_304000_NS21CountingInputIteratorIllEEPS6_NSA_22TransformInputIteratorIb7NonZeroIdEPdlEENS0_5tupleIJPlS6_EEENSJ_IJSD_SD_EEES6_SK_JS6_EEE10hipError_tPvRmT3_T4_T5_T6_T7_T9_mT8_P12ihipStream_tbDpT10_ENKUlT_T0_E_clISt17integral_constantIbLb0EES15_IbLb1EEEEDaS11_S12_EUlS11_E_NS1_11comp_targetILNS1_3genE10ELNS1_11target_archE1200ELNS1_3gpuE4ELNS1_3repE0EEENS1_30default_config_static_selectorELNS0_4arch9wavefront6targetE0EEEvT1_.kd
    .uniform_work_group_size: 1
    .uses_dynamic_stack: false
    .vgpr_count:     0
    .vgpr_spill_count: 0
    .wavefront_size: 32
    .workgroup_processor_mode: 1
  - .args:
      - .offset:         0
        .size:           136
        .value_kind:     by_value
    .group_segment_fixed_size: 6160
    .kernarg_segment_align: 8
    .kernarg_segment_size: 136
    .language:       OpenCL C
    .language_version:
      - 2
      - 0
    .max_flat_workgroup_size: 128
    .name:           _ZN7rocprim17ROCPRIM_400000_NS6detail17trampoline_kernelINS0_14default_configENS1_25partition_config_selectorILNS1_17partition_subalgoE5ElNS0_10empty_typeEbEEZZNS1_14partition_implILS5_5ELb0ES3_mN6hipcub16HIPCUB_304000_NS21CountingInputIteratorIllEEPS6_NSA_22TransformInputIteratorIb7NonZeroIdEPdlEENS0_5tupleIJPlS6_EEENSJ_IJSD_SD_EEES6_SK_JS6_EEE10hipError_tPvRmT3_T4_T5_T6_T7_T9_mT8_P12ihipStream_tbDpT10_ENKUlT_T0_E_clISt17integral_constantIbLb0EES15_IbLb1EEEEDaS11_S12_EUlS11_E_NS1_11comp_targetILNS1_3genE9ELNS1_11target_archE1100ELNS1_3gpuE3ELNS1_3repE0EEENS1_30default_config_static_selectorELNS0_4arch9wavefront6targetE0EEEvT1_
    .private_segment_fixed_size: 0
    .sgpr_count:     26
    .sgpr_spill_count: 0
    .symbol:         _ZN7rocprim17ROCPRIM_400000_NS6detail17trampoline_kernelINS0_14default_configENS1_25partition_config_selectorILNS1_17partition_subalgoE5ElNS0_10empty_typeEbEEZZNS1_14partition_implILS5_5ELb0ES3_mN6hipcub16HIPCUB_304000_NS21CountingInputIteratorIllEEPS6_NSA_22TransformInputIteratorIb7NonZeroIdEPdlEENS0_5tupleIJPlS6_EEENSJ_IJSD_SD_EEES6_SK_JS6_EEE10hipError_tPvRmT3_T4_T5_T6_T7_T9_mT8_P12ihipStream_tbDpT10_ENKUlT_T0_E_clISt17integral_constantIbLb0EES15_IbLb1EEEEDaS11_S12_EUlS11_E_NS1_11comp_targetILNS1_3genE9ELNS1_11target_archE1100ELNS1_3gpuE3ELNS1_3repE0EEENS1_30default_config_static_selectorELNS0_4arch9wavefront6targetE0EEEvT1_.kd
    .uniform_work_group_size: 1
    .uses_dynamic_stack: false
    .vgpr_count:     57
    .vgpr_spill_count: 0
    .wavefront_size: 32
    .workgroup_processor_mode: 1
  - .args:
      - .offset:         0
        .size:           136
        .value_kind:     by_value
    .group_segment_fixed_size: 0
    .kernarg_segment_align: 8
    .kernarg_segment_size: 136
    .language:       OpenCL C
    .language_version:
      - 2
      - 0
    .max_flat_workgroup_size: 512
    .name:           _ZN7rocprim17ROCPRIM_400000_NS6detail17trampoline_kernelINS0_14default_configENS1_25partition_config_selectorILNS1_17partition_subalgoE5ElNS0_10empty_typeEbEEZZNS1_14partition_implILS5_5ELb0ES3_mN6hipcub16HIPCUB_304000_NS21CountingInputIteratorIllEEPS6_NSA_22TransformInputIteratorIb7NonZeroIdEPdlEENS0_5tupleIJPlS6_EEENSJ_IJSD_SD_EEES6_SK_JS6_EEE10hipError_tPvRmT3_T4_T5_T6_T7_T9_mT8_P12ihipStream_tbDpT10_ENKUlT_T0_E_clISt17integral_constantIbLb0EES15_IbLb1EEEEDaS11_S12_EUlS11_E_NS1_11comp_targetILNS1_3genE8ELNS1_11target_archE1030ELNS1_3gpuE2ELNS1_3repE0EEENS1_30default_config_static_selectorELNS0_4arch9wavefront6targetE0EEEvT1_
    .private_segment_fixed_size: 0
    .sgpr_count:     0
    .sgpr_spill_count: 0
    .symbol:         _ZN7rocprim17ROCPRIM_400000_NS6detail17trampoline_kernelINS0_14default_configENS1_25partition_config_selectorILNS1_17partition_subalgoE5ElNS0_10empty_typeEbEEZZNS1_14partition_implILS5_5ELb0ES3_mN6hipcub16HIPCUB_304000_NS21CountingInputIteratorIllEEPS6_NSA_22TransformInputIteratorIb7NonZeroIdEPdlEENS0_5tupleIJPlS6_EEENSJ_IJSD_SD_EEES6_SK_JS6_EEE10hipError_tPvRmT3_T4_T5_T6_T7_T9_mT8_P12ihipStream_tbDpT10_ENKUlT_T0_E_clISt17integral_constantIbLb0EES15_IbLb1EEEEDaS11_S12_EUlS11_E_NS1_11comp_targetILNS1_3genE8ELNS1_11target_archE1030ELNS1_3gpuE2ELNS1_3repE0EEENS1_30default_config_static_selectorELNS0_4arch9wavefront6targetE0EEEvT1_.kd
    .uniform_work_group_size: 1
    .uses_dynamic_stack: false
    .vgpr_count:     0
    .vgpr_spill_count: 0
    .wavefront_size: 32
    .workgroup_processor_mode: 1
amdhsa.target:   amdgcn-amd-amdhsa--gfx1100
amdhsa.version:
  - 1
  - 2
...

	.end_amdgpu_metadata
